;; amdgpu-corpus repo=pytorch/pytorch kind=compiled arch=gfx90a opt=O3
	.text
	.amdgcn_target "amdgcn-amd-amdhsa--gfx90a"
	.amdhsa_code_object_version 6
	.section	.text._ZN2at6native12_GLOBAL__N_125multi_tensor_apply_kernelINS1_18TensorListMetadataILi4EEENS1_24PointwiseOpScalarFunctorIhLi4ELi3ELi3EEEJSt10multipliesIhEhEEEvT_T0_DpT1_,"axG",@progbits,_ZN2at6native12_GLOBAL__N_125multi_tensor_apply_kernelINS1_18TensorListMetadataILi4EEENS1_24PointwiseOpScalarFunctorIhLi4ELi3ELi3EEEJSt10multipliesIhEhEEEvT_T0_DpT1_,comdat
	.globl	_ZN2at6native12_GLOBAL__N_125multi_tensor_apply_kernelINS1_18TensorListMetadataILi4EEENS1_24PointwiseOpScalarFunctorIhLi4ELi3ELi3EEEJSt10multipliesIhEhEEEvT_T0_DpT1_ ; -- Begin function _ZN2at6native12_GLOBAL__N_125multi_tensor_apply_kernelINS1_18TensorListMetadataILi4EEENS1_24PointwiseOpScalarFunctorIhLi4ELi3ELi3EEEJSt10multipliesIhEhEEEvT_T0_DpT1_
	.p2align	8
	.type	_ZN2at6native12_GLOBAL__N_125multi_tensor_apply_kernelINS1_18TensorListMetadataILi4EEENS1_24PointwiseOpScalarFunctorIhLi4ELi3ELi3EEEJSt10multipliesIhEhEEEvT_T0_DpT1_,@function
_ZN2at6native12_GLOBAL__N_125multi_tensor_apply_kernelINS1_18TensorListMetadataILi4EEENS1_24PointwiseOpScalarFunctorIhLi4ELi3ELi3EEEJSt10multipliesIhEhEEEvT_T0_DpT1_: ; @_ZN2at6native12_GLOBAL__N_125multi_tensor_apply_kernelINS1_18TensorListMetadataILi4EEENS1_24PointwiseOpScalarFunctorIhLi4ELi3ELi3EEEJSt10multipliesIhEhEEEvT_T0_DpT1_
; %bb.0:
	v_mov_b32_e32 v1, s6
	global_load_ubyte v1, v1, s[4:5] offset:1440
	s_add_u32 s0, s4, s6
	s_mul_hi_u32 s1, s6, 3
	s_mul_i32 s6, s6, 3
	s_addc_u32 s2, s5, 0
	s_add_u32 s0, s0, s6
	s_addc_u32 s1, s2, s1
	s_load_dword s0, s[0:1], 0x6e0
	s_mov_b32 s15, 0
	s_waitcnt lgkmcnt(0)
	s_ashr_i32 s1, s0, 31
	s_lshl_b64 s[16:17], s[0:1], 16
	s_waitcnt vmcnt(0)
	v_readfirstlane_b32 s0, v1
	s_lshl_b32 s10, s0, 3
	s_load_dwordx2 s[0:1], s[4:5], s10 offset:0x0
	s_load_dword s23, s[4:5], 0xbe8
	s_load_dwordx2 s[18:19], s[4:5], s10 offset:0x480
	s_load_dwordx2 s[2:3], s[4:5], s10 offset:0x120
	;; [unrolled: 1-line block ×4, first 2 shown]
	s_waitcnt lgkmcnt(0)
	s_add_u32 s10, s0, s16
	s_addc_u32 s11, s1, s17
	s_add_u32 s20, s2, s16
	s_addc_u32 s24, s3, s17
	s_and_b32 s14, s20, 3
	s_cmp_eq_u64 s[14:15], 0
	s_cselect_b64 s[12:13], -1, 0
	s_add_u32 s21, s6, s16
	s_addc_u32 s25, s7, s17
	s_add_u32 s22, s8, s16
	s_addc_u32 s26, s9, s17
	s_or_b32 s14, s22, s21
	s_and_b32 s14, s14, 3
	s_cmp_eq_u32 s14, 0
	s_cselect_b64 s[28:29], -1, 0
	s_and_b64 s[28:29], s[28:29], s[12:13]
	s_sub_u32 s12, s18, s16
	s_subb_u32 s13, s19, s17
	s_or_b64 s[18:19], s[18:19], s[10:11]
	s_and_b32 s14, s18, 3
	s_cmp_eq_u64 s[14:15], 0
	s_cselect_b64 s[14:15], -1, 0
	s_and_b64 s[18:19], s[28:29], s[14:15]
	s_mov_b64 s[14:15], -1
	s_and_b64 vcc, exec, s[18:19]
	s_cbranch_vccnz .LBB0_29
; %bb.1:
	v_cmp_lt_i64_e64 s[14:15], s[12:13], 1
	s_and_b64 vcc, exec, s[14:15]
	s_cbranch_vccnz .LBB0_28
; %bb.2:
	s_load_dword s14, s[4:5], 0xbfc
	v_mov_b32_e32 v2, 0x10000
	v_mov_b32_e32 v3, 0
	v_cmp_lt_u64_e32 vcc, s[12:13], v[2:3]
	v_mov_b32_e32 v1, s17
	s_waitcnt lgkmcnt(0)
	s_and_b32 s28, s14, 0xffff
	s_and_b64 s[14:15], vcc, exec
	v_add_co_u32_e32 v29, vcc, s16, v0
	v_addc_co_u32_e32 v30, vcc, 0, v1, vcc
	v_mov_b32_e32 v31, s1
	v_add_co_u32_e32 v1, vcc, s0, v29
	v_addc_co_u32_e32 v2, vcc, v31, v30, vcc
	v_mov_b32_e32 v32, s3
	;; [unrolled: 3-line block ×3, first 2 shown]
	v_add_co_u32_e32 v5, vcc, s6, v29
	s_cselect_b32 s15, s13, 0
	s_cselect_b32 s14, s12, 0x10000
	s_lshl_b32 s29, s28, 1
	s_mul_i32 s18, s28, 3
	s_lshl_b32 s27, s28, 2
	v_addc_co_u32_e32 v6, vcc, v34, v30, vcc
	v_mov_b32_e32 v36, s9
	v_add_co_u32_e32 v7, vcc, s8, v29
	s_add_u32 s1, s16, s18
	v_addc_co_u32_e32 v8, vcc, v36, v30, vcc
	s_addc_u32 s3, s17, 0
	v_mov_b32_e32 v9, s3
	v_add_co_u32_e32 v15, vcc, s1, v0
	v_addc_co_u32_e32 v16, vcc, 0, v9, vcc
	v_add_co_u32_e32 v9, vcc, s0, v15
	v_addc_co_u32_e32 v10, vcc, v31, v16, vcc
	;; [unrolled: 2-line block ×5, first 2 shown]
	s_add_u32 s1, s16, s29
	v_add_co_u32_e32 v17, vcc, s18, v0
	s_addc_u32 s3, s17, 0
	v_addc_co_u32_e64 v18, s[18:19], 0, 0, vcc
	v_mov_b32_e32 v19, s3
	v_add_co_u32_e32 v25, vcc, s1, v0
	v_addc_co_u32_e32 v26, vcc, 0, v19, vcc
	v_add_co_u32_e32 v19, vcc, s0, v25
	v_addc_co_u32_e32 v20, vcc, v31, v26, vcc
	;; [unrolled: 2-line block ×5, first 2 shown]
	v_add_co_u32_e32 v27, vcc, s29, v0
	v_addc_co_u32_e64 v28, s[16:17], 0, 0, vcc
	v_add_co_u32_e32 v35, vcc, s28, v29
	v_addc_co_u32_e32 v37, vcc, 0, v30, vcc
	v_add_co_u32_e32 v29, vcc, s0, v35
	v_addc_co_u32_e32 v30, vcc, v31, v37, vcc
	;; [unrolled: 2-line block ×5, first 2 shown]
	v_add_co_u32_e32 v37, vcc, s28, v0
	v_addc_co_u32_e64 v38, s[0:1], 0, 0, vcc
	s_mov_b64 s[16:17], 0
	s_lshr_b32 s28, s23, 16
	s_branch .LBB0_4
.LBB0_3:                                ;   in Loop: Header=BB0_4 Depth=1
	s_or_b64 exec, exec, s[0:1]
	s_add_u32 s16, s16, s27
	s_addc_u32 s17, s17, 0
	s_waitcnt vmcnt(0)
	v_pk_mov_b32 v[40:41], s[12:13], s[12:13] op_sel:[0,1]
	v_cmp_lt_i64_e32 vcc, s[16:17], v[40:41]
	v_mov_b32_e32 v40, 0x10000
	v_mov_b32_e32 v41, 0
	v_cmp_lt_u64_e64 s[0:1], s[16:17], v[40:41]
	s_and_b64 s[0:1], vcc, s[0:1]
	s_and_b64 vcc, exec, s[0:1]
	s_cbranch_vccz .LBB0_28
.LBB0_4:                                ; =>This Inner Loop Header: Depth=1
	v_mov_b32_e32 v39, s17
	v_add_co_u32_e32 v40, vcc, s16, v0
	v_addc_co_u32_e32 v41, vcc, 0, v39, vcc
	v_cmp_gt_u64_e32 vcc, s[14:15], v[40:41]
	v_mov_b32_e32 v39, 0
	v_mov_b32_e32 v40, 0
	s_and_saveexec_b64 s[2:3], vcc
	s_cbranch_execz .LBB0_6
; %bb.5:                                ;   in Loop: Header=BB0_4 Depth=1
	v_mov_b32_e32 v39, s17
	v_add_co_u32_e64 v42, s[0:1], s16, v1
	v_addc_co_u32_e64 v43, s[0:1], v2, v39, s[0:1]
	v_add_co_u32_e64 v44, s[0:1], s16, v3
	v_addc_co_u32_e64 v45, s[0:1], v4, v39, s[0:1]
	global_load_ubyte v39, v[42:43], off
	global_load_ubyte v40, v[44:45], off
.LBB0_6:                                ;   in Loop: Header=BB0_4 Depth=1
	s_or_b64 exec, exec, s[2:3]
	v_mov_b32_e32 v41, 0
	v_mov_b32_e32 v42, 0
	s_and_saveexec_b64 s[2:3], vcc
	s_cbranch_execz .LBB0_8
; %bb.7:                                ;   in Loop: Header=BB0_4 Depth=1
	v_mov_b32_e32 v43, s17
	v_add_co_u32_e64 v42, s[0:1], s16, v5
	v_addc_co_u32_e64 v43, s[0:1], v6, v43, s[0:1]
	global_load_ubyte v42, v[42:43], off
.LBB0_8:                                ;   in Loop: Header=BB0_4 Depth=1
	s_or_b64 exec, exec, s[2:3]
	v_mov_b32_e32 v43, s17
	v_add_co_u32_e64 v44, s[0:1], s16, v37
	v_addc_co_u32_e64 v45, s[0:1], v38, v43, s[0:1]
	v_cmp_gt_u64_e64 s[0:1], s[14:15], v[44:45]
	v_mov_b32_e32 v43, 0
	s_and_saveexec_b64 s[6:7], s[0:1]
	s_cbranch_execz .LBB0_10
; %bb.9:                                ;   in Loop: Header=BB0_4 Depth=1
	v_mov_b32_e32 v41, s17
	v_add_co_u32_e64 v44, s[2:3], s16, v31
	v_addc_co_u32_e64 v45, s[2:3], v32, v41, s[2:3]
	v_add_co_u32_e64 v46, s[2:3], s16, v29
	v_addc_co_u32_e64 v47, s[2:3], v30, v41, s[2:3]
	global_load_ubyte v41, v[46:47], off
	global_load_ubyte v43, v[44:45], off
.LBB0_10:                               ;   in Loop: Header=BB0_4 Depth=1
	s_or_b64 exec, exec, s[6:7]
	v_mov_b32_e32 v44, 0
	v_mov_b32_e32 v45, 0
	s_and_saveexec_b64 s[6:7], s[0:1]
	s_cbranch_execz .LBB0_12
; %bb.11:                               ;   in Loop: Header=BB0_4 Depth=1
	v_mov_b32_e32 v45, s17
	v_add_co_u32_e64 v46, s[2:3], s16, v33
	v_addc_co_u32_e64 v47, s[2:3], v34, v45, s[2:3]
	global_load_ubyte v45, v[46:47], off
.LBB0_12:                               ;   in Loop: Header=BB0_4 Depth=1
	s_or_b64 exec, exec, s[6:7]
	v_mov_b32_e32 v47, s17
	v_add_co_u32_e64 v46, s[2:3], s16, v27
	v_addc_co_u32_e64 v47, s[2:3], v28, v47, s[2:3]
	v_cmp_gt_u64_e64 s[2:3], s[14:15], v[46:47]
	v_mov_b32_e32 v46, 0
	s_and_saveexec_b64 s[8:9], s[2:3]
	s_cbranch_execz .LBB0_14
; %bb.13:                               ;   in Loop: Header=BB0_4 Depth=1
	v_mov_b32_e32 v44, s17
	v_add_co_u32_e64 v48, s[6:7], s16, v21
	v_addc_co_u32_e64 v49, s[6:7], v22, v44, s[6:7]
	v_add_co_u32_e64 v50, s[6:7], s16, v19
	v_addc_co_u32_e64 v51, s[6:7], v20, v44, s[6:7]
	global_load_ubyte v44, v[50:51], off
	global_load_ubyte v46, v[48:49], off
.LBB0_14:                               ;   in Loop: Header=BB0_4 Depth=1
	s_or_b64 exec, exec, s[8:9]
	v_mov_b32_e32 v47, 0
	v_mov_b32_e32 v48, 0
	s_and_saveexec_b64 s[8:9], s[2:3]
	s_cbranch_execz .LBB0_16
; %bb.15:                               ;   in Loop: Header=BB0_4 Depth=1
	v_mov_b32_e32 v49, s17
	v_add_co_u32_e64 v48, s[6:7], s16, v23
	v_addc_co_u32_e64 v49, s[6:7], v24, v49, s[6:7]
	global_load_ubyte v48, v[48:49], off
.LBB0_16:                               ;   in Loop: Header=BB0_4 Depth=1
	s_or_b64 exec, exec, s[8:9]
	v_mov_b32_e32 v49, s17
	v_add_co_u32_e64 v50, s[6:7], s16, v17
	v_addc_co_u32_e64 v51, s[6:7], v18, v49, s[6:7]
	v_cmp_gt_u64_e64 s[6:7], s[14:15], v[50:51]
	v_mov_b32_e32 v49, 0
	s_and_saveexec_b64 s[18:19], s[6:7]
	s_cbranch_execnz .LBB0_22
; %bb.17:                               ;   in Loop: Header=BB0_4 Depth=1
	s_or_b64 exec, exec, s[18:19]
	v_mov_b32_e32 v50, 0
	s_and_saveexec_b64 s[18:19], s[6:7]
	s_cbranch_execnz .LBB0_23
.LBB0_18:                               ;   in Loop: Header=BB0_4 Depth=1
	s_or_b64 exec, exec, s[18:19]
	s_and_saveexec_b64 s[8:9], vcc
	s_cbranch_execnz .LBB0_24
.LBB0_19:                               ;   in Loop: Header=BB0_4 Depth=1
	s_or_b64 exec, exec, s[8:9]
	s_and_saveexec_b64 s[8:9], s[0:1]
	s_cbranch_execnz .LBB0_25
.LBB0_20:                               ;   in Loop: Header=BB0_4 Depth=1
	s_or_b64 exec, exec, s[8:9]
	s_and_saveexec_b64 s[0:1], s[2:3]
	s_cbranch_execnz .LBB0_26
.LBB0_21:                               ;   in Loop: Header=BB0_4 Depth=1
	s_or_b64 exec, exec, s[0:1]
	s_and_saveexec_b64 s[0:1], s[6:7]
	s_cbranch_execz .LBB0_3
	s_branch .LBB0_27
.LBB0_22:                               ;   in Loop: Header=BB0_4 Depth=1
	v_mov_b32_e32 v47, s17
	v_add_co_u32_e64 v50, s[8:9], s16, v11
	v_addc_co_u32_e64 v51, s[8:9], v12, v47, s[8:9]
	v_add_co_u32_e64 v52, s[8:9], s16, v9
	v_addc_co_u32_e64 v53, s[8:9], v10, v47, s[8:9]
	global_load_ubyte v47, v[52:53], off
	global_load_ubyte v49, v[50:51], off
	s_or_b64 exec, exec, s[18:19]
	v_mov_b32_e32 v50, 0
	s_and_saveexec_b64 s[18:19], s[6:7]
	s_cbranch_execz .LBB0_18
.LBB0_23:                               ;   in Loop: Header=BB0_4 Depth=1
	v_mov_b32_e32 v51, s17
	v_add_co_u32_e64 v50, s[8:9], s16, v13
	v_addc_co_u32_e64 v51, s[8:9], v14, v51, s[8:9]
	global_load_ubyte v50, v[50:51], off
	s_or_b64 exec, exec, s[18:19]
	s_and_saveexec_b64 s[8:9], vcc
	s_cbranch_execz .LBB0_19
.LBB0_24:                               ;   in Loop: Header=BB0_4 Depth=1
	s_waitcnt vmcnt(0)
	v_mul_lo_u16_e32 v40, s28, v40
	v_mad_legacy_u16 v39, v40, v42, v39
	v_mov_b32_e32 v40, s17
	v_add_co_u32_e32 v52, vcc, s16, v7
	v_addc_co_u32_e32 v53, vcc, v8, v40, vcc
	global_store_byte v[52:53], v39, off
	s_or_b64 exec, exec, s[8:9]
	s_and_saveexec_b64 s[8:9], s[0:1]
	s_cbranch_execz .LBB0_20
.LBB0_25:                               ;   in Loop: Header=BB0_4 Depth=1
	s_waitcnt vmcnt(0)
	v_mul_lo_u16_e32 v39, s28, v43
	v_mad_legacy_u16 v39, v39, v45, v41
	v_mov_b32_e32 v41, s17
	v_add_co_u32_e32 v40, vcc, s16, v35
	v_addc_co_u32_e32 v41, vcc, v36, v41, vcc
	global_store_byte v[40:41], v39, off
	s_or_b64 exec, exec, s[8:9]
	s_and_saveexec_b64 s[0:1], s[2:3]
	s_cbranch_execz .LBB0_21
.LBB0_26:                               ;   in Loop: Header=BB0_4 Depth=1
	s_waitcnt vmcnt(0)
	v_mul_lo_u16_e32 v39, s28, v46
	v_mov_b32_e32 v41, s17
	v_add_co_u32_e32 v40, vcc, s16, v25
	v_mad_legacy_u16 v39, v39, v48, v44
	v_addc_co_u32_e32 v41, vcc, v26, v41, vcc
	global_store_byte v[40:41], v39, off
	s_or_b64 exec, exec, s[0:1]
	s_and_saveexec_b64 s[0:1], s[6:7]
	s_cbranch_execz .LBB0_3
.LBB0_27:                               ;   in Loop: Header=BB0_4 Depth=1
	s_waitcnt vmcnt(0)
	v_mul_lo_u16_e32 v39, s28, v49
	v_mov_b32_e32 v41, s17
	v_add_co_u32_e32 v40, vcc, s16, v15
	v_mad_legacy_u16 v39, v39, v50, v47
	v_addc_co_u32_e32 v41, vcc, v16, v41, vcc
	global_store_byte v[40:41], v39, off
	s_branch .LBB0_3
.LBB0_28:
	s_mov_b64 s[14:15], 0
.LBB0_29:
	s_andn2_b64 vcc, exec, s[14:15]
	s_cbranch_vccnz .LBB0_33
; %bb.30:
	v_lshlrev_b32_e32 v0, 2, v0
	v_mov_b32_e32 v1, 0
	v_cmp_gt_i64_e32 vcc, s[12:13], v[0:1]
	s_and_saveexec_b64 s[0:1], vcc
	s_cbranch_execz .LBB0_33
; %bb.31:
	s_load_dword s0, s[4:5], 0xbfc
	s_mov_b32 s1, 0
	s_mov_b64 s[2:3], 0
	s_lshr_b32 s6, s23, 16
	v_mov_b32_e32 v2, s11
	s_waitcnt lgkmcnt(0)
	s_and_b32 s0, s0, 0xffff
	s_lshl_b32 s7, s0, 2
	v_mov_b32_e32 v3, s24
	v_mov_b32_e32 v4, s25
	s_mov_b32 s8, 0x6050400
	v_mov_b32_e32 v5, s26
	v_mov_b32_e32 v6, s1
	s_mov_b64 s[4:5], 0xffff
.LBB0_32:                               ; =>This Inner Loop Header: Depth=1
	v_add_co_u32_e32 v8, vcc, s10, v0
	v_addc_co_u32_e32 v9, vcc, v2, v1, vcc
	v_add_co_u32_e32 v10, vcc, s20, v0
	v_addc_co_u32_e32 v11, vcc, v3, v1, vcc
	;; [unrolled: 2-line block ×3, first 2 shown]
	global_load_dword v7, v[10:11], off
	global_load_dword v14, v[8:9], off
	;; [unrolled: 1-line block ×3, first 2 shown]
	v_add_co_u32_e32 v8, vcc, s22, v0
	v_addc_co_u32_e32 v9, vcc, v5, v1, vcc
	v_add_co_u32_e32 v0, vcc, s7, v0
	v_addc_co_u32_e32 v1, vcc, v6, v1, vcc
	v_cmp_le_i64_e32 vcc, s[12:13], v[0:1]
	v_cmp_lt_u64_e64 s[0:1], s[4:5], v[0:1]
	s_or_b64 s[0:1], vcc, s[0:1]
	s_and_b64 s[0:1], exec, s[0:1]
	s_or_b64 s[2:3], s[0:1], s[2:3]
	s_waitcnt vmcnt(2)
	v_lshrrev_b32_e32 v12, 8, v7
	v_mul_lo_u16_e32 v10, s6, v7
	s_waitcnt vmcnt(1)
	v_lshrrev_b32_e32 v11, 8, v14
	s_waitcnt vmcnt(0)
	v_lshrrev_b32_e32 v13, 8, v15
	v_lshrrev_b32_e32 v16, 16, v14
	;; [unrolled: 1-line block ×3, first 2 shown]
	v_mul_lo_u16_sdwa v18, v7, s6 dst_sel:DWORD dst_unused:UNUSED_PAD src0_sel:WORD_1 src1_sel:DWORD
	v_mul_lo_u16_e32 v12, s6, v12
	v_lshrrev_b32_e32 v19, 24, v14
	v_lshrrev_b32_e32 v20, 24, v15
	v_mul_lo_u16_sdwa v7, v7, s6 dst_sel:DWORD dst_unused:UNUSED_PAD src0_sel:BYTE_3 src1_sel:DWORD
	v_mad_legacy_u16 v10, v10, v15, v14
	v_mad_legacy_u16 v14, v18, v17, v16
	;; [unrolled: 1-line block ×4, first 2 shown]
	v_and_b32_e32 v12, 0xff, v14
	v_and_b32_e32 v11, 0xff, v11
	v_lshlrev_b32_e32 v7, 24, v7
	v_lshlrev_b32_e32 v12, 16, v12
	v_perm_b32 v10, v11, v10, s8
	v_or3_b32 v7, v10, v12, v7
	global_store_dword v[8:9], v7, off
	s_andn2_b64 exec, exec, s[2:3]
	s_cbranch_execnz .LBB0_32
.LBB0_33:
	s_endpgm
	.section	.rodata,"a",@progbits
	.p2align	6, 0x0
	.amdhsa_kernel _ZN2at6native12_GLOBAL__N_125multi_tensor_apply_kernelINS1_18TensorListMetadataILi4EEENS1_24PointwiseOpScalarFunctorIhLi4ELi3ELi3EEEJSt10multipliesIhEhEEEvT_T0_DpT1_
		.amdhsa_group_segment_fixed_size 0
		.amdhsa_private_segment_fixed_size 0
		.amdhsa_kernarg_size 3312
		.amdhsa_user_sgpr_count 6
		.amdhsa_user_sgpr_private_segment_buffer 1
		.amdhsa_user_sgpr_dispatch_ptr 0
		.amdhsa_user_sgpr_queue_ptr 0
		.amdhsa_user_sgpr_kernarg_segment_ptr 1
		.amdhsa_user_sgpr_dispatch_id 0
		.amdhsa_user_sgpr_flat_scratch_init 0
		.amdhsa_user_sgpr_kernarg_preload_length 0
		.amdhsa_user_sgpr_kernarg_preload_offset 0
		.amdhsa_user_sgpr_private_segment_size 0
		.amdhsa_uses_dynamic_stack 0
		.amdhsa_system_sgpr_private_segment_wavefront_offset 0
		.amdhsa_system_sgpr_workgroup_id_x 1
		.amdhsa_system_sgpr_workgroup_id_y 0
		.amdhsa_system_sgpr_workgroup_id_z 0
		.amdhsa_system_sgpr_workgroup_info 0
		.amdhsa_system_vgpr_workitem_id 0
		.amdhsa_next_free_vgpr 54
		.amdhsa_next_free_sgpr 30
		.amdhsa_accum_offset 56
		.amdhsa_reserve_vcc 1
		.amdhsa_reserve_flat_scratch 0
		.amdhsa_float_round_mode_32 0
		.amdhsa_float_round_mode_16_64 0
		.amdhsa_float_denorm_mode_32 3
		.amdhsa_float_denorm_mode_16_64 3
		.amdhsa_dx10_clamp 1
		.amdhsa_ieee_mode 1
		.amdhsa_fp16_overflow 0
		.amdhsa_tg_split 0
		.amdhsa_exception_fp_ieee_invalid_op 0
		.amdhsa_exception_fp_denorm_src 0
		.amdhsa_exception_fp_ieee_div_zero 0
		.amdhsa_exception_fp_ieee_overflow 0
		.amdhsa_exception_fp_ieee_underflow 0
		.amdhsa_exception_fp_ieee_inexact 0
		.amdhsa_exception_int_div_zero 0
	.end_amdhsa_kernel
	.section	.text._ZN2at6native12_GLOBAL__N_125multi_tensor_apply_kernelINS1_18TensorListMetadataILi4EEENS1_24PointwiseOpScalarFunctorIhLi4ELi3ELi3EEEJSt10multipliesIhEhEEEvT_T0_DpT1_,"axG",@progbits,_ZN2at6native12_GLOBAL__N_125multi_tensor_apply_kernelINS1_18TensorListMetadataILi4EEENS1_24PointwiseOpScalarFunctorIhLi4ELi3ELi3EEEJSt10multipliesIhEhEEEvT_T0_DpT1_,comdat
.Lfunc_end0:
	.size	_ZN2at6native12_GLOBAL__N_125multi_tensor_apply_kernelINS1_18TensorListMetadataILi4EEENS1_24PointwiseOpScalarFunctorIhLi4ELi3ELi3EEEJSt10multipliesIhEhEEEvT_T0_DpT1_, .Lfunc_end0-_ZN2at6native12_GLOBAL__N_125multi_tensor_apply_kernelINS1_18TensorListMetadataILi4EEENS1_24PointwiseOpScalarFunctorIhLi4ELi3ELi3EEEJSt10multipliesIhEhEEEvT_T0_DpT1_
                                        ; -- End function
	.section	.AMDGPU.csdata,"",@progbits
; Kernel info:
; codeLenInByte = 1792
; NumSgprs: 34
; NumVgprs: 54
; NumAgprs: 0
; TotalNumVgprs: 54
; ScratchSize: 0
; MemoryBound: 0
; FloatMode: 240
; IeeeMode: 1
; LDSByteSize: 0 bytes/workgroup (compile time only)
; SGPRBlocks: 4
; VGPRBlocks: 6
; NumSGPRsForWavesPerEU: 34
; NumVGPRsForWavesPerEU: 54
; AccumOffset: 56
; Occupancy: 8
; WaveLimiterHint : 0
; COMPUTE_PGM_RSRC2:SCRATCH_EN: 0
; COMPUTE_PGM_RSRC2:USER_SGPR: 6
; COMPUTE_PGM_RSRC2:TRAP_HANDLER: 0
; COMPUTE_PGM_RSRC2:TGID_X_EN: 1
; COMPUTE_PGM_RSRC2:TGID_Y_EN: 0
; COMPUTE_PGM_RSRC2:TGID_Z_EN: 0
; COMPUTE_PGM_RSRC2:TIDIG_COMP_CNT: 0
; COMPUTE_PGM_RSRC3_GFX90A:ACCUM_OFFSET: 13
; COMPUTE_PGM_RSRC3_GFX90A:TG_SPLIT: 0
	.section	.text._ZN2at6native12_GLOBAL__N_125multi_tensor_apply_kernelINS1_18TensorListMetadataILi4EEENS1_24PointwiseOpScalarFunctorIaLi4ELi3ELi3EEEJSt10multipliesIaEaEEEvT_T0_DpT1_,"axG",@progbits,_ZN2at6native12_GLOBAL__N_125multi_tensor_apply_kernelINS1_18TensorListMetadataILi4EEENS1_24PointwiseOpScalarFunctorIaLi4ELi3ELi3EEEJSt10multipliesIaEaEEEvT_T0_DpT1_,comdat
	.globl	_ZN2at6native12_GLOBAL__N_125multi_tensor_apply_kernelINS1_18TensorListMetadataILi4EEENS1_24PointwiseOpScalarFunctorIaLi4ELi3ELi3EEEJSt10multipliesIaEaEEEvT_T0_DpT1_ ; -- Begin function _ZN2at6native12_GLOBAL__N_125multi_tensor_apply_kernelINS1_18TensorListMetadataILi4EEENS1_24PointwiseOpScalarFunctorIaLi4ELi3ELi3EEEJSt10multipliesIaEaEEEvT_T0_DpT1_
	.p2align	8
	.type	_ZN2at6native12_GLOBAL__N_125multi_tensor_apply_kernelINS1_18TensorListMetadataILi4EEENS1_24PointwiseOpScalarFunctorIaLi4ELi3ELi3EEEJSt10multipliesIaEaEEEvT_T0_DpT1_,@function
_ZN2at6native12_GLOBAL__N_125multi_tensor_apply_kernelINS1_18TensorListMetadataILi4EEENS1_24PointwiseOpScalarFunctorIaLi4ELi3ELi3EEEJSt10multipliesIaEaEEEvT_T0_DpT1_: ; @_ZN2at6native12_GLOBAL__N_125multi_tensor_apply_kernelINS1_18TensorListMetadataILi4EEENS1_24PointwiseOpScalarFunctorIaLi4ELi3ELi3EEEJSt10multipliesIaEaEEEvT_T0_DpT1_
; %bb.0:
	v_mov_b32_e32 v1, s6
	global_load_ubyte v1, v1, s[4:5] offset:1440
	s_add_u32 s0, s4, s6
	s_mul_hi_u32 s1, s6, 3
	s_mul_i32 s6, s6, 3
	s_addc_u32 s2, s5, 0
	s_add_u32 s0, s0, s6
	s_addc_u32 s1, s2, s1
	s_load_dword s0, s[0:1], 0x6e0
	s_mov_b32 s15, 0
	s_waitcnt lgkmcnt(0)
	s_ashr_i32 s1, s0, 31
	s_lshl_b64 s[16:17], s[0:1], 16
	s_waitcnt vmcnt(0)
	v_readfirstlane_b32 s0, v1
	s_lshl_b32 s10, s0, 3
	s_load_dwordx2 s[0:1], s[4:5], s10 offset:0x0
	s_load_dword s23, s[4:5], 0xbe8
	s_load_dwordx2 s[18:19], s[4:5], s10 offset:0x480
	s_load_dwordx2 s[2:3], s[4:5], s10 offset:0x120
	;; [unrolled: 1-line block ×4, first 2 shown]
	s_waitcnt lgkmcnt(0)
	s_add_u32 s10, s0, s16
	s_addc_u32 s11, s1, s17
	s_add_u32 s20, s2, s16
	s_addc_u32 s24, s3, s17
	s_and_b32 s14, s20, 3
	s_cmp_eq_u64 s[14:15], 0
	s_cselect_b64 s[12:13], -1, 0
	s_add_u32 s21, s6, s16
	s_addc_u32 s25, s7, s17
	s_add_u32 s22, s8, s16
	s_addc_u32 s26, s9, s17
	s_or_b32 s14, s22, s21
	s_and_b32 s14, s14, 3
	s_cmp_eq_u32 s14, 0
	s_cselect_b64 s[28:29], -1, 0
	s_and_b64 s[28:29], s[28:29], s[12:13]
	s_sub_u32 s12, s18, s16
	s_subb_u32 s13, s19, s17
	s_or_b64 s[18:19], s[18:19], s[10:11]
	s_and_b32 s14, s18, 3
	s_cmp_eq_u64 s[14:15], 0
	s_cselect_b64 s[14:15], -1, 0
	s_and_b64 s[18:19], s[28:29], s[14:15]
	s_mov_b64 s[14:15], -1
	s_and_b64 vcc, exec, s[18:19]
	s_cbranch_vccnz .LBB1_29
; %bb.1:
	v_cmp_lt_i64_e64 s[14:15], s[12:13], 1
	s_and_b64 vcc, exec, s[14:15]
	s_cbranch_vccnz .LBB1_28
; %bb.2:
	s_load_dword s14, s[4:5], 0xbfc
	v_mov_b32_e32 v2, 0x10000
	v_mov_b32_e32 v3, 0
	v_cmp_lt_u64_e32 vcc, s[12:13], v[2:3]
	v_mov_b32_e32 v1, s17
	s_waitcnt lgkmcnt(0)
	s_and_b32 s28, s14, 0xffff
	s_and_b64 s[14:15], vcc, exec
	v_add_co_u32_e32 v29, vcc, s16, v0
	v_addc_co_u32_e32 v30, vcc, 0, v1, vcc
	v_mov_b32_e32 v31, s1
	v_add_co_u32_e32 v1, vcc, s0, v29
	v_addc_co_u32_e32 v2, vcc, v31, v30, vcc
	v_mov_b32_e32 v32, s3
	;; [unrolled: 3-line block ×3, first 2 shown]
	v_add_co_u32_e32 v5, vcc, s6, v29
	s_cselect_b32 s15, s13, 0
	s_cselect_b32 s14, s12, 0x10000
	s_lshl_b32 s29, s28, 1
	s_mul_i32 s18, s28, 3
	s_lshl_b32 s27, s28, 2
	v_addc_co_u32_e32 v6, vcc, v34, v30, vcc
	v_mov_b32_e32 v36, s9
	v_add_co_u32_e32 v7, vcc, s8, v29
	s_add_u32 s1, s16, s18
	v_addc_co_u32_e32 v8, vcc, v36, v30, vcc
	s_addc_u32 s3, s17, 0
	v_mov_b32_e32 v9, s3
	v_add_co_u32_e32 v15, vcc, s1, v0
	v_addc_co_u32_e32 v16, vcc, 0, v9, vcc
	v_add_co_u32_e32 v9, vcc, s0, v15
	v_addc_co_u32_e32 v10, vcc, v31, v16, vcc
	;; [unrolled: 2-line block ×5, first 2 shown]
	s_add_u32 s1, s16, s29
	v_add_co_u32_e32 v17, vcc, s18, v0
	s_addc_u32 s3, s17, 0
	v_addc_co_u32_e64 v18, s[18:19], 0, 0, vcc
	v_mov_b32_e32 v19, s3
	v_add_co_u32_e32 v25, vcc, s1, v0
	v_addc_co_u32_e32 v26, vcc, 0, v19, vcc
	v_add_co_u32_e32 v19, vcc, s0, v25
	v_addc_co_u32_e32 v20, vcc, v31, v26, vcc
	;; [unrolled: 2-line block ×5, first 2 shown]
	v_add_co_u32_e32 v27, vcc, s29, v0
	v_addc_co_u32_e64 v28, s[16:17], 0, 0, vcc
	v_add_co_u32_e32 v35, vcc, s28, v29
	v_addc_co_u32_e32 v37, vcc, 0, v30, vcc
	v_add_co_u32_e32 v29, vcc, s0, v35
	v_addc_co_u32_e32 v30, vcc, v31, v37, vcc
	;; [unrolled: 2-line block ×5, first 2 shown]
	v_add_co_u32_e32 v37, vcc, s28, v0
	v_addc_co_u32_e64 v38, s[0:1], 0, 0, vcc
	s_mov_b64 s[16:17], 0
	s_lshr_b32 s28, s23, 16
	s_branch .LBB1_4
.LBB1_3:                                ;   in Loop: Header=BB1_4 Depth=1
	s_or_b64 exec, exec, s[0:1]
	s_add_u32 s16, s16, s27
	s_addc_u32 s17, s17, 0
	s_waitcnt vmcnt(0)
	v_pk_mov_b32 v[40:41], s[12:13], s[12:13] op_sel:[0,1]
	v_cmp_lt_i64_e32 vcc, s[16:17], v[40:41]
	v_mov_b32_e32 v40, 0x10000
	v_mov_b32_e32 v41, 0
	v_cmp_lt_u64_e64 s[0:1], s[16:17], v[40:41]
	s_and_b64 s[0:1], vcc, s[0:1]
	s_and_b64 vcc, exec, s[0:1]
	s_cbranch_vccz .LBB1_28
.LBB1_4:                                ; =>This Inner Loop Header: Depth=1
	v_mov_b32_e32 v39, s17
	v_add_co_u32_e32 v40, vcc, s16, v0
	v_addc_co_u32_e32 v41, vcc, 0, v39, vcc
	v_cmp_gt_u64_e32 vcc, s[14:15], v[40:41]
	v_mov_b32_e32 v39, 0
	v_mov_b32_e32 v40, 0
	s_and_saveexec_b64 s[2:3], vcc
	s_cbranch_execz .LBB1_6
; %bb.5:                                ;   in Loop: Header=BB1_4 Depth=1
	v_mov_b32_e32 v39, s17
	v_add_co_u32_e64 v42, s[0:1], s16, v1
	v_addc_co_u32_e64 v43, s[0:1], v2, v39, s[0:1]
	v_add_co_u32_e64 v44, s[0:1], s16, v3
	v_addc_co_u32_e64 v45, s[0:1], v4, v39, s[0:1]
	global_load_ubyte v39, v[42:43], off
	global_load_ubyte v40, v[44:45], off
.LBB1_6:                                ;   in Loop: Header=BB1_4 Depth=1
	s_or_b64 exec, exec, s[2:3]
	v_mov_b32_e32 v41, 0
	v_mov_b32_e32 v42, 0
	s_and_saveexec_b64 s[2:3], vcc
	s_cbranch_execz .LBB1_8
; %bb.7:                                ;   in Loop: Header=BB1_4 Depth=1
	v_mov_b32_e32 v43, s17
	v_add_co_u32_e64 v42, s[0:1], s16, v5
	v_addc_co_u32_e64 v43, s[0:1], v6, v43, s[0:1]
	global_load_ubyte v42, v[42:43], off
.LBB1_8:                                ;   in Loop: Header=BB1_4 Depth=1
	s_or_b64 exec, exec, s[2:3]
	v_mov_b32_e32 v43, s17
	v_add_co_u32_e64 v44, s[0:1], s16, v37
	v_addc_co_u32_e64 v45, s[0:1], v38, v43, s[0:1]
	v_cmp_gt_u64_e64 s[0:1], s[14:15], v[44:45]
	v_mov_b32_e32 v43, 0
	s_and_saveexec_b64 s[6:7], s[0:1]
	s_cbranch_execz .LBB1_10
; %bb.9:                                ;   in Loop: Header=BB1_4 Depth=1
	v_mov_b32_e32 v41, s17
	v_add_co_u32_e64 v44, s[2:3], s16, v31
	v_addc_co_u32_e64 v45, s[2:3], v32, v41, s[2:3]
	v_add_co_u32_e64 v46, s[2:3], s16, v29
	v_addc_co_u32_e64 v47, s[2:3], v30, v41, s[2:3]
	global_load_ubyte v41, v[46:47], off
	global_load_ubyte v43, v[44:45], off
.LBB1_10:                               ;   in Loop: Header=BB1_4 Depth=1
	s_or_b64 exec, exec, s[6:7]
	v_mov_b32_e32 v44, 0
	v_mov_b32_e32 v45, 0
	s_and_saveexec_b64 s[6:7], s[0:1]
	s_cbranch_execz .LBB1_12
; %bb.11:                               ;   in Loop: Header=BB1_4 Depth=1
	v_mov_b32_e32 v45, s17
	v_add_co_u32_e64 v46, s[2:3], s16, v33
	v_addc_co_u32_e64 v47, s[2:3], v34, v45, s[2:3]
	global_load_ubyte v45, v[46:47], off
.LBB1_12:                               ;   in Loop: Header=BB1_4 Depth=1
	s_or_b64 exec, exec, s[6:7]
	v_mov_b32_e32 v47, s17
	v_add_co_u32_e64 v46, s[2:3], s16, v27
	v_addc_co_u32_e64 v47, s[2:3], v28, v47, s[2:3]
	v_cmp_gt_u64_e64 s[2:3], s[14:15], v[46:47]
	v_mov_b32_e32 v46, 0
	s_and_saveexec_b64 s[8:9], s[2:3]
	s_cbranch_execz .LBB1_14
; %bb.13:                               ;   in Loop: Header=BB1_4 Depth=1
	v_mov_b32_e32 v44, s17
	v_add_co_u32_e64 v48, s[6:7], s16, v21
	v_addc_co_u32_e64 v49, s[6:7], v22, v44, s[6:7]
	v_add_co_u32_e64 v50, s[6:7], s16, v19
	v_addc_co_u32_e64 v51, s[6:7], v20, v44, s[6:7]
	global_load_ubyte v44, v[50:51], off
	global_load_ubyte v46, v[48:49], off
.LBB1_14:                               ;   in Loop: Header=BB1_4 Depth=1
	s_or_b64 exec, exec, s[8:9]
	v_mov_b32_e32 v47, 0
	v_mov_b32_e32 v48, 0
	s_and_saveexec_b64 s[8:9], s[2:3]
	s_cbranch_execz .LBB1_16
; %bb.15:                               ;   in Loop: Header=BB1_4 Depth=1
	v_mov_b32_e32 v49, s17
	v_add_co_u32_e64 v48, s[6:7], s16, v23
	v_addc_co_u32_e64 v49, s[6:7], v24, v49, s[6:7]
	global_load_ubyte v48, v[48:49], off
.LBB1_16:                               ;   in Loop: Header=BB1_4 Depth=1
	s_or_b64 exec, exec, s[8:9]
	v_mov_b32_e32 v49, s17
	v_add_co_u32_e64 v50, s[6:7], s16, v17
	v_addc_co_u32_e64 v51, s[6:7], v18, v49, s[6:7]
	v_cmp_gt_u64_e64 s[6:7], s[14:15], v[50:51]
	v_mov_b32_e32 v49, 0
	s_and_saveexec_b64 s[18:19], s[6:7]
	s_cbranch_execnz .LBB1_22
; %bb.17:                               ;   in Loop: Header=BB1_4 Depth=1
	s_or_b64 exec, exec, s[18:19]
	v_mov_b32_e32 v50, 0
	s_and_saveexec_b64 s[18:19], s[6:7]
	s_cbranch_execnz .LBB1_23
.LBB1_18:                               ;   in Loop: Header=BB1_4 Depth=1
	s_or_b64 exec, exec, s[18:19]
	s_and_saveexec_b64 s[8:9], vcc
	s_cbranch_execnz .LBB1_24
.LBB1_19:                               ;   in Loop: Header=BB1_4 Depth=1
	s_or_b64 exec, exec, s[8:9]
	s_and_saveexec_b64 s[8:9], s[0:1]
	s_cbranch_execnz .LBB1_25
.LBB1_20:                               ;   in Loop: Header=BB1_4 Depth=1
	s_or_b64 exec, exec, s[8:9]
	s_and_saveexec_b64 s[0:1], s[2:3]
	s_cbranch_execnz .LBB1_26
.LBB1_21:                               ;   in Loop: Header=BB1_4 Depth=1
	s_or_b64 exec, exec, s[0:1]
	s_and_saveexec_b64 s[0:1], s[6:7]
	s_cbranch_execz .LBB1_3
	s_branch .LBB1_27
.LBB1_22:                               ;   in Loop: Header=BB1_4 Depth=1
	v_mov_b32_e32 v47, s17
	v_add_co_u32_e64 v50, s[8:9], s16, v11
	v_addc_co_u32_e64 v51, s[8:9], v12, v47, s[8:9]
	v_add_co_u32_e64 v52, s[8:9], s16, v9
	v_addc_co_u32_e64 v53, s[8:9], v10, v47, s[8:9]
	global_load_ubyte v47, v[52:53], off
	global_load_ubyte v49, v[50:51], off
	s_or_b64 exec, exec, s[18:19]
	v_mov_b32_e32 v50, 0
	s_and_saveexec_b64 s[18:19], s[6:7]
	s_cbranch_execz .LBB1_18
.LBB1_23:                               ;   in Loop: Header=BB1_4 Depth=1
	v_mov_b32_e32 v51, s17
	v_add_co_u32_e64 v50, s[8:9], s16, v13
	v_addc_co_u32_e64 v51, s[8:9], v14, v51, s[8:9]
	global_load_ubyte v50, v[50:51], off
	s_or_b64 exec, exec, s[18:19]
	s_and_saveexec_b64 s[8:9], vcc
	s_cbranch_execz .LBB1_19
.LBB1_24:                               ;   in Loop: Header=BB1_4 Depth=1
	s_waitcnt vmcnt(0)
	v_mul_lo_u16_e32 v40, s28, v40
	v_mad_legacy_u16 v39, v40, v42, v39
	v_mov_b32_e32 v40, s17
	v_add_co_u32_e32 v52, vcc, s16, v7
	v_addc_co_u32_e32 v53, vcc, v8, v40, vcc
	global_store_byte v[52:53], v39, off
	s_or_b64 exec, exec, s[8:9]
	s_and_saveexec_b64 s[8:9], s[0:1]
	s_cbranch_execz .LBB1_20
.LBB1_25:                               ;   in Loop: Header=BB1_4 Depth=1
	s_waitcnt vmcnt(0)
	v_mul_lo_u16_e32 v39, s28, v43
	v_mad_legacy_u16 v39, v39, v45, v41
	v_mov_b32_e32 v41, s17
	v_add_co_u32_e32 v40, vcc, s16, v35
	v_addc_co_u32_e32 v41, vcc, v36, v41, vcc
	global_store_byte v[40:41], v39, off
	s_or_b64 exec, exec, s[8:9]
	s_and_saveexec_b64 s[0:1], s[2:3]
	s_cbranch_execz .LBB1_21
.LBB1_26:                               ;   in Loop: Header=BB1_4 Depth=1
	s_waitcnt vmcnt(0)
	v_mul_lo_u16_e32 v39, s28, v46
	v_mov_b32_e32 v41, s17
	v_add_co_u32_e32 v40, vcc, s16, v25
	v_mad_legacy_u16 v39, v39, v48, v44
	v_addc_co_u32_e32 v41, vcc, v26, v41, vcc
	global_store_byte v[40:41], v39, off
	s_or_b64 exec, exec, s[0:1]
	s_and_saveexec_b64 s[0:1], s[6:7]
	s_cbranch_execz .LBB1_3
.LBB1_27:                               ;   in Loop: Header=BB1_4 Depth=1
	s_waitcnt vmcnt(0)
	v_mul_lo_u16_e32 v39, s28, v49
	v_mov_b32_e32 v41, s17
	v_add_co_u32_e32 v40, vcc, s16, v15
	v_mad_legacy_u16 v39, v39, v50, v47
	v_addc_co_u32_e32 v41, vcc, v16, v41, vcc
	global_store_byte v[40:41], v39, off
	s_branch .LBB1_3
.LBB1_28:
	s_mov_b64 s[14:15], 0
.LBB1_29:
	s_andn2_b64 vcc, exec, s[14:15]
	s_cbranch_vccnz .LBB1_33
; %bb.30:
	v_lshlrev_b32_e32 v0, 2, v0
	v_mov_b32_e32 v1, 0
	v_cmp_gt_i64_e32 vcc, s[12:13], v[0:1]
	s_and_saveexec_b64 s[0:1], vcc
	s_cbranch_execz .LBB1_33
; %bb.31:
	s_load_dword s0, s[4:5], 0xbfc
	s_mov_b32 s1, 0
	s_mov_b64 s[2:3], 0
	s_lshr_b32 s6, s23, 16
	v_mov_b32_e32 v2, s11
	s_waitcnt lgkmcnt(0)
	s_and_b32 s0, s0, 0xffff
	s_lshl_b32 s7, s0, 2
	v_mov_b32_e32 v3, s24
	v_mov_b32_e32 v4, s25
	s_mov_b32 s8, 0x6050400
	v_mov_b32_e32 v5, s26
	v_mov_b32_e32 v6, s1
	s_mov_b64 s[4:5], 0xffff
.LBB1_32:                               ; =>This Inner Loop Header: Depth=1
	v_add_co_u32_e32 v8, vcc, s10, v0
	v_addc_co_u32_e32 v9, vcc, v2, v1, vcc
	v_add_co_u32_e32 v10, vcc, s20, v0
	v_addc_co_u32_e32 v11, vcc, v3, v1, vcc
	;; [unrolled: 2-line block ×3, first 2 shown]
	global_load_dword v7, v[10:11], off
	global_load_dword v14, v[8:9], off
	;; [unrolled: 1-line block ×3, first 2 shown]
	v_add_co_u32_e32 v8, vcc, s22, v0
	v_addc_co_u32_e32 v9, vcc, v5, v1, vcc
	v_add_co_u32_e32 v0, vcc, s7, v0
	v_addc_co_u32_e32 v1, vcc, v6, v1, vcc
	v_cmp_le_i64_e32 vcc, s[12:13], v[0:1]
	v_cmp_lt_u64_e64 s[0:1], s[4:5], v[0:1]
	s_or_b64 s[0:1], vcc, s[0:1]
	s_and_b64 s[0:1], exec, s[0:1]
	s_or_b64 s[2:3], s[0:1], s[2:3]
	s_waitcnt vmcnt(2)
	v_lshrrev_b32_e32 v12, 8, v7
	v_mul_lo_u16_e32 v10, s6, v7
	s_waitcnt vmcnt(1)
	v_lshrrev_b32_e32 v11, 8, v14
	s_waitcnt vmcnt(0)
	v_lshrrev_b32_e32 v13, 8, v15
	v_lshrrev_b32_e32 v16, 16, v14
	;; [unrolled: 1-line block ×3, first 2 shown]
	v_mul_lo_u16_sdwa v18, v7, s6 dst_sel:DWORD dst_unused:UNUSED_PAD src0_sel:WORD_1 src1_sel:DWORD
	v_mul_lo_u16_e32 v12, s6, v12
	v_lshrrev_b32_e32 v19, 24, v14
	v_lshrrev_b32_e32 v20, 24, v15
	v_mul_lo_u16_sdwa v7, v7, s6 dst_sel:DWORD dst_unused:UNUSED_PAD src0_sel:BYTE_3 src1_sel:DWORD
	v_mad_legacy_u16 v10, v10, v15, v14
	v_mad_legacy_u16 v14, v18, v17, v16
	;; [unrolled: 1-line block ×4, first 2 shown]
	v_and_b32_e32 v12, 0xff, v14
	v_and_b32_e32 v11, 0xff, v11
	v_lshlrev_b32_e32 v7, 24, v7
	v_lshlrev_b32_e32 v12, 16, v12
	v_perm_b32 v10, v11, v10, s8
	v_or3_b32 v7, v10, v12, v7
	global_store_dword v[8:9], v7, off
	s_andn2_b64 exec, exec, s[2:3]
	s_cbranch_execnz .LBB1_32
.LBB1_33:
	s_endpgm
	.section	.rodata,"a",@progbits
	.p2align	6, 0x0
	.amdhsa_kernel _ZN2at6native12_GLOBAL__N_125multi_tensor_apply_kernelINS1_18TensorListMetadataILi4EEENS1_24PointwiseOpScalarFunctorIaLi4ELi3ELi3EEEJSt10multipliesIaEaEEEvT_T0_DpT1_
		.amdhsa_group_segment_fixed_size 0
		.amdhsa_private_segment_fixed_size 0
		.amdhsa_kernarg_size 3312
		.amdhsa_user_sgpr_count 6
		.amdhsa_user_sgpr_private_segment_buffer 1
		.amdhsa_user_sgpr_dispatch_ptr 0
		.amdhsa_user_sgpr_queue_ptr 0
		.amdhsa_user_sgpr_kernarg_segment_ptr 1
		.amdhsa_user_sgpr_dispatch_id 0
		.amdhsa_user_sgpr_flat_scratch_init 0
		.amdhsa_user_sgpr_kernarg_preload_length 0
		.amdhsa_user_sgpr_kernarg_preload_offset 0
		.amdhsa_user_sgpr_private_segment_size 0
		.amdhsa_uses_dynamic_stack 0
		.amdhsa_system_sgpr_private_segment_wavefront_offset 0
		.amdhsa_system_sgpr_workgroup_id_x 1
		.amdhsa_system_sgpr_workgroup_id_y 0
		.amdhsa_system_sgpr_workgroup_id_z 0
		.amdhsa_system_sgpr_workgroup_info 0
		.amdhsa_system_vgpr_workitem_id 0
		.amdhsa_next_free_vgpr 54
		.amdhsa_next_free_sgpr 30
		.amdhsa_accum_offset 56
		.amdhsa_reserve_vcc 1
		.amdhsa_reserve_flat_scratch 0
		.amdhsa_float_round_mode_32 0
		.amdhsa_float_round_mode_16_64 0
		.amdhsa_float_denorm_mode_32 3
		.amdhsa_float_denorm_mode_16_64 3
		.amdhsa_dx10_clamp 1
		.amdhsa_ieee_mode 1
		.amdhsa_fp16_overflow 0
		.amdhsa_tg_split 0
		.amdhsa_exception_fp_ieee_invalid_op 0
		.amdhsa_exception_fp_denorm_src 0
		.amdhsa_exception_fp_ieee_div_zero 0
		.amdhsa_exception_fp_ieee_overflow 0
		.amdhsa_exception_fp_ieee_underflow 0
		.amdhsa_exception_fp_ieee_inexact 0
		.amdhsa_exception_int_div_zero 0
	.end_amdhsa_kernel
	.section	.text._ZN2at6native12_GLOBAL__N_125multi_tensor_apply_kernelINS1_18TensorListMetadataILi4EEENS1_24PointwiseOpScalarFunctorIaLi4ELi3ELi3EEEJSt10multipliesIaEaEEEvT_T0_DpT1_,"axG",@progbits,_ZN2at6native12_GLOBAL__N_125multi_tensor_apply_kernelINS1_18TensorListMetadataILi4EEENS1_24PointwiseOpScalarFunctorIaLi4ELi3ELi3EEEJSt10multipliesIaEaEEEvT_T0_DpT1_,comdat
.Lfunc_end1:
	.size	_ZN2at6native12_GLOBAL__N_125multi_tensor_apply_kernelINS1_18TensorListMetadataILi4EEENS1_24PointwiseOpScalarFunctorIaLi4ELi3ELi3EEEJSt10multipliesIaEaEEEvT_T0_DpT1_, .Lfunc_end1-_ZN2at6native12_GLOBAL__N_125multi_tensor_apply_kernelINS1_18TensorListMetadataILi4EEENS1_24PointwiseOpScalarFunctorIaLi4ELi3ELi3EEEJSt10multipliesIaEaEEEvT_T0_DpT1_
                                        ; -- End function
	.section	.AMDGPU.csdata,"",@progbits
; Kernel info:
; codeLenInByte = 1792
; NumSgprs: 34
; NumVgprs: 54
; NumAgprs: 0
; TotalNumVgprs: 54
; ScratchSize: 0
; MemoryBound: 0
; FloatMode: 240
; IeeeMode: 1
; LDSByteSize: 0 bytes/workgroup (compile time only)
; SGPRBlocks: 4
; VGPRBlocks: 6
; NumSGPRsForWavesPerEU: 34
; NumVGPRsForWavesPerEU: 54
; AccumOffset: 56
; Occupancy: 8
; WaveLimiterHint : 0
; COMPUTE_PGM_RSRC2:SCRATCH_EN: 0
; COMPUTE_PGM_RSRC2:USER_SGPR: 6
; COMPUTE_PGM_RSRC2:TRAP_HANDLER: 0
; COMPUTE_PGM_RSRC2:TGID_X_EN: 1
; COMPUTE_PGM_RSRC2:TGID_Y_EN: 0
; COMPUTE_PGM_RSRC2:TGID_Z_EN: 0
; COMPUTE_PGM_RSRC2:TIDIG_COMP_CNT: 0
; COMPUTE_PGM_RSRC3_GFX90A:ACCUM_OFFSET: 13
; COMPUTE_PGM_RSRC3_GFX90A:TG_SPLIT: 0
	.section	.text._ZN2at6native12_GLOBAL__N_125multi_tensor_apply_kernelINS1_18TensorListMetadataILi4EEENS1_24PointwiseOpScalarFunctorIiLi4ELi3ELi3EEEJSt10multipliesIiEiEEEvT_T0_DpT1_,"axG",@progbits,_ZN2at6native12_GLOBAL__N_125multi_tensor_apply_kernelINS1_18TensorListMetadataILi4EEENS1_24PointwiseOpScalarFunctorIiLi4ELi3ELi3EEEJSt10multipliesIiEiEEEvT_T0_DpT1_,comdat
	.globl	_ZN2at6native12_GLOBAL__N_125multi_tensor_apply_kernelINS1_18TensorListMetadataILi4EEENS1_24PointwiseOpScalarFunctorIiLi4ELi3ELi3EEEJSt10multipliesIiEiEEEvT_T0_DpT1_ ; -- Begin function _ZN2at6native12_GLOBAL__N_125multi_tensor_apply_kernelINS1_18TensorListMetadataILi4EEENS1_24PointwiseOpScalarFunctorIiLi4ELi3ELi3EEEJSt10multipliesIiEiEEEvT_T0_DpT1_
	.p2align	8
	.type	_ZN2at6native12_GLOBAL__N_125multi_tensor_apply_kernelINS1_18TensorListMetadataILi4EEENS1_24PointwiseOpScalarFunctorIiLi4ELi3ELi3EEEJSt10multipliesIiEiEEEvT_T0_DpT1_,@function
_ZN2at6native12_GLOBAL__N_125multi_tensor_apply_kernelINS1_18TensorListMetadataILi4EEENS1_24PointwiseOpScalarFunctorIiLi4ELi3ELi3EEEJSt10multipliesIiEiEEEvT_T0_DpT1_: ; @_ZN2at6native12_GLOBAL__N_125multi_tensor_apply_kernelINS1_18TensorListMetadataILi4EEENS1_24PointwiseOpScalarFunctorIiLi4ELi3ELi3EEEJSt10multipliesIiEiEEEvT_T0_DpT1_
; %bb.0:
	v_mov_b32_e32 v1, s6
	global_load_ubyte v1, v1, s[4:5] offset:1440
	s_add_u32 s0, s4, s6
	s_mul_hi_u32 s1, s6, 3
	s_mul_i32 s6, s6, 3
	s_addc_u32 s2, s5, 0
	s_add_u32 s0, s0, s6
	s_addc_u32 s1, s2, s1
	s_load_dword s0, s[0:1], 0x6e0
	s_mov_b32 s3, 0
	s_mov_b32 s7, s3
	;; [unrolled: 1-line block ×3, first 2 shown]
	s_waitcnt lgkmcnt(0)
	s_ashr_i32 s1, s0, 31
	s_lshl_b64 s[18:19], s[0:1], 18
	s_waitcnt vmcnt(0)
	v_readfirstlane_b32 s2, v1
	s_lshl_b32 s2, s2, 3
	s_load_dwordx2 s[20:21], s[4:5], s2 offset:0x0
	s_load_dwordx2 s[14:15], s[4:5], s2 offset:0x120
	s_load_dword s28, s[4:5], 0xbec
	s_load_dwordx2 s[22:23], s[4:5], s2 offset:0x480
	s_load_dwordx2 s[16:17], s[4:5], s2 offset:0x240
	;; [unrolled: 1-line block ×3, first 2 shown]
	s_waitcnt lgkmcnt(0)
	s_add_u32 s6, s14, s18
	s_and_b32 s2, s20, 15
	s_and_b32 s6, s6, 15
	s_cmp_eq_u64 s[6:7], 0
	s_cselect_b64 s[6:7], -1, 0
	s_add_u32 s8, s16, s18
	s_or_b32 s8, s10, s8
	s_and_b32 s8, s8, 15
	s_cmp_eq_u32 s8, 0
	s_cselect_b64 s[12:13], -1, 0
	s_lshl_b64 s[0:1], s[0:1], 16
	s_and_b64 s[6:7], s[12:13], s[6:7]
	s_sub_u32 s12, s22, s0
	s_subb_u32 s13, s23, s1
	s_and_b32 s8, s22, 3
	s_or_b64 s[0:1], s[2:3], s[8:9]
	s_cmp_eq_u64 s[0:1], 0
	s_cselect_b64 s[0:1], -1, 0
	s_and_b64 s[2:3], s[6:7], s[0:1]
	s_mov_b64 s[0:1], -1
	s_and_b64 vcc, exec, s[2:3]
	s_cbranch_vccnz .LBB2_29
; %bb.1:
	v_cmp_lt_i64_e64 s[0:1], s[12:13], 1
	s_and_b64 vcc, exec, s[0:1]
	s_cbranch_vccnz .LBB2_28
; %bb.2:
	s_load_dword s0, s[4:5], 0xbfc
	v_mov_b32_e32 v19, 0
	v_lshlrev_b32_e32 v18, 2, v0
	v_mov_b32_e32 v21, s21
	v_mov_b32_e32 v23, s15
	s_waitcnt lgkmcnt(0)
	s_and_b32 s6, s0, 0xffff
	v_mad_u64_u32 v[16:17], s[2:3], s6, 12, v[18:19]
	v_add_co_u32_e64 v10, s[2:3], s20, v16
	v_addc_co_u32_e64 v5, s[2:3], v21, v17, s[2:3]
	v_add_co_u32_e64 v12, s[2:3], s14, v16
	v_addc_co_u32_e64 v7, s[2:3], v23, v17, s[2:3]
	v_mov_b32_e32 v27, s17
	v_add_co_u32_e64 v14, s[2:3], s16, v16
	v_addc_co_u32_e64 v9, s[2:3], v27, v17, s[2:3]
	v_mov_b32_e32 v2, 0x10000
	v_mov_b32_e32 v31, s11
	v_add_co_u32_e64 v16, s[2:3], s10, v16
	v_mov_b32_e32 v3, 0
	s_mul_i32 s8, s6, 3
	v_addc_co_u32_e64 v11, s[2:3], v31, v17, s[2:3]
	v_cmp_lt_u64_e32 vcc, s[12:13], v[2:3]
	v_add_co_u32_e64 v33, s[2:3], s8, v0
	s_and_b64 s[0:1], vcc, exec
	v_add_co_u32_e32 v2, vcc, s20, v18
	v_addc_co_u32_e64 v35, s[2:3], 0, 0, s[2:3]
	s_cselect_b32 s23, s13, 0
	s_cselect_b32 s22, s12, 0x10000
	v_addc_co_u32_e32 v1, vcc, 0, v21, vcc
	s_lshl_b32 s2, s6, 3
	v_add_co_u32_e32 v4, vcc, s14, v18
	v_add_co_u32_e64 v19, s[2:3], s2, v18
	v_addc_co_u32_e32 v3, vcc, 0, v23, vcc
	v_addc_co_u32_e64 v25, s[2:3], 0, 0, s[2:3]
	v_add_co_u32_e32 v6, vcc, s16, v18
	v_add_co_u32_e64 v8, s[0:1], s10, v18
	v_add_co_u32_e64 v18, s[2:3], s20, v19
	v_addc_co_u32_e64 v13, s[2:3], v21, v25, s[2:3]
	v_add_co_u32_e64 v20, s[2:3], s14, v19
	v_addc_co_u32_e64 v15, s[2:3], v23, v25, s[2:3]
	;; [unrolled: 2-line block ×3, first 2 shown]
	v_add_co_u32_e64 v24, s[2:3], s10, v19
	s_lshl_b32 s7, s6, 1
	v_addc_co_u32_e64 v19, s[2:3], v31, v25, s[2:3]
	v_add_co_u32_e64 v37, s[2:3], s7, v0
	v_addc_co_u32_e64 v39, s[2:3], 0, 0, s[2:3]
	v_add_co_u32_e64 v41, s[2:3], s6, v0
	v_addc_co_u32_e64 v42, s[2:3], 0, 0, s[2:3]
	v_lshlrev_b32_e32 v29, 2, v41
	v_addc_co_u32_e32 v25, vcc, 0, v27, vcc
	v_add_co_u32_e64 v26, s[2:3], s20, v29
	v_add_co_u32_e32 v30, vcc, s16, v29
	v_addc_co_u32_e64 v21, s[2:3], 0, v21, s[2:3]
	v_addc_co_u32_e32 v27, vcc, 0, v27, vcc
	v_add_co_u32_e64 v28, s[2:3], s14, v29
	v_add_co_u32_e32 v32, vcc, s10, v29
	s_mov_b32 s29, 0
	s_lshl_b32 s30, s6, 2
	s_lshl_b32 s31, s6, 4
	s_mov_b64 s[24:25], 0
	v_addc_co_u32_e64 v23, s[2:3], 0, v23, s[2:3]
	v_addc_co_u32_e64 v29, s[0:1], 0, v31, s[0:1]
	v_addc_co_u32_e32 v31, vcc, 0, v31, vcc
	s_branch .LBB2_4
.LBB2_3:                                ;   in Loop: Header=BB2_4 Depth=1
	s_or_b64 exec, exec, s[0:1]
	s_waitcnt vmcnt(1)
	v_mov_b32_e32 v34, s29
	v_add_co_u32_e64 v2, s[2:3], s31, v2
	v_addc_co_u32_e64 v1, s[2:3], v1, v34, s[2:3]
	v_add_co_u32_e64 v4, s[2:3], s31, v4
	v_addc_co_u32_e64 v3, s[2:3], v3, v34, s[2:3]
	;; [unrolled: 2-line block ×12, first 2 shown]
	v_add_co_u32_e64 v26, s[2:3], s31, v26
	s_add_u32 s24, s24, s30
	v_addc_co_u32_e64 v21, s[2:3], v21, v34, s[2:3]
	s_addc_u32 s25, s25, 0
	s_waitcnt vmcnt(0)
	v_pk_mov_b32 v[44:45], s[12:13], s[12:13] op_sel:[0,1]
	v_add_co_u32_e64 v28, s[2:3], s31, v28
	v_cmp_lt_i64_e32 vcc, s[24:25], v[44:45]
	v_mov_b32_e32 v44, 0x10000
	v_addc_co_u32_e64 v23, s[2:3], v23, v34, s[2:3]
	v_mov_b32_e32 v45, 0
	v_add_co_u32_e64 v30, s[2:3], s31, v30
	v_cmp_lt_u64_e64 s[0:1], s[24:25], v[44:45]
	v_addc_co_u32_e64 v27, s[2:3], v27, v34, s[2:3]
	v_add_co_u32_e64 v32, s[2:3], s31, v32
	s_and_b64 s[0:1], vcc, s[0:1]
	v_addc_co_u32_e64 v31, s[2:3], v31, v34, s[2:3]
	s_and_b64 vcc, exec, s[0:1]
	s_cbranch_vccz .LBB2_28
.LBB2_4:                                ; =>This Inner Loop Header: Depth=1
	v_mov_b32_e32 v34, s25
	v_add_co_u32_e32 v44, vcc, s24, v0
	v_addc_co_u32_e32 v45, vcc, 0, v34, vcc
	v_cmp_gt_u64_e32 vcc, s[22:23], v[44:45]
	v_mov_b32_e32 v34, 0
	v_mov_b32_e32 v43, 0
	s_and_saveexec_b64 s[2:3], vcc
	s_cbranch_execz .LBB2_6
; %bb.5:                                ;   in Loop: Header=BB2_4 Depth=1
	v_mov_b32_e32 v34, s19
	v_add_co_u32_e64 v44, s[0:1], s18, v2
	v_addc_co_u32_e64 v45, s[0:1], v1, v34, s[0:1]
	v_add_co_u32_e64 v46, s[0:1], s18, v4
	v_addc_co_u32_e64 v47, s[0:1], v3, v34, s[0:1]
	global_load_dword v34, v[44:45], off
	global_load_dword v43, v[46:47], off
.LBB2_6:                                ;   in Loop: Header=BB2_4 Depth=1
	s_or_b64 exec, exec, s[2:3]
	v_mov_b32_e32 v36, 0
	v_mov_b32_e32 v44, 0
	s_and_saveexec_b64 s[2:3], vcc
	s_cbranch_execz .LBB2_8
; %bb.7:                                ;   in Loop: Header=BB2_4 Depth=1
	v_mov_b32_e32 v38, s19
	v_add_co_u32_e64 v44, s[0:1], s18, v6
	v_addc_co_u32_e64 v45, s[0:1], v25, v38, s[0:1]
	global_load_dword v44, v[44:45], off
.LBB2_8:                                ;   in Loop: Header=BB2_4 Depth=1
	s_or_b64 exec, exec, s[2:3]
	v_mov_b32_e32 v38, s25
	v_add_co_u32_e64 v46, s[0:1], s24, v41
	v_addc_co_u32_e64 v47, s[0:1], v42, v38, s[0:1]
	v_cmp_gt_u64_e64 s[0:1], s[22:23], v[46:47]
	v_mov_b32_e32 v45, 0
	s_and_saveexec_b64 s[6:7], s[0:1]
	s_cbranch_execz .LBB2_10
; %bb.9:                                ;   in Loop: Header=BB2_4 Depth=1
	v_mov_b32_e32 v36, s19
	v_add_co_u32_e64 v46, s[2:3], s18, v26
	v_addc_co_u32_e64 v47, s[2:3], v21, v36, s[2:3]
	v_add_co_u32_e64 v48, s[2:3], s18, v28
	v_addc_co_u32_e64 v49, s[2:3], v23, v36, s[2:3]
	global_load_dword v36, v[46:47], off
	global_load_dword v45, v[48:49], off
.LBB2_10:                               ;   in Loop: Header=BB2_4 Depth=1
	s_or_b64 exec, exec, s[6:7]
	v_mov_b32_e32 v38, 0
	v_mov_b32_e32 v46, 0
	s_and_saveexec_b64 s[6:7], s[0:1]
	s_cbranch_execz .LBB2_12
; %bb.11:                               ;   in Loop: Header=BB2_4 Depth=1
	v_mov_b32_e32 v40, s19
	v_add_co_u32_e64 v46, s[2:3], s18, v30
	v_addc_co_u32_e64 v47, s[2:3], v27, v40, s[2:3]
	global_load_dword v46, v[46:47], off
.LBB2_12:                               ;   in Loop: Header=BB2_4 Depth=1
	s_or_b64 exec, exec, s[6:7]
	v_mov_b32_e32 v40, s25
	v_add_co_u32_e64 v48, s[2:3], s24, v37
	v_addc_co_u32_e64 v49, s[2:3], v39, v40, s[2:3]
	v_cmp_gt_u64_e64 s[2:3], s[22:23], v[48:49]
	v_mov_b32_e32 v47, 0
	s_and_saveexec_b64 s[8:9], s[2:3]
	s_cbranch_execz .LBB2_14
; %bb.13:                               ;   in Loop: Header=BB2_4 Depth=1
	v_mov_b32_e32 v38, s19
	v_add_co_u32_e64 v48, s[6:7], s18, v18
	v_addc_co_u32_e64 v49, s[6:7], v13, v38, s[6:7]
	v_add_co_u32_e64 v50, s[6:7], s18, v20
	v_addc_co_u32_e64 v51, s[6:7], v15, v38, s[6:7]
	global_load_dword v38, v[48:49], off
	global_load_dword v47, v[50:51], off
.LBB2_14:                               ;   in Loop: Header=BB2_4 Depth=1
	s_or_b64 exec, exec, s[8:9]
	v_mov_b32_e32 v40, 0
	v_mov_b32_e32 v48, 0
	s_and_saveexec_b64 s[8:9], s[2:3]
	s_cbranch_execz .LBB2_16
; %bb.15:                               ;   in Loop: Header=BB2_4 Depth=1
	v_mov_b32_e32 v49, s19
	v_add_co_u32_e64 v48, s[6:7], s18, v22
	v_addc_co_u32_e64 v49, s[6:7], v17, v49, s[6:7]
	global_load_dword v48, v[48:49], off
.LBB2_16:                               ;   in Loop: Header=BB2_4 Depth=1
	s_or_b64 exec, exec, s[8:9]
	v_mov_b32_e32 v49, s25
	v_add_co_u32_e64 v50, s[6:7], s24, v33
	v_addc_co_u32_e64 v51, s[6:7], v35, v49, s[6:7]
	v_cmp_gt_u64_e64 s[6:7], s[22:23], v[50:51]
	v_mov_b32_e32 v49, 0
	s_and_saveexec_b64 s[26:27], s[6:7]
	s_cbranch_execnz .LBB2_22
; %bb.17:                               ;   in Loop: Header=BB2_4 Depth=1
	s_or_b64 exec, exec, s[26:27]
	v_mov_b32_e32 v50, 0
	s_and_saveexec_b64 s[26:27], s[6:7]
	s_cbranch_execnz .LBB2_23
.LBB2_18:                               ;   in Loop: Header=BB2_4 Depth=1
	s_or_b64 exec, exec, s[26:27]
	s_and_saveexec_b64 s[8:9], vcc
	s_cbranch_execnz .LBB2_24
.LBB2_19:                               ;   in Loop: Header=BB2_4 Depth=1
	s_or_b64 exec, exec, s[8:9]
	s_and_saveexec_b64 s[8:9], s[0:1]
	s_cbranch_execnz .LBB2_25
.LBB2_20:                               ;   in Loop: Header=BB2_4 Depth=1
	s_or_b64 exec, exec, s[8:9]
	s_and_saveexec_b64 s[0:1], s[2:3]
	s_cbranch_execnz .LBB2_26
.LBB2_21:                               ;   in Loop: Header=BB2_4 Depth=1
	s_or_b64 exec, exec, s[0:1]
	s_and_saveexec_b64 s[0:1], s[6:7]
	s_cbranch_execz .LBB2_3
	s_branch .LBB2_27
.LBB2_22:                               ;   in Loop: Header=BB2_4 Depth=1
	v_mov_b32_e32 v40, s19
	v_add_co_u32_e64 v50, s[8:9], s18, v10
	v_addc_co_u32_e64 v51, s[8:9], v5, v40, s[8:9]
	v_add_co_u32_e64 v52, s[8:9], s18, v12
	v_addc_co_u32_e64 v53, s[8:9], v7, v40, s[8:9]
	global_load_dword v40, v[50:51], off
	global_load_dword v49, v[52:53], off
	s_or_b64 exec, exec, s[26:27]
	v_mov_b32_e32 v50, 0
	s_and_saveexec_b64 s[26:27], s[6:7]
	s_cbranch_execz .LBB2_18
.LBB2_23:                               ;   in Loop: Header=BB2_4 Depth=1
	v_mov_b32_e32 v51, s19
	v_add_co_u32_e64 v50, s[8:9], s18, v14
	v_addc_co_u32_e64 v51, s[8:9], v9, v51, s[8:9]
	global_load_dword v50, v[50:51], off
	s_or_b64 exec, exec, s[26:27]
	s_and_saveexec_b64 s[8:9], vcc
	s_cbranch_execz .LBB2_19
.LBB2_24:                               ;   in Loop: Header=BB2_4 Depth=1
	v_mov_b32_e32 v51, s19
	v_add_co_u32_e32 v52, vcc, s18, v8
	s_waitcnt vmcnt(0)
	v_mul_lo_u32 v43, v43, s28
	v_addc_co_u32_e32 v53, vcc, v29, v51, vcc
	v_mad_u64_u32 v[54:55], s[26:27], v43, v44, v[34:35]
	global_store_dword v[52:53], v54, off
	s_or_b64 exec, exec, s[8:9]
	s_and_saveexec_b64 s[8:9], s[0:1]
	s_cbranch_execz .LBB2_20
.LBB2_25:                               ;   in Loop: Header=BB2_4 Depth=1
	s_waitcnt vmcnt(0)
	v_mul_lo_u32 v34, v45, s28
	v_mad_u64_u32 v[44:45], s[0:1], v34, v46, v[36:37]
	v_mov_b32_e32 v34, s19
	v_add_co_u32_e32 v52, vcc, s18, v32
	v_addc_co_u32_e32 v53, vcc, v31, v34, vcc
	global_store_dword v[52:53], v44, off
	s_or_b64 exec, exec, s[8:9]
	s_and_saveexec_b64 s[0:1], s[2:3]
	s_cbranch_execz .LBB2_21
.LBB2_26:                               ;   in Loop: Header=BB2_4 Depth=1
	s_waitcnt vmcnt(0)
	v_mul_lo_u32 v34, v47, s28
	v_mad_u64_u32 v[44:45], s[2:3], v34, v48, v[38:39]
	v_mov_b32_e32 v34, s19
	v_add_co_u32_e32 v46, vcc, s18, v24
	v_addc_co_u32_e32 v47, vcc, v19, v34, vcc
	global_store_dword v[46:47], v44, off
	s_or_b64 exec, exec, s[0:1]
	s_and_saveexec_b64 s[0:1], s[6:7]
	s_cbranch_execz .LBB2_3
.LBB2_27:                               ;   in Loop: Header=BB2_4 Depth=1
	s_waitcnt vmcnt(0)
	v_mul_lo_u32 v34, v49, s28
	v_mad_u64_u32 v[44:45], s[2:3], v34, v50, v[40:41]
	v_mov_b32_e32 v34, s19
	v_add_co_u32_e32 v46, vcc, s18, v16
	v_addc_co_u32_e32 v47, vcc, v11, v34, vcc
	global_store_dword v[46:47], v44, off
	s_branch .LBB2_3
.LBB2_28:
	s_mov_b64 s[0:1], 0
.LBB2_29:
	s_andn2_b64 vcc, exec, s[0:1]
	s_cbranch_vccnz .LBB2_33
; %bb.30:
	v_mov_b32_e32 v3, 0
	v_lshlrev_b32_e32 v2, 2, v0
	s_mov_b32 s0, 0
	v_cmp_gt_i64_e32 vcc, s[12:13], v[2:3]
	s_and_saveexec_b64 s[2:3], vcc
	s_cbranch_execz .LBB2_33
; %bb.31:
	s_load_dword s1, s[4:5], 0xbfc
	v_lshlrev_b32_e32 v1, 4, v0
	v_mov_b32_e32 v4, s19
	s_mov_b32 s8, s28
	s_mov_b64 s[4:5], 0
	s_waitcnt lgkmcnt(0)
	s_and_b32 s1, s1, 0xffff
	s_lshl_b32 s9, s1, 2
	s_add_u32 s19, s20, 8
	v_add_lshl_u32 v2, v0, s1, 2
	s_addc_u32 s2, s21, 0
	v_add_co_u32_e32 v0, vcc, s18, v1
	s_lshl_b32 s18, s1, 4
	s_add_u32 s14, s14, 8
	s_addc_u32 s3, s15, 0
	s_add_u32 s15, s16, 8
	s_addc_u32 s6, s17, 0
	v_addc_co_u32_e32 v1, vcc, 0, v4, vcc
	v_mov_b32_e32 v4, s2
	v_mov_b32_e32 v5, s3
	;; [unrolled: 1-line block ×4, first 2 shown]
	s_mov_b64 s[6:7], 0xffff
	v_mov_b32_e32 v8, s0
	v_mov_b32_e32 v9, s0
.LBB2_32:                               ; =>This Inner Loop Header: Depth=1
	v_add_co_u32_e32 v22, vcc, s19, v0
	v_addc_co_u32_e32 v23, vcc, v4, v1, vcc
	v_add_co_u32_e32 v24, vcc, s14, v0
	v_addc_co_u32_e32 v25, vcc, v5, v1, vcc
	v_add_co_u32_e32 v26, vcc, s15, v0
	v_addc_co_u32_e32 v27, vcc, v6, v1, vcc
	global_load_dwordx4 v[10:13], v[24:25], off offset:-8
	global_load_dwordx4 v[14:17], v[22:23], off offset:-8
	;; [unrolled: 1-line block ×3, first 2 shown]
	v_add_co_u32_e32 v22, vcc, s10, v0
	v_addc_co_u32_e32 v23, vcc, v7, v1, vcc
	v_cmp_le_i64_e32 vcc, s[12:13], v[2:3]
	v_cmp_lt_u64_e64 s[0:1], s[6:7], v[2:3]
	v_add_co_u32_e64 v2, s[2:3], s9, v2
	s_or_b64 s[0:1], vcc, s[0:1]
	v_addc_co_u32_e64 v3, s[2:3], v3, v8, s[2:3]
	s_and_b64 s[0:1], exec, s[0:1]
	v_add_co_u32_e64 v0, s[2:3], s18, v0
	s_or_b64 s[4:5], s[0:1], s[4:5]
	v_addc_co_u32_e64 v1, s[2:3], v1, v9, s[2:3]
	s_waitcnt vmcnt(2)
	v_mul_lo_u32 v26, v10, s28
	v_mul_lo_u32 v11, v11, s8
	s_waitcnt vmcnt(1)
	v_mov_b32_e32 v10, v15
	v_mul_lo_u32 v27, v12, s28
	v_mul_lo_u32 v13, v13, s8
	v_mov_b32_e32 v12, v17
	s_waitcnt vmcnt(0)
	v_mad_u64_u32 v[24:25], s[0:1], v11, v19, v[10:11]
	v_mad_u64_u32 v[10:11], s[0:1], v26, v18, v[14:15]
	;; [unrolled: 1-line block ×4, first 2 shown]
	v_mov_b32_e32 v11, v24
	v_mov_b32_e32 v13, v14
	global_store_dwordx4 v[22:23], v[10:13], off
	s_andn2_b64 exec, exec, s[4:5]
	s_cbranch_execnz .LBB2_32
.LBB2_33:
	s_endpgm
	.section	.rodata,"a",@progbits
	.p2align	6, 0x0
	.amdhsa_kernel _ZN2at6native12_GLOBAL__N_125multi_tensor_apply_kernelINS1_18TensorListMetadataILi4EEENS1_24PointwiseOpScalarFunctorIiLi4ELi3ELi3EEEJSt10multipliesIiEiEEEvT_T0_DpT1_
		.amdhsa_group_segment_fixed_size 0
		.amdhsa_private_segment_fixed_size 0
		.amdhsa_kernarg_size 3312
		.amdhsa_user_sgpr_count 6
		.amdhsa_user_sgpr_private_segment_buffer 1
		.amdhsa_user_sgpr_dispatch_ptr 0
		.amdhsa_user_sgpr_queue_ptr 0
		.amdhsa_user_sgpr_kernarg_segment_ptr 1
		.amdhsa_user_sgpr_dispatch_id 0
		.amdhsa_user_sgpr_flat_scratch_init 0
		.amdhsa_user_sgpr_kernarg_preload_length 0
		.amdhsa_user_sgpr_kernarg_preload_offset 0
		.amdhsa_user_sgpr_private_segment_size 0
		.amdhsa_uses_dynamic_stack 0
		.amdhsa_system_sgpr_private_segment_wavefront_offset 0
		.amdhsa_system_sgpr_workgroup_id_x 1
		.amdhsa_system_sgpr_workgroup_id_y 0
		.amdhsa_system_sgpr_workgroup_id_z 0
		.amdhsa_system_sgpr_workgroup_info 0
		.amdhsa_system_vgpr_workitem_id 0
		.amdhsa_next_free_vgpr 56
		.amdhsa_next_free_sgpr 32
		.amdhsa_accum_offset 56
		.amdhsa_reserve_vcc 1
		.amdhsa_reserve_flat_scratch 0
		.amdhsa_float_round_mode_32 0
		.amdhsa_float_round_mode_16_64 0
		.amdhsa_float_denorm_mode_32 3
		.amdhsa_float_denorm_mode_16_64 3
		.amdhsa_dx10_clamp 1
		.amdhsa_ieee_mode 1
		.amdhsa_fp16_overflow 0
		.amdhsa_tg_split 0
		.amdhsa_exception_fp_ieee_invalid_op 0
		.amdhsa_exception_fp_denorm_src 0
		.amdhsa_exception_fp_ieee_div_zero 0
		.amdhsa_exception_fp_ieee_overflow 0
		.amdhsa_exception_fp_ieee_underflow 0
		.amdhsa_exception_fp_ieee_inexact 0
		.amdhsa_exception_int_div_zero 0
	.end_amdhsa_kernel
	.section	.text._ZN2at6native12_GLOBAL__N_125multi_tensor_apply_kernelINS1_18TensorListMetadataILi4EEENS1_24PointwiseOpScalarFunctorIiLi4ELi3ELi3EEEJSt10multipliesIiEiEEEvT_T0_DpT1_,"axG",@progbits,_ZN2at6native12_GLOBAL__N_125multi_tensor_apply_kernelINS1_18TensorListMetadataILi4EEENS1_24PointwiseOpScalarFunctorIiLi4ELi3ELi3EEEJSt10multipliesIiEiEEEvT_T0_DpT1_,comdat
.Lfunc_end2:
	.size	_ZN2at6native12_GLOBAL__N_125multi_tensor_apply_kernelINS1_18TensorListMetadataILi4EEENS1_24PointwiseOpScalarFunctorIiLi4ELi3ELi3EEEJSt10multipliesIiEiEEEvT_T0_DpT1_, .Lfunc_end2-_ZN2at6native12_GLOBAL__N_125multi_tensor_apply_kernelINS1_18TensorListMetadataILi4EEENS1_24PointwiseOpScalarFunctorIiLi4ELi3ELi3EEEJSt10multipliesIiEiEEEvT_T0_DpT1_
                                        ; -- End function
	.section	.AMDGPU.csdata,"",@progbits
; Kernel info:
; codeLenInByte = 2176
; NumSgprs: 36
; NumVgprs: 56
; NumAgprs: 0
; TotalNumVgprs: 56
; ScratchSize: 0
; MemoryBound: 0
; FloatMode: 240
; IeeeMode: 1
; LDSByteSize: 0 bytes/workgroup (compile time only)
; SGPRBlocks: 4
; VGPRBlocks: 6
; NumSGPRsForWavesPerEU: 36
; NumVGPRsForWavesPerEU: 56
; AccumOffset: 56
; Occupancy: 8
; WaveLimiterHint : 0
; COMPUTE_PGM_RSRC2:SCRATCH_EN: 0
; COMPUTE_PGM_RSRC2:USER_SGPR: 6
; COMPUTE_PGM_RSRC2:TRAP_HANDLER: 0
; COMPUTE_PGM_RSRC2:TGID_X_EN: 1
; COMPUTE_PGM_RSRC2:TGID_Y_EN: 0
; COMPUTE_PGM_RSRC2:TGID_Z_EN: 0
; COMPUTE_PGM_RSRC2:TIDIG_COMP_CNT: 0
; COMPUTE_PGM_RSRC3_GFX90A:ACCUM_OFFSET: 13
; COMPUTE_PGM_RSRC3_GFX90A:TG_SPLIT: 0
	.section	.text._ZN2at6native12_GLOBAL__N_125multi_tensor_apply_kernelINS1_18TensorListMetadataILi4EEENS1_24PointwiseOpScalarFunctorIlLi4ELi3ELi3EEEJSt10multipliesIlElEEEvT_T0_DpT1_,"axG",@progbits,_ZN2at6native12_GLOBAL__N_125multi_tensor_apply_kernelINS1_18TensorListMetadataILi4EEENS1_24PointwiseOpScalarFunctorIlLi4ELi3ELi3EEEJSt10multipliesIlElEEEvT_T0_DpT1_,comdat
	.globl	_ZN2at6native12_GLOBAL__N_125multi_tensor_apply_kernelINS1_18TensorListMetadataILi4EEENS1_24PointwiseOpScalarFunctorIlLi4ELi3ELi3EEEJSt10multipliesIlElEEEvT_T0_DpT1_ ; -- Begin function _ZN2at6native12_GLOBAL__N_125multi_tensor_apply_kernelINS1_18TensorListMetadataILi4EEENS1_24PointwiseOpScalarFunctorIlLi4ELi3ELi3EEEJSt10multipliesIlElEEEvT_T0_DpT1_
	.p2align	8
	.type	_ZN2at6native12_GLOBAL__N_125multi_tensor_apply_kernelINS1_18TensorListMetadataILi4EEENS1_24PointwiseOpScalarFunctorIlLi4ELi3ELi3EEEJSt10multipliesIlElEEEvT_T0_DpT1_,@function
_ZN2at6native12_GLOBAL__N_125multi_tensor_apply_kernelINS1_18TensorListMetadataILi4EEENS1_24PointwiseOpScalarFunctorIlLi4ELi3ELi3EEEJSt10multipliesIlElEEEvT_T0_DpT1_: ; @_ZN2at6native12_GLOBAL__N_125multi_tensor_apply_kernelINS1_18TensorListMetadataILi4EEENS1_24PointwiseOpScalarFunctorIlLi4ELi3ELi3EEEJSt10multipliesIlElEEEvT_T0_DpT1_
; %bb.0:
	v_mov_b32_e32 v1, s6
	global_load_ubyte v1, v1, s[4:5] offset:1440
	s_add_u32 s0, s4, s6
	s_mul_hi_u32 s1, s6, 3
	s_mul_i32 s6, s6, 3
	s_addc_u32 s2, s5, 0
	s_add_u32 s0, s0, s6
	s_addc_u32 s1, s2, s1
	s_load_dword s12, s[0:1], 0x6e0
	s_mov_b32 s17, 0
	s_mov_b32 s19, s17
	s_mov_b32 s21, s17
	s_waitcnt lgkmcnt(0)
	s_ashr_i32 s13, s12, 31
	s_lshl_b64 s[14:15], s[12:13], 19
	s_waitcnt vmcnt(0)
	v_readfirstlane_b32 s0, v1
	s_lshl_b32 s16, s0, 3
	s_load_dwordx2 s[8:9], s[4:5], s16 offset:0x0
	s_load_dwordx2 s[10:11], s[4:5], 0xbf0
	s_load_dwordx2 s[30:31], s[4:5], s16 offset:0x480
	s_load_dwordx2 s[6:7], s[4:5], s16 offset:0x120
	;; [unrolled: 1-line block ×4, first 2 shown]
	s_waitcnt lgkmcnt(0)
	s_add_u32 s22, s8, s14
	s_addc_u32 s23, s9, s15
	s_and_b32 s16, s22, 31
	s_add_u32 s24, s6, s14
	s_addc_u32 s25, s7, s15
	s_and_b32 s18, s24, 31
	s_cmp_eq_u64 s[18:19], 0
	s_cselect_b64 s[18:19], -1, 0
	s_add_u32 s26, s2, s14
	s_addc_u32 s27, s3, s15
	s_add_u32 s28, s0, s14
	s_addc_u32 s29, s1, s15
	s_or_b32 s20, s28, s26
	s_and_b32 s20, s20, 31
	s_cmp_eq_u32 s20, 0
	s_cselect_b64 s[34:35], -1, 0
	s_lshl_b64 s[12:13], s[12:13], 16
	s_and_b64 s[18:19], s[34:35], s[18:19]
	s_sub_u32 s12, s30, s12
	s_subb_u32 s13, s31, s13
	s_and_b32 s20, s30, 3
	s_or_b64 s[16:17], s[16:17], s[20:21]
	s_cmp_eq_u64 s[16:17], 0
	s_cselect_b64 s[16:17], -1, 0
	s_and_b64 s[18:19], s[18:19], s[16:17]
	s_mov_b64 s[16:17], -1
	s_and_b64 vcc, exec, s[18:19]
	s_cbranch_vccnz .LBB3_29
; %bb.1:
	v_cmp_lt_i64_e64 s[16:17], s[12:13], 1
	s_and_b64 vcc, exec, s[16:17]
	s_cbranch_vccnz .LBB3_28
; %bb.2:
	s_load_dword s16, s[4:5], 0xc04
	v_mov_b32_e32 v2, 0x10000
	v_mov_b32_e32 v3, 0
	v_cmp_lt_u64_e32 vcc, s[12:13], v[2:3]
	v_lshlrev_b32_e32 v30, 3, v0
	s_waitcnt lgkmcnt(0)
	s_and_b32 s20, s16, 0xffff
	s_and_b64 s[16:17], vcc, exec
	v_mov_b32_e32 v21, s9
	v_add_co_u32_e32 v2, vcc, s8, v30
	v_addc_co_u32_e32 v1, vcc, 0, v21, vcc
	v_mov_b32_e32 v31, 0
	v_mov_b32_e32 v23, s7
	v_add_co_u32_e32 v4, vcc, s6, v30
	v_addc_co_u32_e32 v3, vcc, 0, v23, vcc
	v_mad_u64_u32 v[12:13], s[18:19], s20, 24, v[30:31]
	v_add_co_u32_e32 v6, vcc, s8, v12
	v_addc_co_u32_e32 v5, vcc, v21, v13, vcc
	v_add_co_u32_e32 v8, vcc, s6, v12
	v_addc_co_u32_e32 v7, vcc, v23, v13, vcc
	v_mov_b32_e32 v27, s3
	v_add_co_u32_e32 v10, vcc, s2, v12
	v_addc_co_u32_e32 v9, vcc, v27, v13, vcc
	v_mov_b32_e32 v34, s1
	v_add_co_u32_e32 v12, vcc, s0, v12
	s_mul_i32 s34, s20, 3
	v_addc_co_u32_e32 v11, vcc, v34, v13, vcc
	s_cselect_b32 s17, s13, 0
	s_cselect_b32 s16, s12, 0x10000
	v_add_co_u32_e32 v33, vcc, s34, v0
	s_lshl_b32 s1, s20, 4
	v_addc_co_u32_e64 v58, s[18:19], 0, 0, vcc
	v_add_co_u32_e32 v19, vcc, s1, v30
	v_addc_co_u32_e64 v22, s[18:19], 0, 0, vcc
	v_add_co_u32_e32 v14, vcc, s8, v19
	v_addc_co_u32_e32 v13, vcc, v21, v22, vcc
	v_add_co_u32_e32 v16, vcc, s6, v19
	v_addc_co_u32_e32 v15, vcc, v23, v22, vcc
	;; [unrolled: 2-line block ×3, first 2 shown]
	v_add_co_u32_e32 v20, vcc, s0, v19
	s_lshl_b32 s21, s20, 1
	v_addc_co_u32_e32 v19, vcc, v34, v22, vcc
	v_add_co_u32_e32 v59, vcc, s21, v0
	v_addc_co_u32_e64 v60, s[18:19], 0, 0, vcc
	v_add_co_u32_e32 v61, vcc, s20, v0
	v_lshlrev_b32_e32 v29, 3, v61
	v_addc_co_u32_e64 v62, s[18:19], 0, 0, vcc
	v_add_co_u32_e32 v22, vcc, s8, v29
	v_addc_co_u32_e32 v21, vcc, 0, v21, vcc
	v_add_co_u32_e32 v24, vcc, s6, v29
	v_addc_co_u32_e32 v23, vcc, 0, v23, vcc
	;; [unrolled: 2-line block ×4, first 2 shown]
	v_add_co_u32_e32 v30, vcc, s0, v30
	v_add_co_u32_e64 v32, s[0:1], s0, v29
	s_mov_b32 s30, 0
	s_lshl_b32 s31, s20, 2
	s_lshl_b32 s33, s20, 5
	s_mov_b64 s[18:19], 0
	v_addc_co_u32_e32 v29, vcc, 0, v34, vcc
	v_addc_co_u32_e64 v31, vcc, 0, v34, s[0:1]
	s_branch .LBB3_4
.LBB3_3:                                ;   in Loop: Header=BB3_4 Depth=1
	s_or_b64 exec, exec, s[0:1]
	s_add_u32 s18, s18, s31
	s_addc_u32 s19, s19, 0
	s_waitcnt vmcnt(0)
	v_pk_mov_b32 v[34:35], s[12:13], s[12:13] op_sel:[0,1]
	v_cmp_lt_i64_e32 vcc, s[18:19], v[34:35]
	v_mov_b32_e32 v34, 0x10000
	v_mov_b32_e32 v35, 0
	v_cmp_lt_u64_e64 s[0:1], s[18:19], v[34:35]
	s_and_b64 s[0:1], vcc, s[0:1]
	v_mov_b32_e32 v34, s30
	v_add_co_u32_e32 v2, vcc, s33, v2
	v_addc_co_u32_e32 v1, vcc, v1, v34, vcc
	v_add_co_u32_e32 v4, vcc, s33, v4
	v_addc_co_u32_e32 v3, vcc, v3, v34, vcc
	;; [unrolled: 2-line block ×16, first 2 shown]
	s_and_b64 vcc, exec, s[0:1]
	s_cbranch_vccz .LBB3_28
.LBB3_4:                                ; =>This Inner Loop Header: Depth=1
	v_mov_b32_e32 v35, s19
	v_add_co_u32_e32 v34, vcc, s18, v0
	v_addc_co_u32_e32 v35, vcc, 0, v35, vcc
	v_cmp_gt_u64_e32 vcc, s[16:17], v[34:35]
	v_pk_mov_b32 v[34:35], 0, 0
	v_pk_mov_b32 v[36:37], v[34:35], v[34:35] op_sel:[0,1]
	v_pk_mov_b32 v[38:39], v[34:35], v[34:35] op_sel:[0,1]
	s_and_saveexec_b64 s[2:3], vcc
	s_cbranch_execz .LBB3_6
; %bb.5:                                ;   in Loop: Header=BB3_4 Depth=1
	v_mov_b32_e32 v36, s15
	v_add_co_u32_e64 v40, s[0:1], s14, v2
	v_addc_co_u32_e64 v41, s[0:1], v1, v36, s[0:1]
	v_add_co_u32_e64 v42, s[0:1], s14, v4
	v_addc_co_u32_e64 v43, s[0:1], v3, v36, s[0:1]
	global_load_dwordx2 v[36:37], v[40:41], off
	global_load_dwordx2 v[38:39], v[42:43], off
.LBB3_6:                                ;   in Loop: Header=BB3_4 Depth=1
	s_or_b64 exec, exec, s[2:3]
	s_and_saveexec_b64 s[2:3], vcc
	s_cbranch_execz .LBB3_8
; %bb.7:                                ;   in Loop: Header=BB3_4 Depth=1
	v_mov_b32_e32 v35, s15
	v_add_co_u32_e64 v34, s[0:1], s14, v26
	v_addc_co_u32_e64 v35, s[0:1], v25, v35, s[0:1]
	global_load_dwordx2 v[34:35], v[34:35], off
.LBB3_8:                                ;   in Loop: Header=BB3_4 Depth=1
	s_or_b64 exec, exec, s[2:3]
	v_mov_b32_e32 v41, s19
	v_add_co_u32_e64 v40, s[0:1], s18, v61
	v_addc_co_u32_e64 v41, s[0:1], v62, v41, s[0:1]
	v_cmp_gt_u64_e64 s[0:1], s[16:17], v[40:41]
	v_pk_mov_b32 v[40:41], 0, 0
	v_pk_mov_b32 v[42:43], v[40:41], v[40:41] op_sel:[0,1]
	v_pk_mov_b32 v[44:45], v[40:41], v[40:41] op_sel:[0,1]
	s_and_saveexec_b64 s[6:7], s[0:1]
	s_cbranch_execz .LBB3_10
; %bb.9:                                ;   in Loop: Header=BB3_4 Depth=1
	v_mov_b32_e32 v42, s15
	v_add_co_u32_e64 v46, s[2:3], s14, v22
	v_addc_co_u32_e64 v47, s[2:3], v21, v42, s[2:3]
	v_add_co_u32_e64 v48, s[2:3], s14, v24
	v_addc_co_u32_e64 v49, s[2:3], v23, v42, s[2:3]
	global_load_dwordx2 v[42:43], v[46:47], off
	global_load_dwordx2 v[44:45], v[48:49], off
.LBB3_10:                               ;   in Loop: Header=BB3_4 Depth=1
	s_or_b64 exec, exec, s[6:7]
	s_and_saveexec_b64 s[6:7], s[0:1]
	s_cbranch_execz .LBB3_12
; %bb.11:                               ;   in Loop: Header=BB3_4 Depth=1
	v_mov_b32_e32 v41, s15
	v_add_co_u32_e64 v40, s[2:3], s14, v28
	v_addc_co_u32_e64 v41, s[2:3], v27, v41, s[2:3]
	global_load_dwordx2 v[40:41], v[40:41], off
.LBB3_12:                               ;   in Loop: Header=BB3_4 Depth=1
	s_or_b64 exec, exec, s[6:7]
	v_mov_b32_e32 v47, s19
	v_add_co_u32_e64 v46, s[2:3], s18, v59
	v_addc_co_u32_e64 v47, s[2:3], v60, v47, s[2:3]
	v_cmp_gt_u64_e64 s[2:3], s[16:17], v[46:47]
	v_pk_mov_b32 v[46:47], 0, 0
	v_pk_mov_b32 v[48:49], v[46:47], v[46:47] op_sel:[0,1]
	v_pk_mov_b32 v[50:51], v[46:47], v[46:47] op_sel:[0,1]
	s_and_saveexec_b64 s[8:9], s[2:3]
	s_cbranch_execz .LBB3_14
; %bb.13:                               ;   in Loop: Header=BB3_4 Depth=1
	v_mov_b32_e32 v48, s15
	v_add_co_u32_e64 v52, s[6:7], s14, v14
	v_addc_co_u32_e64 v53, s[6:7], v13, v48, s[6:7]
	v_add_co_u32_e64 v54, s[6:7], s14, v16
	v_addc_co_u32_e64 v55, s[6:7], v15, v48, s[6:7]
	global_load_dwordx2 v[48:49], v[52:53], off
	global_load_dwordx2 v[50:51], v[54:55], off
.LBB3_14:                               ;   in Loop: Header=BB3_4 Depth=1
	s_or_b64 exec, exec, s[8:9]
	s_and_saveexec_b64 s[8:9], s[2:3]
	s_cbranch_execz .LBB3_16
; %bb.15:                               ;   in Loop: Header=BB3_4 Depth=1
	v_mov_b32_e32 v47, s15
	v_add_co_u32_e64 v46, s[6:7], s14, v18
	v_addc_co_u32_e64 v47, s[6:7], v17, v47, s[6:7]
	global_load_dwordx2 v[46:47], v[46:47], off
.LBB3_16:                               ;   in Loop: Header=BB3_4 Depth=1
	s_or_b64 exec, exec, s[8:9]
	v_mov_b32_e32 v53, s19
	v_add_co_u32_e64 v52, s[6:7], s18, v33
	v_addc_co_u32_e64 v53, s[6:7], v58, v53, s[6:7]
	v_cmp_gt_u64_e64 s[6:7], s[16:17], v[52:53]
	v_pk_mov_b32 v[52:53], 0, 0
	v_pk_mov_b32 v[54:55], v[52:53], v[52:53] op_sel:[0,1]
	v_pk_mov_b32 v[56:57], v[52:53], v[52:53] op_sel:[0,1]
	s_and_saveexec_b64 s[20:21], s[6:7]
	s_cbranch_execnz .LBB3_22
; %bb.17:                               ;   in Loop: Header=BB3_4 Depth=1
	s_or_b64 exec, exec, s[20:21]
	s_and_saveexec_b64 s[20:21], s[6:7]
	s_cbranch_execnz .LBB3_23
.LBB3_18:                               ;   in Loop: Header=BB3_4 Depth=1
	s_or_b64 exec, exec, s[20:21]
	s_and_saveexec_b64 s[8:9], vcc
	s_cbranch_execnz .LBB3_24
.LBB3_19:                               ;   in Loop: Header=BB3_4 Depth=1
	s_or_b64 exec, exec, s[8:9]
	s_and_saveexec_b64 s[8:9], s[0:1]
	s_cbranch_execnz .LBB3_25
.LBB3_20:                               ;   in Loop: Header=BB3_4 Depth=1
	s_or_b64 exec, exec, s[8:9]
	s_and_saveexec_b64 s[0:1], s[2:3]
	s_cbranch_execnz .LBB3_26
.LBB3_21:                               ;   in Loop: Header=BB3_4 Depth=1
	s_or_b64 exec, exec, s[0:1]
	s_and_saveexec_b64 s[0:1], s[6:7]
	s_cbranch_execz .LBB3_3
	s_branch .LBB3_27
.LBB3_22:                               ;   in Loop: Header=BB3_4 Depth=1
	v_mov_b32_e32 v54, s15
	v_add_co_u32_e64 v64, s[8:9], s14, v6
	v_addc_co_u32_e64 v65, s[8:9], v5, v54, s[8:9]
	v_add_co_u32_e64 v66, s[8:9], s14, v8
	v_addc_co_u32_e64 v67, s[8:9], v7, v54, s[8:9]
	global_load_dwordx2 v[54:55], v[64:65], off
	global_load_dwordx2 v[56:57], v[66:67], off
	s_or_b64 exec, exec, s[20:21]
	s_and_saveexec_b64 s[20:21], s[6:7]
	s_cbranch_execz .LBB3_18
.LBB3_23:                               ;   in Loop: Header=BB3_4 Depth=1
	v_mov_b32_e32 v53, s15
	v_add_co_u32_e64 v52, s[8:9], s14, v10
	v_addc_co_u32_e64 v53, s[8:9], v9, v53, s[8:9]
	global_load_dwordx2 v[52:53], v[52:53], off
	s_or_b64 exec, exec, s[20:21]
	s_and_saveexec_b64 s[8:9], vcc
	s_cbranch_execz .LBB3_19
.LBB3_24:                               ;   in Loop: Header=BB3_4 Depth=1
	v_mov_b32_e32 v63, s15
	v_add_co_u32_e32 v64, vcc, s14, v30
	v_addc_co_u32_e32 v65, vcc, v29, v63, vcc
	s_waitcnt vmcnt(0)
	v_mul_lo_u32 v63, v39, s10
	v_mul_lo_u32 v66, v38, s11
	v_mad_u64_u32 v[38:39], s[20:21], v38, s10, 0
	v_add3_u32 v39, v39, v66, v63
	v_mul_lo_u32 v39, v39, v34
	v_mul_lo_u32 v63, v38, v35
	v_mad_u64_u32 v[34:35], s[20:21], v38, v34, v[36:37]
	v_add3_u32 v35, v39, v35, v63
	global_store_dwordx2 v[64:65], v[34:35], off
	s_or_b64 exec, exec, s[8:9]
	s_and_saveexec_b64 s[8:9], s[0:1]
	s_cbranch_execz .LBB3_20
.LBB3_25:                               ;   in Loop: Header=BB3_4 Depth=1
	s_waitcnt vmcnt(0)
	v_mul_lo_u32 v36, v45, s10
	v_mul_lo_u32 v37, v44, s11
	v_mad_u64_u32 v[34:35], s[0:1], v44, s10, 0
	v_add3_u32 v35, v35, v37, v36
	v_mul_lo_u32 v36, v35, v40
	v_mul_lo_u32 v37, v34, v41
	v_mad_u64_u32 v[34:35], s[0:1], v34, v40, v[42:43]
	v_add3_u32 v35, v36, v35, v37
	v_mov_b32_e32 v37, s15
	v_add_co_u32_e32 v36, vcc, s14, v32
	v_addc_co_u32_e32 v37, vcc, v31, v37, vcc
	global_store_dwordx2 v[36:37], v[34:35], off
	s_or_b64 exec, exec, s[8:9]
	s_and_saveexec_b64 s[0:1], s[2:3]
	s_cbranch_execz .LBB3_21
.LBB3_26:                               ;   in Loop: Header=BB3_4 Depth=1
	s_waitcnt vmcnt(0)
	v_mul_lo_u32 v36, v51, s10
	v_mul_lo_u32 v37, v50, s11
	v_mad_u64_u32 v[34:35], s[2:3], v50, s10, 0
	v_add3_u32 v35, v35, v37, v36
	v_mul_lo_u32 v36, v35, v46
	v_mul_lo_u32 v37, v34, v47
	v_mad_u64_u32 v[34:35], s[2:3], v34, v46, v[48:49]
	v_add3_u32 v35, v36, v35, v37
	v_mov_b32_e32 v37, s15
	v_add_co_u32_e32 v36, vcc, s14, v20
	v_addc_co_u32_e32 v37, vcc, v19, v37, vcc
	global_store_dwordx2 v[36:37], v[34:35], off
	s_or_b64 exec, exec, s[0:1]
	s_and_saveexec_b64 s[0:1], s[6:7]
	s_cbranch_execz .LBB3_3
.LBB3_27:                               ;   in Loop: Header=BB3_4 Depth=1
	s_waitcnt vmcnt(0)
	v_mul_lo_u32 v36, v57, s10
	v_mul_lo_u32 v37, v56, s11
	v_mad_u64_u32 v[34:35], s[2:3], v56, s10, 0
	v_add3_u32 v35, v35, v37, v36
	v_mul_lo_u32 v36, v35, v52
	v_mul_lo_u32 v37, v34, v53
	v_mad_u64_u32 v[34:35], s[2:3], v34, v52, v[54:55]
	v_add3_u32 v35, v36, v35, v37
	v_mov_b32_e32 v37, s15
	v_add_co_u32_e32 v36, vcc, s14, v12
	v_addc_co_u32_e32 v37, vcc, v11, v37, vcc
	global_store_dwordx2 v[36:37], v[34:35], off
	s_branch .LBB3_3
.LBB3_28:
	s_mov_b64 s[16:17], 0
.LBB3_29:
	s_andn2_b64 vcc, exec, s[16:17]
	s_cbranch_vccnz .LBB3_33
; %bb.30:
	v_mov_b32_e32 v3, 0
	v_lshlrev_b32_e32 v2, 2, v0
	s_mov_b32 s0, 0
	v_cmp_gt_i64_e32 vcc, s[12:13], v[2:3]
	s_and_saveexec_b64 s[2:3], vcc
	s_cbranch_execz .LBB3_33
; %bb.31:
	s_load_dword s1, s[4:5], 0xc04
	v_lshlrev_b32_e32 v4, 5, v0
	s_mov_b64 s[4:5], 0
	s_mov_b64 s[6:7], 0xffff
	s_waitcnt lgkmcnt(0)
	s_and_b32 s1, s1, 0xffff
	v_add_lshl_u32 v2, v0, s1, 2
	s_lshl_b32 s8, s1, 2
	s_lshl_b32 s9, s1, 5
	v_mov_b32_e32 v0, s0
.LBB3_32:                               ; =>This Inner Loop Header: Depth=1
	v_mov_b32_e32 v5, s25
	v_add_co_u32_e32 v30, vcc, s24, v4
	v_mov_b32_e32 v1, s23
	v_mov_b32_e32 v6, s27
	v_add_co_u32_e64 v32, s[0:1], s26, v4
	v_add_co_u32_e64 v34, s[2:3], s22, v4
	v_addc_co_u32_e32 v31, vcc, 0, v5, vcc
	v_addc_co_u32_e64 v35, s[2:3], 0, v1, s[2:3]
	v_addc_co_u32_e64 v33, vcc, 0, v6, s[0:1]
	global_load_dwordx4 v[6:9], v[30:31], off
	global_load_dwordx4 v[10:13], v[30:31], off offset:16
	global_load_dwordx4 v[14:17], v[32:33], off
	global_load_dwordx4 v[18:21], v[34:35], off
	global_load_dwordx4 v[22:25], v[32:33], off offset:16
	global_load_dwordx4 v[26:29], v[34:35], off offset:16
	v_cmp_le_i64_e32 vcc, s[12:13], v[2:3]
	v_cmp_lt_u64_e64 s[0:1], s[6:7], v[2:3]
	s_or_b64 s[0:1], vcc, s[0:1]
	v_add_co_u32_e64 v2, s[2:3], s8, v2
	s_add_u32 s22, s22, s9
	v_addc_co_u32_e64 v3, s[2:3], v3, v0, s[2:3]
	s_addc_u32 s23, s23, 0
	v_add_co_u32_e64 v30, s[2:3], s28, v4
	s_add_u32 s28, s28, s9
	v_mov_b32_e32 v1, s29
	s_addc_u32 s29, s29, 0
	s_add_u32 s24, s24, s9
	s_addc_u32 s25, s25, 0
	s_add_u32 s26, s26, s9
	s_addc_u32 s27, s27, 0
	s_and_b64 s[0:1], exec, s[0:1]
	v_addc_co_u32_e64 v31, s[2:3], 0, v1, s[2:3]
	s_or_b64 s[4:5], s[0:1], s[4:5]
	s_waitcnt vmcnt(5)
	v_mul_lo_u32 v1, v7, s10
	v_mul_lo_u32 v5, v6, s11
	v_mad_u64_u32 v[6:7], s[0:1], v6, s10, 0
	v_mul_lo_u32 v32, v9, s10
	v_mul_lo_u32 v33, v8, s11
	v_mad_u64_u32 v[8:9], s[0:1], v8, s10, 0
	s_waitcnt vmcnt(4)
	v_mul_lo_u32 v34, v11, s10
	v_mul_lo_u32 v35, v10, s11
	v_mad_u64_u32 v[10:11], s[0:1], v10, s10, 0
	v_mul_lo_u32 v36, v13, s10
	v_mul_lo_u32 v37, v12, s11
	v_mad_u64_u32 v[12:13], s[0:1], v12, s10, 0
	v_add3_u32 v1, v7, v5, v1
	s_waitcnt vmcnt(3)
	v_mul_lo_u32 v5, v6, v15
	v_add3_u32 v15, v9, v33, v32
	s_waitcnt vmcnt(2)
	v_mad_u64_u32 v[6:7], s[0:1], v6, v14, v[18:19]
	v_mul_lo_u32 v17, v8, v17
	v_mad_u64_u32 v[8:9], s[0:1], v8, v16, v[20:21]
	v_add3_u32 v18, v11, v35, v34
	v_add3_u32 v20, v13, v37, v36
	v_mul_lo_u32 v1, v1, v14
	v_mul_lo_u32 v14, v15, v16
	s_waitcnt vmcnt(1)
	v_mul_lo_u32 v19, v10, v23
	s_waitcnt vmcnt(0)
	v_mad_u64_u32 v[10:11], s[0:1], v10, v22, v[26:27]
	v_mul_lo_u32 v21, v12, v25
	v_mad_u64_u32 v[12:13], s[0:1], v12, v24, v[28:29]
	v_mul_lo_u32 v15, v18, v22
	v_mul_lo_u32 v16, v20, v24
	v_add3_u32 v7, v1, v7, v5
	v_add3_u32 v9, v14, v9, v17
	;; [unrolled: 1-line block ×4, first 2 shown]
	global_store_dwordx4 v[30:31], v[6:9], off
	global_store_dwordx4 v[30:31], v[10:13], off offset:16
	s_andn2_b64 exec, exec, s[4:5]
	s_cbranch_execnz .LBB3_32
.LBB3_33:
	s_endpgm
	.section	.rodata,"a",@progbits
	.p2align	6, 0x0
	.amdhsa_kernel _ZN2at6native12_GLOBAL__N_125multi_tensor_apply_kernelINS1_18TensorListMetadataILi4EEENS1_24PointwiseOpScalarFunctorIlLi4ELi3ELi3EEEJSt10multipliesIlElEEEvT_T0_DpT1_
		.amdhsa_group_segment_fixed_size 0
		.amdhsa_private_segment_fixed_size 0
		.amdhsa_kernarg_size 3320
		.amdhsa_user_sgpr_count 6
		.amdhsa_user_sgpr_private_segment_buffer 1
		.amdhsa_user_sgpr_dispatch_ptr 0
		.amdhsa_user_sgpr_queue_ptr 0
		.amdhsa_user_sgpr_kernarg_segment_ptr 1
		.amdhsa_user_sgpr_dispatch_id 0
		.amdhsa_user_sgpr_flat_scratch_init 0
		.amdhsa_user_sgpr_kernarg_preload_length 0
		.amdhsa_user_sgpr_kernarg_preload_offset 0
		.amdhsa_user_sgpr_private_segment_size 0
		.amdhsa_uses_dynamic_stack 0
		.amdhsa_system_sgpr_private_segment_wavefront_offset 0
		.amdhsa_system_sgpr_workgroup_id_x 1
		.amdhsa_system_sgpr_workgroup_id_y 0
		.amdhsa_system_sgpr_workgroup_id_z 0
		.amdhsa_system_sgpr_workgroup_info 0
		.amdhsa_system_vgpr_workitem_id 0
		.amdhsa_next_free_vgpr 68
		.amdhsa_next_free_sgpr 36
		.amdhsa_accum_offset 68
		.amdhsa_reserve_vcc 1
		.amdhsa_reserve_flat_scratch 0
		.amdhsa_float_round_mode_32 0
		.amdhsa_float_round_mode_16_64 0
		.amdhsa_float_denorm_mode_32 3
		.amdhsa_float_denorm_mode_16_64 3
		.amdhsa_dx10_clamp 1
		.amdhsa_ieee_mode 1
		.amdhsa_fp16_overflow 0
		.amdhsa_tg_split 0
		.amdhsa_exception_fp_ieee_invalid_op 0
		.amdhsa_exception_fp_denorm_src 0
		.amdhsa_exception_fp_ieee_div_zero 0
		.amdhsa_exception_fp_ieee_overflow 0
		.amdhsa_exception_fp_ieee_underflow 0
		.amdhsa_exception_fp_ieee_inexact 0
		.amdhsa_exception_int_div_zero 0
	.end_amdhsa_kernel
	.section	.text._ZN2at6native12_GLOBAL__N_125multi_tensor_apply_kernelINS1_18TensorListMetadataILi4EEENS1_24PointwiseOpScalarFunctorIlLi4ELi3ELi3EEEJSt10multipliesIlElEEEvT_T0_DpT1_,"axG",@progbits,_ZN2at6native12_GLOBAL__N_125multi_tensor_apply_kernelINS1_18TensorListMetadataILi4EEENS1_24PointwiseOpScalarFunctorIlLi4ELi3ELi3EEEJSt10multipliesIlElEEEvT_T0_DpT1_,comdat
.Lfunc_end3:
	.size	_ZN2at6native12_GLOBAL__N_125multi_tensor_apply_kernelINS1_18TensorListMetadataILi4EEENS1_24PointwiseOpScalarFunctorIlLi4ELi3ELi3EEEJSt10multipliesIlElEEEvT_T0_DpT1_, .Lfunc_end3-_ZN2at6native12_GLOBAL__N_125multi_tensor_apply_kernelINS1_18TensorListMetadataILi4EEENS1_24PointwiseOpScalarFunctorIlLi4ELi3ELi3EEEJSt10multipliesIlElEEEvT_T0_DpT1_
                                        ; -- End function
	.section	.AMDGPU.csdata,"",@progbits
; Kernel info:
; codeLenInByte = 2424
; NumSgprs: 40
; NumVgprs: 68
; NumAgprs: 0
; TotalNumVgprs: 68
; ScratchSize: 0
; MemoryBound: 0
; FloatMode: 240
; IeeeMode: 1
; LDSByteSize: 0 bytes/workgroup (compile time only)
; SGPRBlocks: 4
; VGPRBlocks: 8
; NumSGPRsForWavesPerEU: 40
; NumVGPRsForWavesPerEU: 68
; AccumOffset: 68
; Occupancy: 7
; WaveLimiterHint : 0
; COMPUTE_PGM_RSRC2:SCRATCH_EN: 0
; COMPUTE_PGM_RSRC2:USER_SGPR: 6
; COMPUTE_PGM_RSRC2:TRAP_HANDLER: 0
; COMPUTE_PGM_RSRC2:TGID_X_EN: 1
; COMPUTE_PGM_RSRC2:TGID_Y_EN: 0
; COMPUTE_PGM_RSRC2:TGID_Z_EN: 0
; COMPUTE_PGM_RSRC2:TIDIG_COMP_CNT: 0
; COMPUTE_PGM_RSRC3_GFX90A:ACCUM_OFFSET: 16
; COMPUTE_PGM_RSRC3_GFX90A:TG_SPLIT: 0
	.section	.text._ZN2at6native12_GLOBAL__N_125multi_tensor_apply_kernelINS1_18TensorListMetadataILi4EEENS1_24PointwiseOpScalarFunctorIsLi4ELi3ELi3EEEJSt10multipliesIsEsEEEvT_T0_DpT1_,"axG",@progbits,_ZN2at6native12_GLOBAL__N_125multi_tensor_apply_kernelINS1_18TensorListMetadataILi4EEENS1_24PointwiseOpScalarFunctorIsLi4ELi3ELi3EEEJSt10multipliesIsEsEEEvT_T0_DpT1_,comdat
	.globl	_ZN2at6native12_GLOBAL__N_125multi_tensor_apply_kernelINS1_18TensorListMetadataILi4EEENS1_24PointwiseOpScalarFunctorIsLi4ELi3ELi3EEEJSt10multipliesIsEsEEEvT_T0_DpT1_ ; -- Begin function _ZN2at6native12_GLOBAL__N_125multi_tensor_apply_kernelINS1_18TensorListMetadataILi4EEENS1_24PointwiseOpScalarFunctorIsLi4ELi3ELi3EEEJSt10multipliesIsEsEEEvT_T0_DpT1_
	.p2align	8
	.type	_ZN2at6native12_GLOBAL__N_125multi_tensor_apply_kernelINS1_18TensorListMetadataILi4EEENS1_24PointwiseOpScalarFunctorIsLi4ELi3ELi3EEEJSt10multipliesIsEsEEEvT_T0_DpT1_,@function
_ZN2at6native12_GLOBAL__N_125multi_tensor_apply_kernelINS1_18TensorListMetadataILi4EEENS1_24PointwiseOpScalarFunctorIsLi4ELi3ELi3EEEJSt10multipliesIsEsEEEvT_T0_DpT1_: ; @_ZN2at6native12_GLOBAL__N_125multi_tensor_apply_kernelINS1_18TensorListMetadataILi4EEENS1_24PointwiseOpScalarFunctorIsLi4ELi3ELi3EEEJSt10multipliesIsEsEEEvT_T0_DpT1_
; %bb.0:
	v_mov_b32_e32 v1, s6
	global_load_ubyte v1, v1, s[4:5] offset:1440
	s_load_dword s0, s[4:5], 0xbe8
	s_mul_i32 s7, s6, 3
	s_mul_hi_u32 s2, s6, 3
	s_mov_b32 s1, 0
	s_mov_b32 s3, s1
	s_waitcnt lgkmcnt(0)
	s_lshr_b32 s28, s0, 16
	s_add_u32 s0, s4, s6
	s_addc_u32 s8, s5, 0
	s_add_u32 s6, s0, s7
	s_addc_u32 s7, s8, s2
	s_load_dword s6, s[6:7], 0x6e0
	s_mov_b32 s9, s1
	s_waitcnt vmcnt(0)
	v_readfirstlane_b32 s0, v1
	s_lshl_b32 s0, s0, 3
	s_load_dwordx2 s[22:23], s[4:5], s0 offset:0x480
	s_load_dwordx2 s[10:11], s[4:5], s0 offset:0x0
	;; [unrolled: 1-line block ×5, first 2 shown]
	s_waitcnt lgkmcnt(0)
	s_ashr_i32 s7, s6, 31
	s_lshl_b64 s[20:21], s[6:7], 17
	s_add_u32 s2, s12, s20
	s_and_b32 s0, s10, 7
	s_and_b32 s2, s2, 7
	s_cmp_eq_u64 s[2:3], 0
	s_cselect_b64 s[2:3], -1, 0
	s_add_u32 s8, s14, s20
	s_or_b32 s8, s16, s8
	s_and_b32 s8, s8, 7
	s_cmp_eq_u32 s8, 0
	s_cselect_b64 s[18:19], -1, 0
	s_lshl_b64 s[6:7], s[6:7], 16
	s_and_b64 s[2:3], s[18:19], s[2:3]
	s_sub_u32 s18, s22, s6
	s_subb_u32 s19, s23, s7
	s_and_b32 s8, s22, 3
	s_or_b64 s[0:1], s[0:1], s[8:9]
	s_cmp_eq_u64 s[0:1], 0
	s_cselect_b64 s[0:1], -1, 0
	s_and_b64 s[2:3], s[2:3], s[0:1]
	s_mov_b64 s[0:1], -1
	s_and_b64 vcc, exec, s[2:3]
	s_cbranch_vccnz .LBB4_29
; %bb.1:
	v_cmp_lt_i64_e64 s[0:1], s[18:19], 1
	s_and_b64 vcc, exec, s[0:1]
	s_cbranch_vccnz .LBB4_28
; %bb.2:
	s_load_dword s0, s[4:5], 0xbfc
	v_mov_b32_e32 v19, 0
	v_lshlrev_b32_e32 v18, 1, v0
	v_mov_b32_e32 v21, s11
	v_mov_b32_e32 v23, s13
	s_waitcnt lgkmcnt(0)
	s_and_b32 s6, s0, 0xffff
	v_mad_u64_u32 v[16:17], s[2:3], s6, 6, v[18:19]
	v_add_co_u32_e64 v10, s[2:3], s10, v16
	v_addc_co_u32_e64 v5, s[2:3], v21, v17, s[2:3]
	v_add_co_u32_e64 v12, s[2:3], s12, v16
	v_addc_co_u32_e64 v7, s[2:3], v23, v17, s[2:3]
	v_mov_b32_e32 v27, s15
	v_add_co_u32_e64 v14, s[2:3], s14, v16
	v_mov_b32_e32 v2, 0x10000
	v_addc_co_u32_e64 v9, s[2:3], v27, v17, s[2:3]
	v_mov_b32_e32 v3, 0
	v_mov_b32_e32 v31, s17
	v_add_co_u32_e64 v16, s[2:3], s16, v16
	v_cmp_lt_u64_e32 vcc, s[18:19], v[2:3]
	s_mul_i32 s8, s6, 3
	v_addc_co_u32_e64 v11, s[2:3], v31, v17, s[2:3]
	s_and_b64 s[0:1], vcc, exec
	v_add_co_u32_e32 v2, vcc, s10, v18
	v_add_co_u32_e64 v33, s[2:3], s8, v0
	s_cselect_b32 s23, s19, 0
	s_cselect_b32 s22, s18, 0x10000
	s_lshl_b32 s30, s6, 2
	v_addc_co_u32_e32 v1, vcc, 0, v21, vcc
	v_addc_co_u32_e64 v34, s[2:3], 0, 0, s[2:3]
	v_add_co_u32_e32 v4, vcc, s12, v18
	v_add_co_u32_e64 v19, s[2:3], s30, v18
	v_addc_co_u32_e32 v3, vcc, 0, v23, vcc
	v_addc_co_u32_e64 v25, s[2:3], 0, 0, s[2:3]
	v_add_co_u32_e32 v6, vcc, s14, v18
	v_add_co_u32_e64 v8, s[0:1], s16, v18
	v_add_co_u32_e64 v18, s[2:3], s10, v19
	v_addc_co_u32_e64 v13, s[2:3], v21, v25, s[2:3]
	v_add_co_u32_e64 v20, s[2:3], s12, v19
	v_addc_co_u32_e64 v15, s[2:3], v23, v25, s[2:3]
	v_add_co_u32_e64 v22, s[2:3], s14, v19
	v_addc_co_u32_e64 v17, s[2:3], v27, v25, s[2:3]
	v_add_co_u32_e64 v24, s[2:3], s16, v19
	s_lshl_b32 s7, s6, 1
	v_addc_co_u32_e64 v19, s[2:3], v31, v25, s[2:3]
	v_add_co_u32_e64 v35, s[2:3], s7, v0
	v_addc_co_u32_e64 v36, s[2:3], 0, 0, s[2:3]
	v_add_co_u32_e64 v37, s[2:3], s6, v0
	v_addc_co_u32_e64 v38, s[2:3], 0, 0, s[2:3]
	v_lshlrev_b32_e32 v29, 1, v37
	v_addc_co_u32_e32 v25, vcc, 0, v27, vcc
	v_add_co_u32_e64 v26, s[2:3], s10, v29
	v_add_co_u32_e32 v30, vcc, s14, v29
	v_addc_co_u32_e64 v21, s[2:3], 0, v21, s[2:3]
	v_addc_co_u32_e32 v27, vcc, 0, v27, vcc
	v_add_co_u32_e64 v28, s[2:3], s12, v29
	v_add_co_u32_e32 v32, vcc, s16, v29
	s_mov_b32 s29, 0
	s_lshl_b32 s31, s6, 3
	s_mov_b64 s[24:25], 0
	v_addc_co_u32_e64 v23, s[2:3], 0, v23, s[2:3]
	v_addc_co_u32_e64 v29, s[0:1], 0, v31, s[0:1]
	v_addc_co_u32_e32 v31, vcc, 0, v31, vcc
	s_branch .LBB4_4
.LBB4_3:                                ;   in Loop: Header=BB4_4 Depth=1
	s_or_b64 exec, exec, s[0:1]
	s_waitcnt vmcnt(1)
	v_mov_b32_e32 v39, s29
	v_add_co_u32_e64 v2, s[2:3], s31, v2
	v_addc_co_u32_e64 v1, s[2:3], v1, v39, s[2:3]
	v_add_co_u32_e64 v4, s[2:3], s31, v4
	v_addc_co_u32_e64 v3, s[2:3], v3, v39, s[2:3]
	;; [unrolled: 2-line block ×12, first 2 shown]
	v_add_co_u32_e64 v26, s[2:3], s31, v26
	s_add_u32 s24, s24, s30
	v_addc_co_u32_e64 v21, s[2:3], v21, v39, s[2:3]
	s_addc_u32 s25, s25, 0
	s_waitcnt vmcnt(0)
	v_pk_mov_b32 v[40:41], s[18:19], s[18:19] op_sel:[0,1]
	v_add_co_u32_e64 v28, s[2:3], s31, v28
	v_cmp_lt_i64_e32 vcc, s[24:25], v[40:41]
	v_mov_b32_e32 v40, 0x10000
	v_addc_co_u32_e64 v23, s[2:3], v23, v39, s[2:3]
	v_mov_b32_e32 v41, 0
	v_add_co_u32_e64 v30, s[2:3], s31, v30
	v_cmp_lt_u64_e64 s[0:1], s[24:25], v[40:41]
	v_addc_co_u32_e64 v27, s[2:3], v27, v39, s[2:3]
	v_add_co_u32_e64 v32, s[2:3], s31, v32
	s_and_b64 s[0:1], vcc, s[0:1]
	v_addc_co_u32_e64 v31, s[2:3], v31, v39, s[2:3]
	s_and_b64 vcc, exec, s[0:1]
	s_cbranch_vccz .LBB4_28
.LBB4_4:                                ; =>This Inner Loop Header: Depth=1
	v_mov_b32_e32 v39, s25
	v_add_co_u32_e32 v40, vcc, s24, v0
	v_addc_co_u32_e32 v41, vcc, 0, v39, vcc
	v_cmp_gt_u64_e32 vcc, s[22:23], v[40:41]
	v_mov_b32_e32 v39, 0
	v_mov_b32_e32 v40, 0
	s_and_saveexec_b64 s[2:3], vcc
	s_cbranch_execz .LBB4_6
; %bb.5:                                ;   in Loop: Header=BB4_4 Depth=1
	v_mov_b32_e32 v39, s21
	v_add_co_u32_e64 v42, s[0:1], s20, v2
	v_addc_co_u32_e64 v43, s[0:1], v1, v39, s[0:1]
	v_add_co_u32_e64 v44, s[0:1], s20, v4
	v_addc_co_u32_e64 v45, s[0:1], v3, v39, s[0:1]
	global_load_ushort v39, v[42:43], off
	global_load_ushort v40, v[44:45], off
.LBB4_6:                                ;   in Loop: Header=BB4_4 Depth=1
	s_or_b64 exec, exec, s[2:3]
	v_mov_b32_e32 v41, 0
	v_mov_b32_e32 v42, 0
	s_and_saveexec_b64 s[2:3], vcc
	s_cbranch_execz .LBB4_8
; %bb.7:                                ;   in Loop: Header=BB4_4 Depth=1
	v_mov_b32_e32 v43, s21
	v_add_co_u32_e64 v42, s[0:1], s20, v6
	v_addc_co_u32_e64 v43, s[0:1], v25, v43, s[0:1]
	global_load_ushort v42, v[42:43], off
.LBB4_8:                                ;   in Loop: Header=BB4_4 Depth=1
	s_or_b64 exec, exec, s[2:3]
	v_mov_b32_e32 v43, s25
	v_add_co_u32_e64 v44, s[0:1], s24, v37
	v_addc_co_u32_e64 v45, s[0:1], v38, v43, s[0:1]
	v_cmp_gt_u64_e64 s[0:1], s[22:23], v[44:45]
	v_mov_b32_e32 v43, 0
	s_and_saveexec_b64 s[6:7], s[0:1]
	s_cbranch_execz .LBB4_10
; %bb.9:                                ;   in Loop: Header=BB4_4 Depth=1
	v_mov_b32_e32 v41, s21
	v_add_co_u32_e64 v44, s[2:3], s20, v28
	v_addc_co_u32_e64 v45, s[2:3], v23, v41, s[2:3]
	v_add_co_u32_e64 v46, s[2:3], s20, v26
	v_addc_co_u32_e64 v47, s[2:3], v21, v41, s[2:3]
	global_load_ushort v41, v[46:47], off
	global_load_ushort v43, v[44:45], off
.LBB4_10:                               ;   in Loop: Header=BB4_4 Depth=1
	s_or_b64 exec, exec, s[6:7]
	v_mov_b32_e32 v44, 0
	v_mov_b32_e32 v45, 0
	s_and_saveexec_b64 s[6:7], s[0:1]
	s_cbranch_execz .LBB4_12
; %bb.11:                               ;   in Loop: Header=BB4_4 Depth=1
	v_mov_b32_e32 v45, s21
	v_add_co_u32_e64 v46, s[2:3], s20, v30
	v_addc_co_u32_e64 v47, s[2:3], v27, v45, s[2:3]
	global_load_ushort v45, v[46:47], off
.LBB4_12:                               ;   in Loop: Header=BB4_4 Depth=1
	s_or_b64 exec, exec, s[6:7]
	v_mov_b32_e32 v47, s25
	v_add_co_u32_e64 v46, s[2:3], s24, v35
	v_addc_co_u32_e64 v47, s[2:3], v36, v47, s[2:3]
	v_cmp_gt_u64_e64 s[2:3], s[22:23], v[46:47]
	v_mov_b32_e32 v46, 0
	s_and_saveexec_b64 s[8:9], s[2:3]
	s_cbranch_execz .LBB4_14
; %bb.13:                               ;   in Loop: Header=BB4_4 Depth=1
	v_mov_b32_e32 v44, s21
	v_add_co_u32_e64 v48, s[6:7], s20, v20
	v_addc_co_u32_e64 v49, s[6:7], v15, v44, s[6:7]
	v_add_co_u32_e64 v50, s[6:7], s20, v18
	v_addc_co_u32_e64 v51, s[6:7], v13, v44, s[6:7]
	global_load_ushort v44, v[50:51], off
	global_load_ushort v46, v[48:49], off
.LBB4_14:                               ;   in Loop: Header=BB4_4 Depth=1
	s_or_b64 exec, exec, s[8:9]
	v_mov_b32_e32 v47, 0
	v_mov_b32_e32 v48, 0
	s_and_saveexec_b64 s[8:9], s[2:3]
	s_cbranch_execz .LBB4_16
; %bb.15:                               ;   in Loop: Header=BB4_4 Depth=1
	v_mov_b32_e32 v49, s21
	v_add_co_u32_e64 v48, s[6:7], s20, v22
	v_addc_co_u32_e64 v49, s[6:7], v17, v49, s[6:7]
	global_load_ushort v48, v[48:49], off
.LBB4_16:                               ;   in Loop: Header=BB4_4 Depth=1
	s_or_b64 exec, exec, s[8:9]
	v_mov_b32_e32 v49, s25
	v_add_co_u32_e64 v50, s[6:7], s24, v33
	v_addc_co_u32_e64 v51, s[6:7], v34, v49, s[6:7]
	v_cmp_gt_u64_e64 s[6:7], s[22:23], v[50:51]
	v_mov_b32_e32 v49, 0
	s_and_saveexec_b64 s[26:27], s[6:7]
	s_cbranch_execnz .LBB4_22
; %bb.17:                               ;   in Loop: Header=BB4_4 Depth=1
	s_or_b64 exec, exec, s[26:27]
	v_mov_b32_e32 v50, 0
	s_and_saveexec_b64 s[26:27], s[6:7]
	s_cbranch_execnz .LBB4_23
.LBB4_18:                               ;   in Loop: Header=BB4_4 Depth=1
	s_or_b64 exec, exec, s[26:27]
	s_and_saveexec_b64 s[8:9], vcc
	s_cbranch_execnz .LBB4_24
.LBB4_19:                               ;   in Loop: Header=BB4_4 Depth=1
	s_or_b64 exec, exec, s[8:9]
	s_and_saveexec_b64 s[8:9], s[0:1]
	s_cbranch_execnz .LBB4_25
.LBB4_20:                               ;   in Loop: Header=BB4_4 Depth=1
	s_or_b64 exec, exec, s[8:9]
	s_and_saveexec_b64 s[0:1], s[2:3]
	s_cbranch_execnz .LBB4_26
.LBB4_21:                               ;   in Loop: Header=BB4_4 Depth=1
	s_or_b64 exec, exec, s[0:1]
	s_and_saveexec_b64 s[0:1], s[6:7]
	s_cbranch_execz .LBB4_3
	s_branch .LBB4_27
.LBB4_22:                               ;   in Loop: Header=BB4_4 Depth=1
	v_mov_b32_e32 v47, s21
	v_add_co_u32_e64 v50, s[8:9], s20, v12
	v_addc_co_u32_e64 v51, s[8:9], v7, v47, s[8:9]
	v_add_co_u32_e64 v52, s[8:9], s20, v10
	v_addc_co_u32_e64 v53, s[8:9], v5, v47, s[8:9]
	global_load_ushort v47, v[52:53], off
	global_load_ushort v49, v[50:51], off
	s_or_b64 exec, exec, s[26:27]
	v_mov_b32_e32 v50, 0
	s_and_saveexec_b64 s[26:27], s[6:7]
	s_cbranch_execz .LBB4_18
.LBB4_23:                               ;   in Loop: Header=BB4_4 Depth=1
	v_mov_b32_e32 v51, s21
	v_add_co_u32_e64 v50, s[8:9], s20, v14
	v_addc_co_u32_e64 v51, s[8:9], v9, v51, s[8:9]
	global_load_ushort v50, v[50:51], off
	s_or_b64 exec, exec, s[26:27]
	s_and_saveexec_b64 s[8:9], vcc
	s_cbranch_execz .LBB4_19
.LBB4_24:                               ;   in Loop: Header=BB4_4 Depth=1
	s_waitcnt vmcnt(0)
	v_mul_lo_u16_e32 v40, s28, v40
	v_mad_legacy_u16 v39, v40, v42, v39
	v_mov_b32_e32 v40, s21
	v_add_co_u32_e32 v52, vcc, s20, v8
	v_addc_co_u32_e32 v53, vcc, v29, v40, vcc
	global_store_short v[52:53], v39, off
	s_or_b64 exec, exec, s[8:9]
	s_and_saveexec_b64 s[8:9], s[0:1]
	s_cbranch_execz .LBB4_20
.LBB4_25:                               ;   in Loop: Header=BB4_4 Depth=1
	s_waitcnt vmcnt(0)
	v_mul_lo_u16_e32 v39, s28, v43
	v_mad_legacy_u16 v39, v39, v45, v41
	v_mov_b32_e32 v41, s21
	v_add_co_u32_e32 v40, vcc, s20, v32
	v_addc_co_u32_e32 v41, vcc, v31, v41, vcc
	global_store_short v[40:41], v39, off
	s_or_b64 exec, exec, s[8:9]
	s_and_saveexec_b64 s[0:1], s[2:3]
	s_cbranch_execz .LBB4_21
.LBB4_26:                               ;   in Loop: Header=BB4_4 Depth=1
	s_waitcnt vmcnt(0)
	v_mul_lo_u16_e32 v39, s28, v46
	v_mov_b32_e32 v41, s21
	v_add_co_u32_e32 v40, vcc, s20, v24
	v_mad_legacy_u16 v39, v39, v48, v44
	v_addc_co_u32_e32 v41, vcc, v19, v41, vcc
	global_store_short v[40:41], v39, off
	s_or_b64 exec, exec, s[0:1]
	s_and_saveexec_b64 s[0:1], s[6:7]
	s_cbranch_execz .LBB4_3
.LBB4_27:                               ;   in Loop: Header=BB4_4 Depth=1
	s_waitcnt vmcnt(0)
	v_mul_lo_u16_e32 v39, s28, v49
	v_mov_b32_e32 v41, s21
	v_add_co_u32_e32 v40, vcc, s20, v16
	v_mad_legacy_u16 v39, v39, v50, v47
	v_addc_co_u32_e32 v41, vcc, v11, v41, vcc
	global_store_short v[40:41], v39, off
	s_branch .LBB4_3
.LBB4_28:
	s_mov_b64 s[0:1], 0
.LBB4_29:
	s_andn2_b64 vcc, exec, s[0:1]
	s_cbranch_vccnz .LBB4_33
; %bb.30:
	v_mov_b32_e32 v3, 0
	v_lshlrev_b32_e32 v2, 2, v0
	s_mov_b32 s0, 0
	v_cmp_gt_i64_e32 vcc, s[18:19], v[2:3]
	s_and_saveexec_b64 s[2:3], vcc
	s_cbranch_execz .LBB4_33
; %bb.31:
	s_load_dword s1, s[4:5], 0xbfc
	v_lshlrev_b32_e32 v1, 3, v0
	v_mov_b32_e32 v2, s21
	v_add_co_u32_e32 v4, vcc, s20, v1
	s_waitcnt lgkmcnt(0)
	s_and_b32 s1, s1, 0xffff
	v_addc_co_u32_e32 v1, vcc, 0, v2, vcc
	s_lshl_b32 s8, s1, 3
	v_add_lshl_u32 v2, v0, s1, 2
	s_lshl_b32 s9, s1, 2
	s_mov_b64 s[4:5], 0
	v_mov_b32_e32 v0, s11
	v_mov_b32_e32 v5, s13
	;; [unrolled: 1-line block ×4, first 2 shown]
	s_mov_b64 s[6:7], 0xffff
	v_mov_b32_e32 v8, s0
	v_mov_b32_e32 v9, s0
.LBB4_32:                               ; =>This Inner Loop Header: Depth=1
	v_add_co_u32_e32 v10, vcc, s10, v4
	v_addc_co_u32_e32 v11, vcc, v0, v1, vcc
	v_add_co_u32_e32 v12, vcc, s12, v4
	v_addc_co_u32_e32 v13, vcc, v5, v1, vcc
	;; [unrolled: 2-line block ×3, first 2 shown]
	global_load_dwordx2 v[16:17], v[12:13], off
	global_load_dwordx2 v[18:19], v[10:11], off
	;; [unrolled: 1-line block ×3, first 2 shown]
	v_add_co_u32_e32 v10, vcc, s16, v4
	v_addc_co_u32_e32 v11, vcc, v7, v1, vcc
	v_cmp_le_i64_e32 vcc, s[18:19], v[2:3]
	v_cmp_lt_u64_e64 s[0:1], s[6:7], v[2:3]
	v_add_co_u32_e64 v4, s[2:3], s8, v4
	v_addc_co_u32_e64 v1, s[2:3], v1, v8, s[2:3]
	s_or_b64 s[0:1], vcc, s[0:1]
	v_add_co_u32_e64 v2, s[2:3], s9, v2
	s_and_b64 s[0:1], exec, s[0:1]
	v_addc_co_u32_e64 v3, s[2:3], v3, v9, s[2:3]
	s_or_b64 s[4:5], s[0:1], s[4:5]
	s_waitcnt vmcnt(2)
	v_mul_lo_u16_e32 v12, s28, v16
	s_waitcnt vmcnt(1)
	v_lshrrev_b32_e32 v13, 16, v18
	s_waitcnt vmcnt(0)
	v_lshrrev_b32_e32 v14, 16, v20
	v_mul_lo_u16_sdwa v15, v16, s28 dst_sel:DWORD dst_unused:UNUSED_PAD src0_sel:WORD_1 src1_sel:DWORD
	v_mul_lo_u16_e32 v16, s28, v17
	v_lshrrev_b32_e32 v22, 16, v19
	v_lshrrev_b32_e32 v23, 16, v21
	v_mul_lo_u16_sdwa v17, v17, s28 dst_sel:DWORD dst_unused:UNUSED_PAD src0_sel:WORD_1 src1_sel:DWORD
	v_mul_lo_u16_e32 v12, v12, v20
	v_mad_legacy_u16 v13, v15, v14, v13
	v_mad_legacy_u16 v15, v17, v23, v22
	v_add_u16_e32 v12, v12, v18
	v_lshlrev_b32_e32 v13, 16, v13
	v_mad_legacy_u16 v14, v16, v21, v19
	v_lshlrev_b32_e32 v15, 16, v15
	v_or_b32_e32 v12, v13, v12
	v_or3_b32 v13, 0, v14, v15
	v_or3_b32 v12, v12, 0, 0
	global_store_dwordx2 v[10:11], v[12:13], off
	s_andn2_b64 exec, exec, s[4:5]
	s_cbranch_execnz .LBB4_32
.LBB4_33:
	s_endpgm
	.section	.rodata,"a",@progbits
	.p2align	6, 0x0
	.amdhsa_kernel _ZN2at6native12_GLOBAL__N_125multi_tensor_apply_kernelINS1_18TensorListMetadataILi4EEENS1_24PointwiseOpScalarFunctorIsLi4ELi3ELi3EEEJSt10multipliesIsEsEEEvT_T0_DpT1_
		.amdhsa_group_segment_fixed_size 0
		.amdhsa_private_segment_fixed_size 0
		.amdhsa_kernarg_size 3312
		.amdhsa_user_sgpr_count 6
		.amdhsa_user_sgpr_private_segment_buffer 1
		.amdhsa_user_sgpr_dispatch_ptr 0
		.amdhsa_user_sgpr_queue_ptr 0
		.amdhsa_user_sgpr_kernarg_segment_ptr 1
		.amdhsa_user_sgpr_dispatch_id 0
		.amdhsa_user_sgpr_flat_scratch_init 0
		.amdhsa_user_sgpr_kernarg_preload_length 0
		.amdhsa_user_sgpr_kernarg_preload_offset 0
		.amdhsa_user_sgpr_private_segment_size 0
		.amdhsa_uses_dynamic_stack 0
		.amdhsa_system_sgpr_private_segment_wavefront_offset 0
		.amdhsa_system_sgpr_workgroup_id_x 1
		.amdhsa_system_sgpr_workgroup_id_y 0
		.amdhsa_system_sgpr_workgroup_id_z 0
		.amdhsa_system_sgpr_workgroup_info 0
		.amdhsa_system_vgpr_workitem_id 0
		.amdhsa_next_free_vgpr 54
		.amdhsa_next_free_sgpr 32
		.amdhsa_accum_offset 56
		.amdhsa_reserve_vcc 1
		.amdhsa_reserve_flat_scratch 0
		.amdhsa_float_round_mode_32 0
		.amdhsa_float_round_mode_16_64 0
		.amdhsa_float_denorm_mode_32 3
		.amdhsa_float_denorm_mode_16_64 3
		.amdhsa_dx10_clamp 1
		.amdhsa_ieee_mode 1
		.amdhsa_fp16_overflow 0
		.amdhsa_tg_split 0
		.amdhsa_exception_fp_ieee_invalid_op 0
		.amdhsa_exception_fp_denorm_src 0
		.amdhsa_exception_fp_ieee_div_zero 0
		.amdhsa_exception_fp_ieee_overflow 0
		.amdhsa_exception_fp_ieee_underflow 0
		.amdhsa_exception_fp_ieee_inexact 0
		.amdhsa_exception_int_div_zero 0
	.end_amdhsa_kernel
	.section	.text._ZN2at6native12_GLOBAL__N_125multi_tensor_apply_kernelINS1_18TensorListMetadataILi4EEENS1_24PointwiseOpScalarFunctorIsLi4ELi3ELi3EEEJSt10multipliesIsEsEEEvT_T0_DpT1_,"axG",@progbits,_ZN2at6native12_GLOBAL__N_125multi_tensor_apply_kernelINS1_18TensorListMetadataILi4EEENS1_24PointwiseOpScalarFunctorIsLi4ELi3ELi3EEEJSt10multipliesIsEsEEEvT_T0_DpT1_,comdat
.Lfunc_end4:
	.size	_ZN2at6native12_GLOBAL__N_125multi_tensor_apply_kernelINS1_18TensorListMetadataILi4EEENS1_24PointwiseOpScalarFunctorIsLi4ELi3ELi3EEEJSt10multipliesIsEsEEEvT_T0_DpT1_, .Lfunc_end4-_ZN2at6native12_GLOBAL__N_125multi_tensor_apply_kernelINS1_18TensorListMetadataILi4EEENS1_24PointwiseOpScalarFunctorIsLi4ELi3ELi3EEEJSt10multipliesIsEsEEEvT_T0_DpT1_
                                        ; -- End function
	.section	.AMDGPU.csdata,"",@progbits
; Kernel info:
; codeLenInByte = 2152
; NumSgprs: 36
; NumVgprs: 54
; NumAgprs: 0
; TotalNumVgprs: 54
; ScratchSize: 0
; MemoryBound: 0
; FloatMode: 240
; IeeeMode: 1
; LDSByteSize: 0 bytes/workgroup (compile time only)
; SGPRBlocks: 4
; VGPRBlocks: 6
; NumSGPRsForWavesPerEU: 36
; NumVGPRsForWavesPerEU: 54
; AccumOffset: 56
; Occupancy: 8
; WaveLimiterHint : 0
; COMPUTE_PGM_RSRC2:SCRATCH_EN: 0
; COMPUTE_PGM_RSRC2:USER_SGPR: 6
; COMPUTE_PGM_RSRC2:TRAP_HANDLER: 0
; COMPUTE_PGM_RSRC2:TGID_X_EN: 1
; COMPUTE_PGM_RSRC2:TGID_Y_EN: 0
; COMPUTE_PGM_RSRC2:TGID_Z_EN: 0
; COMPUTE_PGM_RSRC2:TIDIG_COMP_CNT: 0
; COMPUTE_PGM_RSRC3_GFX90A:ACCUM_OFFSET: 13
; COMPUTE_PGM_RSRC3_GFX90A:TG_SPLIT: 0
	.section	.text._ZN2at6native12_GLOBAL__N_125multi_tensor_apply_kernelINS1_18TensorListMetadataILi4EEENS1_24PointwiseOpScalarFunctorIdLi4ELi3ELi3EEEJSt10multipliesIdEdEEEvT_T0_DpT1_,"axG",@progbits,_ZN2at6native12_GLOBAL__N_125multi_tensor_apply_kernelINS1_18TensorListMetadataILi4EEENS1_24PointwiseOpScalarFunctorIdLi4ELi3ELi3EEEJSt10multipliesIdEdEEEvT_T0_DpT1_,comdat
	.globl	_ZN2at6native12_GLOBAL__N_125multi_tensor_apply_kernelINS1_18TensorListMetadataILi4EEENS1_24PointwiseOpScalarFunctorIdLi4ELi3ELi3EEEJSt10multipliesIdEdEEEvT_T0_DpT1_ ; -- Begin function _ZN2at6native12_GLOBAL__N_125multi_tensor_apply_kernelINS1_18TensorListMetadataILi4EEENS1_24PointwiseOpScalarFunctorIdLi4ELi3ELi3EEEJSt10multipliesIdEdEEEvT_T0_DpT1_
	.p2align	8
	.type	_ZN2at6native12_GLOBAL__N_125multi_tensor_apply_kernelINS1_18TensorListMetadataILi4EEENS1_24PointwiseOpScalarFunctorIdLi4ELi3ELi3EEEJSt10multipliesIdEdEEEvT_T0_DpT1_,@function
_ZN2at6native12_GLOBAL__N_125multi_tensor_apply_kernelINS1_18TensorListMetadataILi4EEENS1_24PointwiseOpScalarFunctorIdLi4ELi3ELi3EEEJSt10multipliesIdEdEEEvT_T0_DpT1_: ; @_ZN2at6native12_GLOBAL__N_125multi_tensor_apply_kernelINS1_18TensorListMetadataILi4EEENS1_24PointwiseOpScalarFunctorIdLi4ELi3ELi3EEEJSt10multipliesIdEdEEEvT_T0_DpT1_
; %bb.0:
	v_mov_b32_e32 v1, s6
	global_load_ubyte v1, v1, s[4:5] offset:1440
	s_add_u32 s0, s4, s6
	s_mul_hi_u32 s1, s6, 3
	s_mul_i32 s6, s6, 3
	s_addc_u32 s2, s5, 0
	s_add_u32 s0, s0, s6
	s_addc_u32 s1, s2, s1
	s_load_dword s0, s[0:1], 0x6e0
	s_mov_b32 s19, 0
	s_mov_b32 s15, s19
	;; [unrolled: 1-line block ×3, first 2 shown]
	s_waitcnt lgkmcnt(0)
	s_ashr_i32 s1, s0, 31
	s_lshl_b64 s[16:17], s[0:1], 19
	s_waitcnt vmcnt(0)
	v_readfirstlane_b32 s2, v1
	s_lshl_b32 s14, s2, 3
	s_load_dwordx2 s[10:11], s[4:5], s14 offset:0x0
	s_load_dwordx2 s[12:13], s[4:5], 0xbf0
	s_load_dwordx2 s[22:23], s[4:5], s14 offset:0x480
	s_load_dwordx2 s[8:9], s[4:5], s14 offset:0x120
	;; [unrolled: 1-line block ×4, first 2 shown]
	s_waitcnt lgkmcnt(0)
	s_add_u32 s24, s10, s16
	s_addc_u32 s25, s11, s17
	s_and_b32 s18, s24, 31
	s_add_u32 s26, s8, s16
	s_addc_u32 s27, s9, s17
	s_and_b32 s14, s26, 31
	s_cmp_eq_u64 s[14:15], 0
	s_cselect_b64 s[14:15], -1, 0
	s_add_u32 s28, s6, s16
	s_addc_u32 s29, s7, s17
	s_add_u32 s30, s2, s16
	s_addc_u32 s31, s3, s17
	s_or_b32 s20, s30, s28
	s_and_b32 s20, s20, 31
	s_cmp_eq_u32 s20, 0
	s_cselect_b64 s[34:35], -1, 0
	s_lshl_b64 s[0:1], s[0:1], 16
	s_and_b64 s[34:35], s[34:35], s[14:15]
	s_sub_u32 s14, s22, s0
	s_subb_u32 s15, s23, s1
	s_and_b32 s20, s22, 3
	s_or_b64 s[0:1], s[18:19], s[20:21]
	s_cmp_eq_u64 s[0:1], 0
	s_cselect_b64 s[0:1], -1, 0
	s_and_b64 s[18:19], s[34:35], s[0:1]
	s_mov_b64 s[0:1], -1
	s_and_b64 vcc, exec, s[18:19]
	s_cbranch_vccnz .LBB5_29
; %bb.1:
	v_cmp_lt_i64_e64 s[0:1], s[14:15], 1
	s_and_b64 vcc, exec, s[0:1]
	s_cbranch_vccnz .LBB5_28
; %bb.2:
	s_load_dword s0, s[4:5], 0xc04
	v_mov_b32_e32 v2, 0x10000
	v_mov_b32_e32 v3, 0
	v_cmp_lt_u64_e32 vcc, s[14:15], v[2:3]
	v_lshlrev_b32_e32 v30, 3, v0
	s_waitcnt lgkmcnt(0)
	s_and_b32 s22, s0, 0xffff
	s_and_b64 s[0:1], vcc, exec
	v_mov_b32_e32 v21, s11
	v_add_co_u32_e32 v2, vcc, s10, v30
	v_addc_co_u32_e32 v1, vcc, 0, v21, vcc
	v_mov_b32_e32 v31, 0
	v_mov_b32_e32 v23, s9
	v_add_co_u32_e32 v4, vcc, s8, v30
	v_addc_co_u32_e32 v3, vcc, 0, v23, vcc
	v_mad_u64_u32 v[12:13], s[20:21], s22, 24, v[30:31]
	v_add_co_u32_e32 v6, vcc, s10, v12
	v_addc_co_u32_e32 v5, vcc, v21, v13, vcc
	v_add_co_u32_e32 v8, vcc, s8, v12
	v_addc_co_u32_e32 v7, vcc, v23, v13, vcc
	v_mov_b32_e32 v27, s7
	v_add_co_u32_e32 v10, vcc, s6, v12
	v_addc_co_u32_e32 v9, vcc, v27, v13, vcc
	v_mov_b32_e32 v34, s3
	v_add_co_u32_e32 v12, vcc, s2, v12
	s_mul_i32 s36, s22, 3
	v_addc_co_u32_e32 v11, vcc, v34, v13, vcc
	s_cselect_b32 s19, s15, 0
	s_cselect_b32 s18, s14, 0x10000
	v_add_co_u32_e32 v33, vcc, s36, v0
	s_lshl_b32 s3, s22, 4
	v_addc_co_u32_e64 v58, s[20:21], 0, 0, vcc
	v_add_co_u32_e32 v19, vcc, s3, v30
	v_addc_co_u32_e64 v22, s[20:21], 0, 0, vcc
	v_add_co_u32_e32 v14, vcc, s10, v19
	v_addc_co_u32_e32 v13, vcc, v21, v22, vcc
	v_add_co_u32_e32 v16, vcc, s8, v19
	v_addc_co_u32_e32 v15, vcc, v23, v22, vcc
	;; [unrolled: 2-line block ×3, first 2 shown]
	v_add_co_u32_e32 v20, vcc, s2, v19
	s_lshl_b32 s23, s22, 1
	v_addc_co_u32_e32 v19, vcc, v34, v22, vcc
	v_add_co_u32_e32 v59, vcc, s23, v0
	v_addc_co_u32_e64 v60, s[20:21], 0, 0, vcc
	v_add_co_u32_e32 v61, vcc, s22, v0
	v_lshlrev_b32_e32 v29, 3, v61
	v_addc_co_u32_e64 v62, s[20:21], 0, 0, vcc
	v_add_co_u32_e32 v22, vcc, s10, v29
	v_addc_co_u32_e32 v21, vcc, 0, v21, vcc
	v_add_co_u32_e32 v24, vcc, s8, v29
	v_addc_co_u32_e32 v23, vcc, 0, v23, vcc
	v_add_co_u32_e32 v26, vcc, s6, v30
	v_addc_co_u32_e32 v25, vcc, 0, v27, vcc
	v_add_co_u32_e32 v28, vcc, s6, v29
	v_addc_co_u32_e32 v27, vcc, 0, v27, vcc
	v_add_co_u32_e32 v30, vcc, s2, v30
	v_add_co_u32_e64 v32, s[2:3], s2, v29
	s_mov_b32 s33, 0
	v_cmp_eq_f64_e64 s[0:1], s[12:13], 1.0
	s_lshl_b32 s34, s22, 2
	s_lshl_b32 s35, s22, 5
	s_mov_b64 s[20:21], 0
	v_addc_co_u32_e32 v29, vcc, 0, v34, vcc
	v_addc_co_u32_e64 v31, vcc, 0, v34, s[2:3]
	s_branch .LBB5_4
.LBB5_3:                                ;   in Loop: Header=BB5_4 Depth=1
	s_or_b64 exec, exec, s[2:3]
	s_add_u32 s20, s20, s34
	s_addc_u32 s21, s21, 0
	s_waitcnt vmcnt(0)
	v_pk_mov_b32 v[34:35], s[14:15], s[14:15] op_sel:[0,1]
	v_cmp_lt_i64_e32 vcc, s[20:21], v[34:35]
	v_mov_b32_e32 v34, 0x10000
	v_mov_b32_e32 v35, 0
	v_cmp_lt_u64_e64 s[2:3], s[20:21], v[34:35]
	s_and_b64 s[2:3], vcc, s[2:3]
	v_mov_b32_e32 v34, s33
	v_add_co_u32_e32 v2, vcc, s35, v2
	v_addc_co_u32_e32 v1, vcc, v1, v34, vcc
	v_add_co_u32_e32 v4, vcc, s35, v4
	v_addc_co_u32_e32 v3, vcc, v3, v34, vcc
	;; [unrolled: 2-line block ×16, first 2 shown]
	s_and_b64 vcc, exec, s[2:3]
	s_cbranch_vccz .LBB5_28
.LBB5_4:                                ; =>This Inner Loop Header: Depth=1
	v_mov_b32_e32 v35, s21
	v_add_co_u32_e32 v34, vcc, s20, v0
	v_addc_co_u32_e32 v35, vcc, 0, v35, vcc
	v_cmp_gt_u64_e32 vcc, s[18:19], v[34:35]
	v_pk_mov_b32 v[34:35], 0, 0
	v_pk_mov_b32 v[36:37], v[34:35], v[34:35] op_sel:[0,1]
	v_pk_mov_b32 v[38:39], v[34:35], v[34:35] op_sel:[0,1]
	s_and_saveexec_b64 s[6:7], vcc
	s_cbranch_execz .LBB5_6
; %bb.5:                                ;   in Loop: Header=BB5_4 Depth=1
	v_mov_b32_e32 v36, s17
	v_add_co_u32_e64 v40, s[2:3], s16, v2
	v_addc_co_u32_e64 v41, s[2:3], v1, v36, s[2:3]
	v_add_co_u32_e64 v42, s[2:3], s16, v4
	v_addc_co_u32_e64 v43, s[2:3], v3, v36, s[2:3]
	global_load_dwordx2 v[36:37], v[40:41], off
	global_load_dwordx2 v[38:39], v[42:43], off
.LBB5_6:                                ;   in Loop: Header=BB5_4 Depth=1
	s_or_b64 exec, exec, s[6:7]
	s_and_saveexec_b64 s[6:7], vcc
	s_cbranch_execz .LBB5_8
; %bb.7:                                ;   in Loop: Header=BB5_4 Depth=1
	v_mov_b32_e32 v35, s17
	v_add_co_u32_e64 v34, s[2:3], s16, v26
	v_addc_co_u32_e64 v35, s[2:3], v25, v35, s[2:3]
	global_load_dwordx2 v[34:35], v[34:35], off
.LBB5_8:                                ;   in Loop: Header=BB5_4 Depth=1
	s_or_b64 exec, exec, s[6:7]
	v_mov_b32_e32 v41, s21
	v_add_co_u32_e64 v40, s[2:3], s20, v61
	v_addc_co_u32_e64 v41, s[2:3], v62, v41, s[2:3]
	v_cmp_gt_u64_e64 s[2:3], s[18:19], v[40:41]
	v_pk_mov_b32 v[40:41], 0, 0
	v_pk_mov_b32 v[42:43], v[40:41], v[40:41] op_sel:[0,1]
	v_pk_mov_b32 v[44:45], v[40:41], v[40:41] op_sel:[0,1]
	s_and_saveexec_b64 s[8:9], s[2:3]
	s_cbranch_execz .LBB5_10
; %bb.9:                                ;   in Loop: Header=BB5_4 Depth=1
	v_mov_b32_e32 v42, s17
	v_add_co_u32_e64 v46, s[6:7], s16, v22
	v_addc_co_u32_e64 v47, s[6:7], v21, v42, s[6:7]
	v_add_co_u32_e64 v48, s[6:7], s16, v24
	v_addc_co_u32_e64 v49, s[6:7], v23, v42, s[6:7]
	global_load_dwordx2 v[42:43], v[46:47], off
	global_load_dwordx2 v[44:45], v[48:49], off
.LBB5_10:                               ;   in Loop: Header=BB5_4 Depth=1
	s_or_b64 exec, exec, s[8:9]
	s_and_saveexec_b64 s[8:9], s[2:3]
	s_cbranch_execz .LBB5_12
; %bb.11:                               ;   in Loop: Header=BB5_4 Depth=1
	v_mov_b32_e32 v41, s17
	v_add_co_u32_e64 v40, s[6:7], s16, v28
	v_addc_co_u32_e64 v41, s[6:7], v27, v41, s[6:7]
	global_load_dwordx2 v[40:41], v[40:41], off
.LBB5_12:                               ;   in Loop: Header=BB5_4 Depth=1
	s_or_b64 exec, exec, s[8:9]
	v_mov_b32_e32 v47, s21
	v_add_co_u32_e64 v46, s[6:7], s20, v59
	v_addc_co_u32_e64 v47, s[6:7], v60, v47, s[6:7]
	v_cmp_gt_u64_e64 s[6:7], s[18:19], v[46:47]
	v_pk_mov_b32 v[46:47], 0, 0
	v_pk_mov_b32 v[48:49], v[46:47], v[46:47] op_sel:[0,1]
	v_pk_mov_b32 v[50:51], v[46:47], v[46:47] op_sel:[0,1]
	s_and_saveexec_b64 s[10:11], s[6:7]
	s_cbranch_execz .LBB5_14
; %bb.13:                               ;   in Loop: Header=BB5_4 Depth=1
	v_mov_b32_e32 v48, s17
	v_add_co_u32_e64 v52, s[8:9], s16, v14
	v_addc_co_u32_e64 v53, s[8:9], v13, v48, s[8:9]
	v_add_co_u32_e64 v54, s[8:9], s16, v16
	v_addc_co_u32_e64 v55, s[8:9], v15, v48, s[8:9]
	global_load_dwordx2 v[48:49], v[52:53], off
	global_load_dwordx2 v[50:51], v[54:55], off
.LBB5_14:                               ;   in Loop: Header=BB5_4 Depth=1
	s_or_b64 exec, exec, s[10:11]
	s_and_saveexec_b64 s[10:11], s[6:7]
	s_cbranch_execz .LBB5_16
; %bb.15:                               ;   in Loop: Header=BB5_4 Depth=1
	v_mov_b32_e32 v47, s17
	v_add_co_u32_e64 v46, s[8:9], s16, v18
	v_addc_co_u32_e64 v47, s[8:9], v17, v47, s[8:9]
	global_load_dwordx2 v[46:47], v[46:47], off
.LBB5_16:                               ;   in Loop: Header=BB5_4 Depth=1
	s_or_b64 exec, exec, s[10:11]
	v_mov_b32_e32 v53, s21
	v_add_co_u32_e64 v52, s[8:9], s20, v33
	v_addc_co_u32_e64 v53, s[8:9], v58, v53, s[8:9]
	v_cmp_gt_u64_e64 s[8:9], s[18:19], v[52:53]
	v_pk_mov_b32 v[52:53], 0, 0
	v_pk_mov_b32 v[54:55], v[52:53], v[52:53] op_sel:[0,1]
	v_pk_mov_b32 v[56:57], v[52:53], v[52:53] op_sel:[0,1]
	s_and_saveexec_b64 s[22:23], s[8:9]
	s_cbranch_execnz .LBB5_22
; %bb.17:                               ;   in Loop: Header=BB5_4 Depth=1
	s_or_b64 exec, exec, s[22:23]
	s_and_saveexec_b64 s[22:23], s[8:9]
	s_cbranch_execnz .LBB5_23
.LBB5_18:                               ;   in Loop: Header=BB5_4 Depth=1
	s_or_b64 exec, exec, s[22:23]
	s_and_saveexec_b64 s[10:11], vcc
	s_cbranch_execnz .LBB5_24
.LBB5_19:                               ;   in Loop: Header=BB5_4 Depth=1
	s_or_b64 exec, exec, s[10:11]
	s_and_saveexec_b64 s[10:11], s[2:3]
	s_cbranch_execnz .LBB5_25
.LBB5_20:                               ;   in Loop: Header=BB5_4 Depth=1
	s_or_b64 exec, exec, s[10:11]
	s_and_saveexec_b64 s[2:3], s[6:7]
	s_cbranch_execnz .LBB5_26
.LBB5_21:                               ;   in Loop: Header=BB5_4 Depth=1
	s_or_b64 exec, exec, s[2:3]
	s_and_saveexec_b64 s[2:3], s[8:9]
	s_cbranch_execz .LBB5_3
	s_branch .LBB5_27
.LBB5_22:                               ;   in Loop: Header=BB5_4 Depth=1
	v_mov_b32_e32 v54, s17
	v_add_co_u32_e64 v64, s[10:11], s16, v6
	v_addc_co_u32_e64 v65, s[10:11], v5, v54, s[10:11]
	v_add_co_u32_e64 v66, s[10:11], s16, v8
	v_addc_co_u32_e64 v67, s[10:11], v7, v54, s[10:11]
	global_load_dwordx2 v[54:55], v[64:65], off
	global_load_dwordx2 v[56:57], v[66:67], off
	s_or_b64 exec, exec, s[22:23]
	s_and_saveexec_b64 s[22:23], s[8:9]
	s_cbranch_execz .LBB5_18
.LBB5_23:                               ;   in Loop: Header=BB5_4 Depth=1
	v_mov_b32_e32 v53, s17
	v_add_co_u32_e64 v52, s[10:11], s16, v10
	v_addc_co_u32_e64 v53, s[10:11], v9, v53, s[10:11]
	global_load_dwordx2 v[52:53], v[52:53], off
	s_or_b64 exec, exec, s[22:23]
	s_and_saveexec_b64 s[10:11], vcc
	s_cbranch_execz .LBB5_19
.LBB5_24:                               ;   in Loop: Header=BB5_4 Depth=1
	s_waitcnt vmcnt(0)
	v_fma_f64 v[64:65], v[38:39], v[34:35], v[36:37]
	v_mul_f64 v[34:35], v[38:39], v[34:35]
	v_fmac_f64_e32 v[36:37], s[12:13], v[34:35]
	v_cndmask_b32_e64 v35, v37, v65, s[0:1]
	v_cndmask_b32_e64 v34, v36, v64, s[0:1]
	v_mov_b32_e32 v37, s17
	v_add_co_u32_e32 v36, vcc, s16, v30
	v_addc_co_u32_e32 v37, vcc, v29, v37, vcc
	global_store_dwordx2 v[36:37], v[34:35], off
	s_or_b64 exec, exec, s[10:11]
	s_and_saveexec_b64 s[10:11], s[2:3]
	s_cbranch_execz .LBB5_20
.LBB5_25:                               ;   in Loop: Header=BB5_4 Depth=1
	s_waitcnt vmcnt(0)
	v_mul_f64 v[36:37], v[44:45], v[40:41]
	v_fma_f64 v[34:35], v[44:45], v[40:41], v[42:43]
	v_fmac_f64_e32 v[42:43], s[12:13], v[36:37]
	v_mov_b32_e32 v37, s17
	v_add_co_u32_e32 v36, vcc, s16, v32
	v_cndmask_b32_e64 v35, v43, v35, s[0:1]
	v_cndmask_b32_e64 v34, v42, v34, s[0:1]
	v_addc_co_u32_e32 v37, vcc, v31, v37, vcc
	global_store_dwordx2 v[36:37], v[34:35], off
	s_or_b64 exec, exec, s[10:11]
	s_and_saveexec_b64 s[2:3], s[6:7]
	s_cbranch_execz .LBB5_21
.LBB5_26:                               ;   in Loop: Header=BB5_4 Depth=1
	s_waitcnt vmcnt(0)
	v_mul_f64 v[36:37], v[50:51], v[46:47]
	v_fma_f64 v[34:35], v[50:51], v[46:47], v[48:49]
	v_fmac_f64_e32 v[48:49], s[12:13], v[36:37]
	v_mov_b32_e32 v37, s17
	v_add_co_u32_e32 v36, vcc, s16, v20
	v_cndmask_b32_e64 v35, v49, v35, s[0:1]
	v_cndmask_b32_e64 v34, v48, v34, s[0:1]
	v_addc_co_u32_e32 v37, vcc, v19, v37, vcc
	global_store_dwordx2 v[36:37], v[34:35], off
	s_or_b64 exec, exec, s[2:3]
	s_and_saveexec_b64 s[2:3], s[8:9]
	s_cbranch_execz .LBB5_3
.LBB5_27:                               ;   in Loop: Header=BB5_4 Depth=1
	s_waitcnt vmcnt(0)
	v_mul_f64 v[36:37], v[56:57], v[52:53]
	v_fma_f64 v[34:35], v[56:57], v[52:53], v[54:55]
	v_fmac_f64_e32 v[54:55], s[12:13], v[36:37]
	v_mov_b32_e32 v37, s17
	v_add_co_u32_e32 v36, vcc, s16, v12
	v_cndmask_b32_e64 v35, v55, v35, s[0:1]
	v_cndmask_b32_e64 v34, v54, v34, s[0:1]
	v_addc_co_u32_e32 v37, vcc, v11, v37, vcc
	global_store_dwordx2 v[36:37], v[34:35], off
	s_branch .LBB5_3
.LBB5_28:
	s_mov_b64 s[0:1], 0
.LBB5_29:
	s_andn2_b64 vcc, exec, s[0:1]
	s_cbranch_vccnz .LBB5_33
; %bb.30:
	v_mov_b32_e32 v3, 0
	v_lshlrev_b32_e32 v2, 2, v0
	s_mov_b32 s0, 0
	v_cmp_gt_i64_e32 vcc, s[14:15], v[2:3]
	s_and_saveexec_b64 s[2:3], vcc
	s_cbranch_execz .LBB5_33
; %bb.31:
	s_load_dword s1, s[4:5], 0xc04
	v_cmp_eq_f64_e64 vcc, s[12:13], 1.0
	v_lshlrev_b32_e32 v4, 5, v0
	s_mov_b64 s[6:7], 0
	s_mov_b64 s[8:9], 0xffff
	s_waitcnt lgkmcnt(0)
	s_and_b32 s1, s1, 0xffff
	v_add_lshl_u32 v2, v0, s1, 2
	s_lshl_b32 s10, s1, 2
	s_lshl_b32 s11, s1, 5
	v_mov_b32_e32 v0, s0
.LBB5_32:                               ; =>This Inner Loop Header: Depth=1
	v_mov_b32_e32 v1, s25
	v_add_co_u32_e64 v34, s[4:5], s24, v4
	v_mov_b32_e32 v5, s27
	v_add_co_u32_e64 v30, s[0:1], s26, v4
	;; [unrolled: 2-line block ×3, first 2 shown]
	v_addc_co_u32_e64 v35, s[4:5], 0, v1, s[4:5]
	v_addc_co_u32_e64 v31, s[0:1], 0, v5, s[0:1]
	;; [unrolled: 1-line block ×3, first 2 shown]
	global_load_dwordx4 v[6:9], v[34:35], off
	global_load_dwordx4 v[10:13], v[30:31], off
	;; [unrolled: 1-line block ×3, first 2 shown]
	global_load_dwordx4 v[18:21], v[30:31], off offset:16
	global_load_dwordx4 v[22:25], v[32:33], off offset:16
	;; [unrolled: 1-line block ×3, first 2 shown]
	v_cmp_le_i64_e64 s[0:1], s[14:15], v[2:3]
	v_cmp_lt_u64_e64 s[2:3], s[8:9], v[2:3]
	s_or_b64 s[0:1], s[0:1], s[2:3]
	v_add_co_u32_e64 v2, s[4:5], s10, v2
	s_add_u32 s24, s24, s11
	v_addc_co_u32_e64 v3, s[4:5], v3, v0, s[4:5]
	s_addc_u32 s25, s25, 0
	v_add_co_u32_e64 v30, s[4:5], s30, v4
	s_add_u32 s30, s30, s11
	v_mov_b32_e32 v1, s31
	s_addc_u32 s31, s31, 0
	s_add_u32 s26, s26, s11
	s_addc_u32 s27, s27, 0
	s_add_u32 s28, s28, s11
	s_addc_u32 s29, s29, 0
	s_and_b64 s[0:1], exec, s[0:1]
	v_addc_co_u32_e64 v31, s[4:5], 0, v1, s[4:5]
	s_or_b64 s[6:7], s[0:1], s[6:7]
	s_waitcnt vmcnt(3)
	v_fma_f64 v[32:33], v[10:11], v[14:15], v[6:7]
	v_mul_f64 v[10:11], v[10:11], v[14:15]
	v_fma_f64 v[14:15], v[12:13], v[16:17], v[8:9]
	v_mul_f64 v[12:13], v[12:13], v[16:17]
	s_waitcnt vmcnt(0)
	v_fma_f64 v[16:17], v[18:19], v[22:23], v[26:27]
	v_mul_f64 v[18:19], v[18:19], v[22:23]
	v_fma_f64 v[22:23], v[20:21], v[24:25], v[28:29]
	v_mul_f64 v[20:21], v[20:21], v[24:25]
	v_fmac_f64_e32 v[6:7], s[12:13], v[10:11]
	v_fmac_f64_e32 v[8:9], s[12:13], v[12:13]
	;; [unrolled: 1-line block ×4, first 2 shown]
	v_cndmask_b32_e32 v7, v7, v33, vcc
	v_cndmask_b32_e32 v6, v6, v32, vcc
	;; [unrolled: 1-line block ×8, first 2 shown]
	global_store_dwordx4 v[30:31], v[6:9], off
	global_store_dwordx4 v[30:31], v[10:13], off offset:16
	s_andn2_b64 exec, exec, s[6:7]
	s_cbranch_execnz .LBB5_32
.LBB5_33:
	s_endpgm
	.section	.rodata,"a",@progbits
	.p2align	6, 0x0
	.amdhsa_kernel _ZN2at6native12_GLOBAL__N_125multi_tensor_apply_kernelINS1_18TensorListMetadataILi4EEENS1_24PointwiseOpScalarFunctorIdLi4ELi3ELi3EEEJSt10multipliesIdEdEEEvT_T0_DpT1_
		.amdhsa_group_segment_fixed_size 0
		.amdhsa_private_segment_fixed_size 0
		.amdhsa_kernarg_size 3320
		.amdhsa_user_sgpr_count 6
		.amdhsa_user_sgpr_private_segment_buffer 1
		.amdhsa_user_sgpr_dispatch_ptr 0
		.amdhsa_user_sgpr_queue_ptr 0
		.amdhsa_user_sgpr_kernarg_segment_ptr 1
		.amdhsa_user_sgpr_dispatch_id 0
		.amdhsa_user_sgpr_flat_scratch_init 0
		.amdhsa_user_sgpr_kernarg_preload_length 0
		.amdhsa_user_sgpr_kernarg_preload_offset 0
		.amdhsa_user_sgpr_private_segment_size 0
		.amdhsa_uses_dynamic_stack 0
		.amdhsa_system_sgpr_private_segment_wavefront_offset 0
		.amdhsa_system_sgpr_workgroup_id_x 1
		.amdhsa_system_sgpr_workgroup_id_y 0
		.amdhsa_system_sgpr_workgroup_id_z 0
		.amdhsa_system_sgpr_workgroup_info 0
		.amdhsa_system_vgpr_workitem_id 0
		.amdhsa_next_free_vgpr 68
		.amdhsa_next_free_sgpr 37
		.amdhsa_accum_offset 68
		.amdhsa_reserve_vcc 1
		.amdhsa_reserve_flat_scratch 0
		.amdhsa_float_round_mode_32 0
		.amdhsa_float_round_mode_16_64 0
		.amdhsa_float_denorm_mode_32 3
		.amdhsa_float_denorm_mode_16_64 3
		.amdhsa_dx10_clamp 1
		.amdhsa_ieee_mode 1
		.amdhsa_fp16_overflow 0
		.amdhsa_tg_split 0
		.amdhsa_exception_fp_ieee_invalid_op 0
		.amdhsa_exception_fp_denorm_src 0
		.amdhsa_exception_fp_ieee_div_zero 0
		.amdhsa_exception_fp_ieee_overflow 0
		.amdhsa_exception_fp_ieee_underflow 0
		.amdhsa_exception_fp_ieee_inexact 0
		.amdhsa_exception_int_div_zero 0
	.end_amdhsa_kernel
	.section	.text._ZN2at6native12_GLOBAL__N_125multi_tensor_apply_kernelINS1_18TensorListMetadataILi4EEENS1_24PointwiseOpScalarFunctorIdLi4ELi3ELi3EEEJSt10multipliesIdEdEEEvT_T0_DpT1_,"axG",@progbits,_ZN2at6native12_GLOBAL__N_125multi_tensor_apply_kernelINS1_18TensorListMetadataILi4EEENS1_24PointwiseOpScalarFunctorIdLi4ELi3ELi3EEEJSt10multipliesIdEdEEEvT_T0_DpT1_,comdat
.Lfunc_end5:
	.size	_ZN2at6native12_GLOBAL__N_125multi_tensor_apply_kernelINS1_18TensorListMetadataILi4EEENS1_24PointwiseOpScalarFunctorIdLi4ELi3ELi3EEEJSt10multipliesIdEdEEEvT_T0_DpT1_, .Lfunc_end5-_ZN2at6native12_GLOBAL__N_125multi_tensor_apply_kernelINS1_18TensorListMetadataILi4EEENS1_24PointwiseOpScalarFunctorIdLi4ELi3ELi3EEEJSt10multipliesIdEdEEEvT_T0_DpT1_
                                        ; -- End function
	.section	.AMDGPU.csdata,"",@progbits
; Kernel info:
; codeLenInByte = 2180
; NumSgprs: 41
; NumVgprs: 68
; NumAgprs: 0
; TotalNumVgprs: 68
; ScratchSize: 0
; MemoryBound: 0
; FloatMode: 240
; IeeeMode: 1
; LDSByteSize: 0 bytes/workgroup (compile time only)
; SGPRBlocks: 5
; VGPRBlocks: 8
; NumSGPRsForWavesPerEU: 41
; NumVGPRsForWavesPerEU: 68
; AccumOffset: 68
; Occupancy: 7
; WaveLimiterHint : 0
; COMPUTE_PGM_RSRC2:SCRATCH_EN: 0
; COMPUTE_PGM_RSRC2:USER_SGPR: 6
; COMPUTE_PGM_RSRC2:TRAP_HANDLER: 0
; COMPUTE_PGM_RSRC2:TGID_X_EN: 1
; COMPUTE_PGM_RSRC2:TGID_Y_EN: 0
; COMPUTE_PGM_RSRC2:TGID_Z_EN: 0
; COMPUTE_PGM_RSRC2:TIDIG_COMP_CNT: 0
; COMPUTE_PGM_RSRC3_GFX90A:ACCUM_OFFSET: 16
; COMPUTE_PGM_RSRC3_GFX90A:TG_SPLIT: 0
	.section	.text._ZN2at6native12_GLOBAL__N_125multi_tensor_apply_kernelINS1_18TensorListMetadataILi4EEENS1_24PointwiseOpScalarFunctorIfLi4ELi3ELi3EEEJSt10multipliesIfEfEEEvT_T0_DpT1_,"axG",@progbits,_ZN2at6native12_GLOBAL__N_125multi_tensor_apply_kernelINS1_18TensorListMetadataILi4EEENS1_24PointwiseOpScalarFunctorIfLi4ELi3ELi3EEEJSt10multipliesIfEfEEEvT_T0_DpT1_,comdat
	.globl	_ZN2at6native12_GLOBAL__N_125multi_tensor_apply_kernelINS1_18TensorListMetadataILi4EEENS1_24PointwiseOpScalarFunctorIfLi4ELi3ELi3EEEJSt10multipliesIfEfEEEvT_T0_DpT1_ ; -- Begin function _ZN2at6native12_GLOBAL__N_125multi_tensor_apply_kernelINS1_18TensorListMetadataILi4EEENS1_24PointwiseOpScalarFunctorIfLi4ELi3ELi3EEEJSt10multipliesIfEfEEEvT_T0_DpT1_
	.p2align	8
	.type	_ZN2at6native12_GLOBAL__N_125multi_tensor_apply_kernelINS1_18TensorListMetadataILi4EEENS1_24PointwiseOpScalarFunctorIfLi4ELi3ELi3EEEJSt10multipliesIfEfEEEvT_T0_DpT1_,@function
_ZN2at6native12_GLOBAL__N_125multi_tensor_apply_kernelINS1_18TensorListMetadataILi4EEENS1_24PointwiseOpScalarFunctorIfLi4ELi3ELi3EEEJSt10multipliesIfEfEEEvT_T0_DpT1_: ; @_ZN2at6native12_GLOBAL__N_125multi_tensor_apply_kernelINS1_18TensorListMetadataILi4EEENS1_24PointwiseOpScalarFunctorIfLi4ELi3ELi3EEEJSt10multipliesIfEfEEEvT_T0_DpT1_
; %bb.0:
	v_mov_b32_e32 v1, s6
	global_load_ubyte v1, v1, s[4:5] offset:1440
	s_add_u32 s0, s4, s6
	s_mul_hi_u32 s1, s6, 3
	s_mul_i32 s6, s6, 3
	s_addc_u32 s2, s5, 0
	s_add_u32 s0, s0, s6
	s_addc_u32 s1, s2, s1
	s_load_dword s0, s[0:1], 0x6e0
	s_mov_b32 s3, 0
	s_mov_b32 s13, s3
	;; [unrolled: 1-line block ×3, first 2 shown]
	s_waitcnt lgkmcnt(0)
	s_ashr_i32 s1, s0, 31
	s_lshl_b64 s[14:15], s[0:1], 18
	s_waitcnt vmcnt(0)
	v_readfirstlane_b32 s2, v1
	s_lshl_b32 s2, s2, 3
	s_load_dwordx2 s[20:21], s[4:5], s2 offset:0x0
	s_load_dword s24, s[4:5], 0xbec
	s_load_dwordx2 s[18:19], s[4:5], s2 offset:0x480
	s_load_dwordx2 s[10:11], s[4:5], s2 offset:0x120
	s_load_dwordx2 s[8:9], s[4:5], s2 offset:0x240
	s_load_dwordx2 s[6:7], s[4:5], s2 offset:0x360
	s_waitcnt lgkmcnt(0)
	s_add_u32 s25, s20, s14
	s_addc_u32 s26, s21, s15
	s_and_b32 s2, s25, 15
	s_add_u32 s27, s10, s14
	s_addc_u32 s28, s11, s15
	s_and_b32 s12, s27, 15
	s_cmp_eq_u64 s[12:13], 0
	s_cselect_b64 s[12:13], -1, 0
	s_add_u32 s29, s8, s14
	s_addc_u32 s30, s9, s15
	s_add_u32 s31, s6, s14
	s_addc_u32 s33, s7, s15
	s_or_b32 s16, s31, s29
	s_and_b32 s16, s16, 15
	s_cmp_eq_u32 s16, 0
	s_cselect_b64 s[22:23], -1, 0
	s_lshl_b64 s[0:1], s[0:1], 16
	s_and_b64 s[22:23], s[22:23], s[12:13]
	s_sub_u32 s12, s18, s0
	s_subb_u32 s13, s19, s1
	s_and_b32 s16, s18, 3
	s_or_b64 s[0:1], s[2:3], s[16:17]
	s_cmp_eq_u64 s[0:1], 0
	s_cselect_b64 s[0:1], -1, 0
	s_and_b64 s[2:3], s[22:23], s[0:1]
	s_mov_b64 s[0:1], -1
	s_and_b64 vcc, exec, s[2:3]
	s_cbranch_vccnz .LBB6_45
; %bb.1:
	v_cmp_lt_i64_e64 s[0:1], s[12:13], 1
	s_and_b64 vcc, exec, s[0:1]
	s_cbranch_vccnz .LBB6_44
; %bb.2:
	s_load_dword s0, s[4:5], 0xbfc
	v_mov_b32_e32 v19, 0
	v_lshlrev_b32_e32 v18, 2, v0
	v_mov_b32_e32 v21, s21
	v_mov_b32_e32 v23, s11
	s_waitcnt lgkmcnt(0)
	s_and_b32 s22, s0, 0xffff
	v_mad_u64_u32 v[16:17], s[2:3], s22, 12, v[18:19]
	v_add_co_u32_e64 v10, s[2:3], s20, v16
	v_addc_co_u32_e64 v5, s[2:3], v21, v17, s[2:3]
	v_add_co_u32_e64 v12, s[2:3], s10, v16
	v_addc_co_u32_e64 v7, s[2:3], v23, v17, s[2:3]
	v_mov_b32_e32 v27, s9
	v_add_co_u32_e64 v14, s[2:3], s8, v16
	v_addc_co_u32_e64 v9, s[2:3], v27, v17, s[2:3]
	v_mov_b32_e32 v2, 0x10000
	v_mov_b32_e32 v31, s7
	v_add_co_u32_e64 v16, s[2:3], s6, v16
	v_mov_b32_e32 v3, 0
	s_mul_i32 s37, s22, 3
	v_addc_co_u32_e64 v11, s[2:3], v31, v17, s[2:3]
	v_cmp_lt_u64_e32 vcc, s[12:13], v[2:3]
	v_add_co_u32_e64 v33, s[2:3], s37, v0
	s_and_b64 s[0:1], vcc, exec
	v_add_co_u32_e32 v2, vcc, s20, v18
	v_addc_co_u32_e64 v34, s[2:3], 0, 0, s[2:3]
	s_cselect_b32 s17, s13, 0
	s_cselect_b32 s16, s12, 0x10000
	v_addc_co_u32_e32 v1, vcc, 0, v21, vcc
	s_lshl_b32 s2, s22, 3
	v_add_co_u32_e32 v4, vcc, s10, v18
	v_add_co_u32_e64 v19, s[2:3], s2, v18
	v_addc_co_u32_e32 v3, vcc, 0, v23, vcc
	v_addc_co_u32_e64 v25, s[2:3], 0, 0, s[2:3]
	v_add_co_u32_e32 v6, vcc, s8, v18
	v_add_co_u32_e64 v8, s[0:1], s6, v18
	v_add_co_u32_e64 v18, s[2:3], s20, v19
	v_addc_co_u32_e64 v13, s[2:3], v21, v25, s[2:3]
	v_add_co_u32_e64 v20, s[2:3], s10, v19
	v_addc_co_u32_e64 v15, s[2:3], v23, v25, s[2:3]
	;; [unrolled: 2-line block ×3, first 2 shown]
	v_add_co_u32_e64 v24, s[2:3], s6, v19
	s_lshl_b32 s23, s22, 1
	v_addc_co_u32_e64 v19, s[2:3], v31, v25, s[2:3]
	v_add_co_u32_e64 v35, s[2:3], s23, v0
	v_addc_co_u32_e64 v36, s[2:3], 0, 0, s[2:3]
	v_add_co_u32_e64 v37, s[2:3], s22, v0
	v_addc_co_u32_e64 v38, s[2:3], 0, 0, s[2:3]
	v_lshlrev_b32_e32 v29, 2, v37
	v_addc_co_u32_e32 v25, vcc, 0, v27, vcc
	v_add_co_u32_e64 v26, s[2:3], s20, v29
	v_add_co_u32_e32 v30, vcc, s8, v29
	v_addc_co_u32_e64 v21, s[2:3], 0, v21, s[2:3]
	v_addc_co_u32_e32 v27, vcc, 0, v27, vcc
	v_add_co_u32_e64 v28, s[2:3], s10, v29
	v_add_co_u32_e32 v32, vcc, s6, v29
	s_mov_b32 s34, 0
	v_cmp_neq_f32_e64 s[18:19], s24, 1.0
	s_lshl_b32 s35, s22, 2
	s_lshl_b32 s36, s22, 4
	s_mov_b64 s[20:21], 0
	v_addc_co_u32_e64 v23, s[2:3], 0, v23, s[2:3]
	v_addc_co_u32_e64 v29, s[0:1], 0, v31, s[0:1]
	v_addc_co_u32_e32 v31, vcc, 0, v31, vcc
	s_branch .LBB6_4
.LBB6_3:                                ;   in Loop: Header=BB6_4 Depth=1
	s_or_b64 exec, exec, s[0:1]
	v_mov_b32_e32 v39, s34
	v_add_co_u32_e64 v2, s[2:3], s36, v2
	v_addc_co_u32_e64 v1, s[2:3], v1, v39, s[2:3]
	v_add_co_u32_e64 v4, s[2:3], s36, v4
	v_addc_co_u32_e64 v3, s[2:3], v3, v39, s[2:3]
	;; [unrolled: 2-line block ×12, first 2 shown]
	v_add_co_u32_e64 v26, s[2:3], s36, v26
	s_add_u32 s20, s20, s35
	v_addc_co_u32_e64 v21, s[2:3], v21, v39, s[2:3]
	s_addc_u32 s21, s21, 0
	s_waitcnt vmcnt(0)
	v_pk_mov_b32 v[40:41], s[12:13], s[12:13] op_sel:[0,1]
	v_add_co_u32_e64 v28, s[2:3], s36, v28
	v_cmp_ge_i64_e32 vcc, s[20:21], v[40:41]
	v_mov_b32_e32 v40, 0xffff
	v_addc_co_u32_e64 v23, s[2:3], v23, v39, s[2:3]
	v_mov_b32_e32 v41, 0
	v_add_co_u32_e64 v30, s[2:3], s36, v30
	v_cmp_gt_u64_e64 s[0:1], s[20:21], v[40:41]
	v_addc_co_u32_e64 v27, s[2:3], v27, v39, s[2:3]
	v_add_co_u32_e64 v32, s[2:3], s36, v32
	s_or_b64 s[0:1], vcc, s[0:1]
	v_addc_co_u32_e64 v31, s[2:3], v31, v39, s[2:3]
	s_and_b64 vcc, exec, s[0:1]
	s_cbranch_vccnz .LBB6_44
.LBB6_4:                                ; =>This Inner Loop Header: Depth=1
	v_mov_b32_e32 v39, s21
	v_add_co_u32_e32 v40, vcc, s20, v0
	v_addc_co_u32_e32 v41, vcc, 0, v39, vcc
	v_cmp_gt_u64_e64 s[0:1], s[16:17], v[40:41]
	v_mov_b32_e32 v40, 0
	v_mov_b32_e32 v41, 0
	s_and_saveexec_b64 s[2:3], s[0:1]
	s_cbranch_execz .LBB6_6
; %bb.5:                                ;   in Loop: Header=BB6_4 Depth=1
	v_mov_b32_e32 v39, s15
	v_add_co_u32_e32 v42, vcc, s14, v2
	v_addc_co_u32_e32 v43, vcc, v1, v39, vcc
	v_add_co_u32_e32 v44, vcc, s14, v4
	v_addc_co_u32_e32 v45, vcc, v3, v39, vcc
	global_load_dword v40, v[42:43], off
	global_load_dword v41, v[44:45], off
.LBB6_6:                                ;   in Loop: Header=BB6_4 Depth=1
	s_or_b64 exec, exec, s[2:3]
	v_mov_b32_e32 v39, 0
	v_mov_b32_e32 v43, 0
	s_and_saveexec_b64 s[2:3], s[0:1]
	s_cbranch_execz .LBB6_8
; %bb.7:                                ;   in Loop: Header=BB6_4 Depth=1
	v_mov_b32_e32 v43, s15
	v_add_co_u32_e32 v42, vcc, s14, v6
	v_addc_co_u32_e32 v43, vcc, v25, v43, vcc
	global_load_dword v43, v[42:43], off
.LBB6_8:                                ;   in Loop: Header=BB6_4 Depth=1
	s_or_b64 exec, exec, s[2:3]
	v_mov_b32_e32 v42, s21
	v_add_co_u32_e32 v44, vcc, s20, v37
	v_addc_co_u32_e32 v45, vcc, v38, v42, vcc
	v_cmp_gt_u64_e64 s[2:3], s[16:17], v[44:45]
	v_mov_b32_e32 v44, 0
	s_and_saveexec_b64 s[6:7], s[2:3]
	s_cbranch_execz .LBB6_10
; %bb.9:                                ;   in Loop: Header=BB6_4 Depth=1
	v_mov_b32_e32 v39, s15
	v_add_co_u32_e32 v46, vcc, s14, v26
	v_addc_co_u32_e32 v47, vcc, v21, v39, vcc
	v_add_co_u32_e32 v48, vcc, s14, v28
	v_addc_co_u32_e32 v49, vcc, v23, v39, vcc
	global_load_dword v39, v[46:47], off
	global_load_dword v44, v[48:49], off
.LBB6_10:                               ;   in Loop: Header=BB6_4 Depth=1
	s_or_b64 exec, exec, s[6:7]
	v_mov_b32_e32 v42, 0
	v_mov_b32_e32 v45, 0
	s_and_saveexec_b64 s[6:7], s[2:3]
	s_cbranch_execz .LBB6_12
; %bb.11:                               ;   in Loop: Header=BB6_4 Depth=1
	v_mov_b32_e32 v45, s15
	v_add_co_u32_e32 v46, vcc, s14, v30
	v_addc_co_u32_e32 v47, vcc, v27, v45, vcc
	global_load_dword v45, v[46:47], off
.LBB6_12:                               ;   in Loop: Header=BB6_4 Depth=1
	s_or_b64 exec, exec, s[6:7]
	v_mov_b32_e32 v47, s21
	v_add_co_u32_e32 v46, vcc, s20, v35
	v_addc_co_u32_e32 v47, vcc, v36, v47, vcc
	v_cmp_gt_u64_e64 s[6:7], s[16:17], v[46:47]
	v_mov_b32_e32 v47, 0
	s_and_saveexec_b64 s[8:9], s[6:7]
	s_cbranch_execz .LBB6_14
; %bb.13:                               ;   in Loop: Header=BB6_4 Depth=1
	v_mov_b32_e32 v42, s15
	v_add_co_u32_e32 v48, vcc, s14, v18
	v_addc_co_u32_e32 v49, vcc, v13, v42, vcc
	v_add_co_u32_e32 v50, vcc, s14, v20
	v_addc_co_u32_e32 v51, vcc, v15, v42, vcc
	global_load_dword v42, v[48:49], off
	global_load_dword v47, v[50:51], off
.LBB6_14:                               ;   in Loop: Header=BB6_4 Depth=1
	s_or_b64 exec, exec, s[8:9]
	v_mov_b32_e32 v46, 0
	v_mov_b32_e32 v48, 0
	s_and_saveexec_b64 s[8:9], s[6:7]
	s_cbranch_execz .LBB6_16
; %bb.15:                               ;   in Loop: Header=BB6_4 Depth=1
	v_mov_b32_e32 v49, s15
	v_add_co_u32_e32 v48, vcc, s14, v22
	v_addc_co_u32_e32 v49, vcc, v17, v49, vcc
	global_load_dword v48, v[48:49], off
.LBB6_16:                               ;   in Loop: Header=BB6_4 Depth=1
	s_or_b64 exec, exec, s[8:9]
	v_mov_b32_e32 v49, s21
	v_add_co_u32_e32 v50, vcc, s20, v33
	v_addc_co_u32_e32 v51, vcc, v34, v49, vcc
	v_cmp_gt_u64_e64 s[8:9], s[16:17], v[50:51]
	v_mov_b32_e32 v49, 0
	s_and_saveexec_b64 s[10:11], s[8:9]
	s_cbranch_execnz .LBB6_34
; %bb.17:                               ;   in Loop: Header=BB6_4 Depth=1
	s_or_b64 exec, exec, s[10:11]
	v_mov_b32_e32 v50, 0
	s_and_saveexec_b64 s[10:11], s[8:9]
	s_cbranch_execnz .LBB6_35
.LBB6_18:                               ;   in Loop: Header=BB6_4 Depth=1
	s_or_b64 exec, exec, s[10:11]
	s_and_b64 vcc, exec, s[18:19]
	s_cbranch_vccz .LBB6_36
.LBB6_19:                               ;   in Loop: Header=BB6_4 Depth=1
	s_waitcnt vmcnt(0)
	v_mul_f32_e32 v51, v41, v43
	v_fma_f32 v51, s24, v51, v40
	s_cbranch_execnz .LBB6_21
.LBB6_20:                               ;   in Loop: Header=BB6_4 Depth=1
	s_waitcnt vmcnt(0)
	v_fmac_f32_e32 v40, v41, v43
	v_mov_b32_e32 v51, v40
.LBB6_21:                               ;   in Loop: Header=BB6_4 Depth=1
	s_waitcnt vmcnt(1)
	v_cndmask_b32_e64 v40, 0, 1, s[18:19]
	v_cmp_ne_u32_e64 s[10:11], 1, v40
	s_andn2_b64 vcc, exec, s[18:19]
	s_cbranch_vccnz .LBB6_41
; %bb.22:                               ;   in Loop: Header=BB6_4 Depth=1
	s_waitcnt vmcnt(0)
	v_mul_f32_e32 v40, v44, v45
	v_fma_f32 v40, s24, v40, v39
	s_cbranch_execnz .LBB6_24
.LBB6_23:                               ;   in Loop: Header=BB6_4 Depth=1
	s_waitcnt vmcnt(0)
	v_fmac_f32_e32 v39, v44, v45
	v_mov_b32_e32 v40, v39
.LBB6_24:                               ;   in Loop: Header=BB6_4 Depth=1
	s_and_b64 vcc, exec, s[10:11]
	s_cbranch_vccnz .LBB6_42
; %bb.25:                               ;   in Loop: Header=BB6_4 Depth=1
	s_waitcnt vmcnt(0)
	v_mul_f32_e32 v39, v47, v48
	v_fma_f32 v39, s24, v39, v42
	s_cbranch_execnz .LBB6_27
.LBB6_26:                               ;   in Loop: Header=BB6_4 Depth=1
	s_waitcnt vmcnt(0)
	v_fmac_f32_e32 v42, v47, v48
	v_mov_b32_e32 v39, v42
.LBB6_27:                               ;   in Loop: Header=BB6_4 Depth=1
	s_and_b64 vcc, exec, s[10:11]
	s_cbranch_vccnz .LBB6_43
; %bb.28:                               ;   in Loop: Header=BB6_4 Depth=1
	s_waitcnt vmcnt(0)
	v_mul_f32_e32 v41, v49, v50
	v_fma_f32 v41, s24, v41, v46
	s_cbranch_execnz .LBB6_30
.LBB6_29:                               ;   in Loop: Header=BB6_4 Depth=1
	s_waitcnt vmcnt(0)
	v_fmac_f32_e32 v46, v49, v50
	v_mov_b32_e32 v41, v46
.LBB6_30:                               ;   in Loop: Header=BB6_4 Depth=1
	s_and_saveexec_b64 s[10:11], s[0:1]
	s_xor_b64 s[0:1], exec, s[10:11]
	s_cbranch_execnz .LBB6_37
; %bb.31:                               ;   in Loop: Header=BB6_4 Depth=1
	s_or_b64 exec, exec, s[0:1]
	s_and_saveexec_b64 s[0:1], s[2:3]
	s_cbranch_execnz .LBB6_38
.LBB6_32:                               ;   in Loop: Header=BB6_4 Depth=1
	s_or_b64 exec, exec, s[0:1]
	s_and_saveexec_b64 s[0:1], s[6:7]
	s_cbranch_execnz .LBB6_39
.LBB6_33:                               ;   in Loop: Header=BB6_4 Depth=1
	s_or_b64 exec, exec, s[0:1]
	s_and_saveexec_b64 s[0:1], s[8:9]
	s_cbranch_execz .LBB6_3
	s_branch .LBB6_40
.LBB6_34:                               ;   in Loop: Header=BB6_4 Depth=1
	v_mov_b32_e32 v46, s15
	v_add_co_u32_e32 v50, vcc, s14, v10
	v_addc_co_u32_e32 v51, vcc, v5, v46, vcc
	v_add_co_u32_e32 v52, vcc, s14, v12
	v_addc_co_u32_e32 v53, vcc, v7, v46, vcc
	global_load_dword v46, v[50:51], off
	global_load_dword v49, v[52:53], off
	s_or_b64 exec, exec, s[10:11]
	v_mov_b32_e32 v50, 0
	s_and_saveexec_b64 s[10:11], s[8:9]
	s_cbranch_execz .LBB6_18
.LBB6_35:                               ;   in Loop: Header=BB6_4 Depth=1
	v_mov_b32_e32 v51, s15
	v_add_co_u32_e32 v50, vcc, s14, v14
	v_addc_co_u32_e32 v51, vcc, v9, v51, vcc
	global_load_dword v50, v[50:51], off
	s_or_b64 exec, exec, s[10:11]
	s_and_b64 vcc, exec, s[18:19]
	s_cbranch_vccnz .LBB6_19
.LBB6_36:                               ;   in Loop: Header=BB6_4 Depth=1
                                        ; implicit-def: $vgpr51
	s_branch .LBB6_20
.LBB6_37:                               ;   in Loop: Header=BB6_4 Depth=1
	s_waitcnt vmcnt(0)
	v_mov_b32_e32 v43, s15
	v_add_co_u32_e32 v42, vcc, s14, v8
	v_addc_co_u32_e32 v43, vcc, v29, v43, vcc
	global_store_dword v[42:43], v51, off
	s_or_b64 exec, exec, s[0:1]
	s_and_saveexec_b64 s[0:1], s[2:3]
	s_cbranch_execz .LBB6_32
.LBB6_38:                               ;   in Loop: Header=BB6_4 Depth=1
	s_waitcnt vmcnt(0)
	v_mov_b32_e32 v43, s15
	v_add_co_u32_e32 v42, vcc, s14, v32
	v_addc_co_u32_e32 v43, vcc, v31, v43, vcc
	global_store_dword v[42:43], v40, off
	s_or_b64 exec, exec, s[0:1]
	s_and_saveexec_b64 s[0:1], s[6:7]
	s_cbranch_execz .LBB6_33
.LBB6_39:                               ;   in Loop: Header=BB6_4 Depth=1
	v_mov_b32_e32 v40, s15
	v_add_co_u32_e32 v42, vcc, s14, v24
	s_waitcnt vmcnt(0)
	v_addc_co_u32_e32 v43, vcc, v19, v40, vcc
	global_store_dword v[42:43], v39, off
	s_or_b64 exec, exec, s[0:1]
	s_and_saveexec_b64 s[0:1], s[8:9]
	s_cbranch_execz .LBB6_3
.LBB6_40:                               ;   in Loop: Header=BB6_4 Depth=1
	v_mov_b32_e32 v39, s15
	v_add_co_u32_e32 v42, vcc, s14, v16
	s_waitcnt vmcnt(0)
	v_addc_co_u32_e32 v43, vcc, v11, v39, vcc
	global_store_dword v[42:43], v41, off
	s_branch .LBB6_3
.LBB6_41:                               ;   in Loop: Header=BB6_4 Depth=1
                                        ; implicit-def: $vgpr40
	s_branch .LBB6_23
.LBB6_42:                               ;   in Loop: Header=BB6_4 Depth=1
                                        ; implicit-def: $vgpr39
	s_branch .LBB6_26
.LBB6_43:                               ;   in Loop: Header=BB6_4 Depth=1
                                        ; implicit-def: $vgpr41
	s_branch .LBB6_29
.LBB6_44:
	s_mov_b64 s[0:1], 0
.LBB6_45:
	s_andn2_b64 vcc, exec, s[0:1]
	s_cbranch_vccnz .LBB6_65
; %bb.46:
	v_mov_b32_e32 v15, 0
	v_lshlrev_b32_e32 v14, 2, v0
	s_mov_b32 s2, 0
	v_cmp_gt_i64_e32 vcc, s[12:13], v[14:15]
	s_and_saveexec_b64 s[0:1], vcc
	s_cbranch_execz .LBB6_65
; %bb.47:
	s_load_dword s0, s[4:5], 0xbfc
	v_cmp_neq_f32_e64 s[6:7], s24, 1.0
	v_lshlrev_b32_e32 v16, 4, v0
	s_mov_b64 s[4:5], 0
	s_mov_b64 s[8:9], 0xffff
	s_waitcnt lgkmcnt(0)
	s_and_b32 s0, s0, 0xffff
	v_add_lshl_u32 v14, v0, s0, 2
	v_cndmask_b32_e64 v0, 0, 1, s[6:7]
	s_lshl_b32 s10, s0, 2
	s_lshl_b32 s11, s0, 4
	v_cmp_ne_u32_e64 s[0:1], 1, v0
	v_mov_b32_e32 v17, s2
	s_branch .LBB6_49
.LBB6_48:                               ;   in Loop: Header=BB6_49 Depth=1
	s_waitcnt vmcnt(2)
	v_mov_b32_e32 v1, s33
	v_add_co_u32_e32 v0, vcc, s31, v16
	v_addc_co_u32_e32 v1, vcc, 0, v1, vcc
	v_cmp_le_i64_e32 vcc, s[12:13], v[14:15]
	v_cmp_lt_u64_e64 s[2:3], s[8:9], v[14:15]
	s_or_b64 s[2:3], vcc, s[2:3]
	s_add_u32 s25, s25, s11
	s_addc_u32 s26, s26, 0
	s_add_u32 s31, s31, s11
	s_addc_u32 s33, s33, 0
	;; [unrolled: 2-line block ×4, first 2 shown]
	s_and_b64 s[2:3], exec, s[2:3]
	v_add_co_u32_e32 v14, vcc, s10, v14
	s_or_b64 s[4:5], s[2:3], s[4:5]
	v_addc_co_u32_e32 v15, vcc, v15, v17, vcc
	s_waitcnt vmcnt(0)
	global_store_dwordx4 v[0:1], v[8:11], off
	s_andn2_b64 exec, exec, s[4:5]
	s_cbranch_execz .LBB6_65
.LBB6_49:                               ; =>This Inner Loop Header: Depth=1
	v_mov_b32_e32 v1, s26
	v_add_co_u32_e32 v0, vcc, s25, v16
	v_addc_co_u32_e32 v1, vcc, 0, v1, vcc
	v_mov_b32_e32 v5, s28
	v_add_co_u32_e32 v4, vcc, s27, v16
	v_addc_co_u32_e32 v5, vcc, 0, v5, vcc
	;; [unrolled: 3-line block ×3, first 2 shown]
	global_load_dwordx4 v[0:3], v[0:1], off
	s_and_b64 vcc, exec, s[6:7]
	global_load_dwordx4 v[4:7], v[4:5], off
	s_nop 0
	global_load_dwordx4 v[10:13], v[8:9], off
	s_cbranch_vccz .LBB6_60
; %bb.50:                               ;   in Loop: Header=BB6_49 Depth=1
	s_waitcnt vmcnt(0)
	v_mul_f32_e32 v8, v4, v10
	v_fma_f32 v8, s24, v8, v0
	s_cbranch_execnz .LBB6_52
.LBB6_51:                               ;   in Loop: Header=BB6_49 Depth=1
	s_waitcnt vmcnt(0)
	v_fma_f32 v8, v4, v10, v0
.LBB6_52:                               ;   in Loop: Header=BB6_49 Depth=1
	s_and_b64 vcc, exec, s[0:1]
	s_cbranch_vccnz .LBB6_61
; %bb.53:                               ;   in Loop: Header=BB6_49 Depth=1
	s_waitcnt vmcnt(0)
	v_mul_f32_e32 v0, v5, v11
	v_fma_f32 v9, s24, v0, v1
	s_cbranch_execnz .LBB6_55
.LBB6_54:                               ;   in Loop: Header=BB6_49 Depth=1
	s_waitcnt vmcnt(0)
	v_fma_f32 v9, v5, v11, v1
.LBB6_55:                               ;   in Loop: Header=BB6_49 Depth=1
	s_and_b64 vcc, exec, s[0:1]
	s_cbranch_vccnz .LBB6_62
; %bb.56:                               ;   in Loop: Header=BB6_49 Depth=1
	s_waitcnt vmcnt(0)
	v_mul_f32_e32 v0, v6, v12
	v_fma_f32 v10, s24, v0, v2
	s_cbranch_execnz .LBB6_58
.LBB6_57:                               ;   in Loop: Header=BB6_49 Depth=1
	s_waitcnt vmcnt(0)
	v_fma_f32 v10, v6, v12, v2
.LBB6_58:                               ;   in Loop: Header=BB6_49 Depth=1
	s_and_b64 vcc, exec, s[0:1]
	s_cbranch_vccnz .LBB6_63
; %bb.59:                               ;   in Loop: Header=BB6_49 Depth=1
	s_waitcnt vmcnt(0)
	v_mul_f32_e32 v0, v7, v13
	v_fma_f32 v11, s24, v0, v3
	s_cbranch_execnz .LBB6_48
	s_branch .LBB6_64
.LBB6_60:                               ;   in Loop: Header=BB6_49 Depth=1
                                        ; implicit-def: $vgpr8
	s_branch .LBB6_51
.LBB6_61:                               ;   in Loop: Header=BB6_49 Depth=1
	s_branch .LBB6_54
.LBB6_62:                               ;   in Loop: Header=BB6_49 Depth=1
	s_branch .LBB6_57
.LBB6_63:                               ;   in Loop: Header=BB6_49 Depth=1
.LBB6_64:                               ;   in Loop: Header=BB6_49 Depth=1
	s_waitcnt vmcnt(0)
	v_fmac_f32_e32 v3, v7, v13
	v_mov_b32_e32 v11, v3
	s_branch .LBB6_48
.LBB6_65:
	s_endpgm
	.section	.rodata,"a",@progbits
	.p2align	6, 0x0
	.amdhsa_kernel _ZN2at6native12_GLOBAL__N_125multi_tensor_apply_kernelINS1_18TensorListMetadataILi4EEENS1_24PointwiseOpScalarFunctorIfLi4ELi3ELi3EEEJSt10multipliesIfEfEEEvT_T0_DpT1_
		.amdhsa_group_segment_fixed_size 0
		.amdhsa_private_segment_fixed_size 0
		.amdhsa_kernarg_size 3312
		.amdhsa_user_sgpr_count 6
		.amdhsa_user_sgpr_private_segment_buffer 1
		.amdhsa_user_sgpr_dispatch_ptr 0
		.amdhsa_user_sgpr_queue_ptr 0
		.amdhsa_user_sgpr_kernarg_segment_ptr 1
		.amdhsa_user_sgpr_dispatch_id 0
		.amdhsa_user_sgpr_flat_scratch_init 0
		.amdhsa_user_sgpr_kernarg_preload_length 0
		.amdhsa_user_sgpr_kernarg_preload_offset 0
		.amdhsa_user_sgpr_private_segment_size 0
		.amdhsa_uses_dynamic_stack 0
		.amdhsa_system_sgpr_private_segment_wavefront_offset 0
		.amdhsa_system_sgpr_workgroup_id_x 1
		.amdhsa_system_sgpr_workgroup_id_y 0
		.amdhsa_system_sgpr_workgroup_id_z 0
		.amdhsa_system_sgpr_workgroup_info 0
		.amdhsa_system_vgpr_workitem_id 0
		.amdhsa_next_free_vgpr 54
		.amdhsa_next_free_sgpr 38
		.amdhsa_accum_offset 56
		.amdhsa_reserve_vcc 1
		.amdhsa_reserve_flat_scratch 0
		.amdhsa_float_round_mode_32 0
		.amdhsa_float_round_mode_16_64 0
		.amdhsa_float_denorm_mode_32 3
		.amdhsa_float_denorm_mode_16_64 3
		.amdhsa_dx10_clamp 1
		.amdhsa_ieee_mode 1
		.amdhsa_fp16_overflow 0
		.amdhsa_tg_split 0
		.amdhsa_exception_fp_ieee_invalid_op 0
		.amdhsa_exception_fp_denorm_src 0
		.amdhsa_exception_fp_ieee_div_zero 0
		.amdhsa_exception_fp_ieee_overflow 0
		.amdhsa_exception_fp_ieee_underflow 0
		.amdhsa_exception_fp_ieee_inexact 0
		.amdhsa_exception_int_div_zero 0
	.end_amdhsa_kernel
	.section	.text._ZN2at6native12_GLOBAL__N_125multi_tensor_apply_kernelINS1_18TensorListMetadataILi4EEENS1_24PointwiseOpScalarFunctorIfLi4ELi3ELi3EEEJSt10multipliesIfEfEEEvT_T0_DpT1_,"axG",@progbits,_ZN2at6native12_GLOBAL__N_125multi_tensor_apply_kernelINS1_18TensorListMetadataILi4EEENS1_24PointwiseOpScalarFunctorIfLi4ELi3ELi3EEEJSt10multipliesIfEfEEEvT_T0_DpT1_,comdat
.Lfunc_end6:
	.size	_ZN2at6native12_GLOBAL__N_125multi_tensor_apply_kernelINS1_18TensorListMetadataILi4EEENS1_24PointwiseOpScalarFunctorIfLi4ELi3ELi3EEEJSt10multipliesIfEfEEEvT_T0_DpT1_, .Lfunc_end6-_ZN2at6native12_GLOBAL__N_125multi_tensor_apply_kernelINS1_18TensorListMetadataILi4EEENS1_24PointwiseOpScalarFunctorIfLi4ELi3ELi3EEEJSt10multipliesIfEfEEEvT_T0_DpT1_
                                        ; -- End function
	.section	.AMDGPU.csdata,"",@progbits
; Kernel info:
; codeLenInByte = 2316
; NumSgprs: 42
; NumVgprs: 54
; NumAgprs: 0
; TotalNumVgprs: 54
; ScratchSize: 0
; MemoryBound: 1
; FloatMode: 240
; IeeeMode: 1
; LDSByteSize: 0 bytes/workgroup (compile time only)
; SGPRBlocks: 5
; VGPRBlocks: 6
; NumSGPRsForWavesPerEU: 42
; NumVGPRsForWavesPerEU: 54
; AccumOffset: 56
; Occupancy: 8
; WaveLimiterHint : 0
; COMPUTE_PGM_RSRC2:SCRATCH_EN: 0
; COMPUTE_PGM_RSRC2:USER_SGPR: 6
; COMPUTE_PGM_RSRC2:TRAP_HANDLER: 0
; COMPUTE_PGM_RSRC2:TGID_X_EN: 1
; COMPUTE_PGM_RSRC2:TGID_Y_EN: 0
; COMPUTE_PGM_RSRC2:TGID_Z_EN: 0
; COMPUTE_PGM_RSRC2:TIDIG_COMP_CNT: 0
; COMPUTE_PGM_RSRC3_GFX90A:ACCUM_OFFSET: 13
; COMPUTE_PGM_RSRC3_GFX90A:TG_SPLIT: 0
	.section	.text._ZN2at6native12_GLOBAL__N_125multi_tensor_apply_kernelINS1_18TensorListMetadataILi4EEENS1_24PointwiseOpScalarFunctorIN3c107complexIdEELi4ELi3ELi3EEEJSt10multipliesIS8_ES8_EEEvT_T0_DpT1_,"axG",@progbits,_ZN2at6native12_GLOBAL__N_125multi_tensor_apply_kernelINS1_18TensorListMetadataILi4EEENS1_24PointwiseOpScalarFunctorIN3c107complexIdEELi4ELi3ELi3EEEJSt10multipliesIS8_ES8_EEEvT_T0_DpT1_,comdat
	.globl	_ZN2at6native12_GLOBAL__N_125multi_tensor_apply_kernelINS1_18TensorListMetadataILi4EEENS1_24PointwiseOpScalarFunctorIN3c107complexIdEELi4ELi3ELi3EEEJSt10multipliesIS8_ES8_EEEvT_T0_DpT1_ ; -- Begin function _ZN2at6native12_GLOBAL__N_125multi_tensor_apply_kernelINS1_18TensorListMetadataILi4EEENS1_24PointwiseOpScalarFunctorIN3c107complexIdEELi4ELi3ELi3EEEJSt10multipliesIS8_ES8_EEEvT_T0_DpT1_
	.p2align	8
	.type	_ZN2at6native12_GLOBAL__N_125multi_tensor_apply_kernelINS1_18TensorListMetadataILi4EEENS1_24PointwiseOpScalarFunctorIN3c107complexIdEELi4ELi3ELi3EEEJSt10multipliesIS8_ES8_EEEvT_T0_DpT1_,@function
_ZN2at6native12_GLOBAL__N_125multi_tensor_apply_kernelINS1_18TensorListMetadataILi4EEENS1_24PointwiseOpScalarFunctorIN3c107complexIdEELi4ELi3ELi3EEEJSt10multipliesIS8_ES8_EEEvT_T0_DpT1_: ; @_ZN2at6native12_GLOBAL__N_125multi_tensor_apply_kernelINS1_18TensorListMetadataILi4EEENS1_24PointwiseOpScalarFunctorIN3c107complexIdEELi4ELi3ELi3EEEJSt10multipliesIS8_ES8_EEEvT_T0_DpT1_
; %bb.0:
	v_mov_b32_e32 v1, s6
	global_load_ubyte v1, v1, s[4:5] offset:1440
	s_add_u32 s0, s4, s6
	s_mul_hi_u32 s1, s6, 3
	s_mul_i32 s6, s6, 3
	s_addc_u32 s2, s5, 0
	s_add_u32 s0, s0, s6
	s_addc_u32 s1, s2, s1
	s_load_dword s0, s[0:1], 0x6e0
	s_mov_b32 s21, 0
	s_mov_b32 s23, s21
	s_waitcnt lgkmcnt(0)
	s_ashr_i32 s1, s0, 31
	s_lshl_b64 s[18:19], s[0:1], 20
	s_waitcnt vmcnt(0)
	v_readfirstlane_b32 s2, v1
	s_lshl_b32 s16, s2, 3
	s_load_dwordx2 s[6:7], s[4:5], s16 offset:0x0
	s_load_dwordx4 s[12:15], s[4:5], 0xbf0
	s_load_dwordx2 s[24:25], s[4:5], s16 offset:0x480
	s_load_dwordx2 s[2:3], s[4:5], s16 offset:0x120
	;; [unrolled: 1-line block ×4, first 2 shown]
	s_waitcnt lgkmcnt(0)
	s_add_u32 s28, s6, s18
	s_addc_u32 s29, s7, s19
	s_add_u32 s30, s2, s18
	s_addc_u32 s31, s3, s19
	s_and_b32 s20, s30, 63
	s_add_u32 s33, s8, s18
	s_addc_u32 s34, s9, s19
	s_add_u32 s35, s10, s18
	s_addc_u32 s36, s11, s19
	s_or_b32 s16, s35, s33
	s_and_b32 s16, s16, 63
	s_cmp_eq_u32 s16, 0
	s_cselect_b64 s[16:17], -1, 0
	s_and_b32 s22, s28, 63
	s_cmp_eq_u64 s[20:21], 0
	s_cselect_b64 s[26:27], -1, 0
	s_lshl_b64 s[0:1], s[0:1], 16
	s_and_b64 s[26:27], s[16:17], s[26:27]
	s_sub_u32 s16, s24, s0
	s_subb_u32 s17, s25, s1
	s_and_b32 s20, s24, 3
	s_or_b64 s[0:1], s[22:23], s[20:21]
	s_cmp_eq_u64 s[0:1], 0
	s_cselect_b64 s[0:1], -1, 0
	s_and_b64 s[20:21], s[26:27], s[0:1]
	s_mov_b64 s[0:1], -1
	s_and_b64 vcc, exec, s[20:21]
	s_cbranch_vccnz .LBB7_29
; %bb.1:
	v_cmp_lt_i64_e64 s[0:1], s[16:17], 1
	s_and_b64 vcc, exec, s[0:1]
	s_cbranch_vccnz .LBB7_28
; %bb.2:
	s_load_dword s0, s[4:5], 0xc0c
	v_mov_b32_e32 v2, 0x10000
	v_mov_b32_e32 v3, 0
	v_lshlrev_b32_e32 v6, 4, v0
	v_cmp_lt_u64_e32 vcc, s[16:17], v[2:3]
	s_waitcnt lgkmcnt(0)
	s_and_b32 s38, s0, 0xffff
	v_or_b32_e32 v2, 8, v6
	s_and_b64 s[0:1], vcc, exec
	v_mov_b32_e32 v8, s7
	v_add_co_u32_e32 v50, vcc, s6, v2
	v_addc_co_u32_e32 v51, vcc, 0, v8, vcc
	v_add_lshl_u32 v9, v0, s38, 4
	v_mov_b32_e32 v10, s11
	v_add_co_u32_e32 v52, vcc, s10, v9
	v_addc_co_u32_e32 v53, vcc, 0, v10, vcc
	v_mov_b32_e32 v11, s9
	v_add_co_u32_e32 v54, vcc, s8, v2
	v_addc_co_u32_e32 v55, vcc, 0, v11, vcc
	v_add_co_u32_e32 v56, vcc, s8, v9
	v_addc_co_u32_e32 v57, vcc, 0, v11, vcc
	v_add_co_u32_e32 v58, vcc, s10, v2
	v_mov_b32_e32 v1, 0
	v_addc_co_u32_e32 v59, vcc, 0, v10, vcc
	v_mov_b32_e32 v3, v1
	v_add_co_u32_e32 v60, vcc, s6, v9
	v_addc_co_u32_e32 v61, vcc, 0, v8, vcc
	v_mad_u64_u32 v[4:5], s[24:25], s38, 48, v[2:3]
	v_mov_b32_e32 v7, s3
	v_add_co_u32_e32 v62, vcc, s2, v4
	v_addc_co_u32_e32 v63, vcc, v7, v5, vcc
	v_add_co_u32_e32 v64, vcc, s6, v4
	v_addc_co_u32_e32 v65, vcc, v8, v5, vcc
	v_add_co_u32_e32 v66, vcc, s8, v4
	s_cselect_b32 s21, s17, 0
	s_cselect_b32 s20, s16, 0x10000
	v_addc_co_u32_e32 v67, vcc, v11, v5, vcc
	s_lshl_b32 s3, s38, 5
	v_add_co_u32_e32 v3, vcc, s3, v6
	v_addc_co_u32_e64 v6, s[24:25], 0, 0, vcc
	v_add_co_u32_e32 v68, vcc, s10, v3
	v_addc_co_u32_e32 v69, vcc, v10, v6, vcc
	v_add_co_u32_e32 v70, vcc, s10, v4
	v_addc_co_u32_e32 v71, vcc, v10, v5, vcc
	;; [unrolled: 2-line block ×3, first 2 shown]
	v_or_b32_e32 v3, 8, v3
	v_add_co_u32_e32 v74, vcc, s6, v3
	v_addc_co_u32_e32 v75, vcc, v8, v6, vcc
	v_add_co_u32_e32 v76, vcc, s2, v3
	v_addc_co_u32_e32 v77, vcc, v7, v6, vcc
	v_add_co_u32_e32 v78, vcc, s2, v2
	s_mov_b32 s37, 0
	v_cmp_eq_f64_e64 s[0:1], s[12:13], 1.0
	v_cmp_eq_f64_e64 s[22:23], s[14:15], 0
	v_addc_co_u32_e32 v79, vcc, 0, v7, vcc
	s_and_b64 s[0:1], s[0:1], s[22:23]
	s_lshl_b32 s22, s38, 2
	s_mov_b32 s23, s37
	v_add_co_u32_e32 v80, vcc, s2, v9
	s_lshl_b32 s39, s38, 1
	s_mov_b32 s40, s37
	s_mul_i32 s41, s38, 3
	s_mov_b32 s42, s37
	s_lshl_b32 s43, s38, 6
	s_mov_b32 s44, s37
	s_mov_b64 s[24:25], s[22:23]
	v_addc_co_u32_e32 v81, vcc, 0, v7, vcc
	v_pk_mov_b32 v[82:83], v[0:1], v[0:1] op_sel:[0,1]
	s_branch .LBB7_4
.LBB7_3:                                ;   in Loop: Header=BB7_4 Depth=1
	s_or_b64 exec, exec, s[2:3]
	s_waitcnt vmcnt(1)
	v_pk_mov_b32 v[2:3], s[16:17], s[16:17] op_sel:[0,1]
	v_cmp_lt_i64_e32 vcc, s[24:25], v[2:3]
	v_mov_b32_e32 v2, 0x10000
	v_mov_b32_e32 v3, 0
	v_cmp_lt_u64_e64 s[2:3], s[24:25], v[2:3]
	s_and_b64 s[2:3], vcc, s[2:3]
	v_mov_b32_e32 v1, s23
	v_add_co_u32_e32 v82, vcc, s22, v82
	v_addc_co_u32_e32 v83, vcc, v83, v1, vcc
	v_mov_b32_e32 v1, s44
	v_add_co_u32_e32 v78, vcc, s43, v78
	v_addc_co_u32_e32 v79, vcc, v79, v1, vcc
	v_add_co_u32_e32 v50, vcc, s43, v50
	v_addc_co_u32_e32 v51, vcc, v51, v1, vcc
	;; [unrolled: 2-line block ×15, first 2 shown]
	v_add_co_u32_e32 v74, vcc, s43, v74
	s_add_u32 s24, s24, s22
	v_addc_co_u32_e32 v75, vcc, v75, v1, vcc
	s_addc_u32 s25, s25, 0
	s_and_b64 vcc, exec, s[2:3]
	s_cbranch_vccz .LBB7_28
.LBB7_4:                                ; =>This Inner Loop Header: Depth=1
	s_waitcnt vmcnt(0)
	v_pk_mov_b32 v[8:9], 0, 0
	v_cmp_gt_u64_e32 vcc, s[20:21], v[82:83]
	v_pk_mov_b32 v[12:13], v[8:9], v[8:9] op_sel:[0,1]
	v_pk_mov_b32 v[10:11], v[8:9], v[8:9] op_sel:[0,1]
	;; [unrolled: 1-line block ×4, first 2 shown]
	s_and_saveexec_b64 s[6:7], vcc
	s_cbranch_execz .LBB7_6
; %bb.5:                                ;   in Loop: Header=BB7_4 Depth=1
	v_mov_b32_e32 v1, s19
	v_add_co_u32_e64 v6, s[2:3], s18, v78
	v_addc_co_u32_e64 v7, s[2:3], v79, v1, s[2:3]
	v_add_co_u32_e64 v14, s[2:3], s18, v50
	v_addc_co_u32_e64 v15, s[2:3], v51, v1, s[2:3]
	global_load_dwordx4 v[2:5], v[14:15], off offset:-8
	global_load_dwordx4 v[10:13], v[6:7], off offset:-8
.LBB7_6:                                ;   in Loop: Header=BB7_4 Depth=1
	s_or_b64 exec, exec, s[6:7]
	v_pk_mov_b32 v[6:7], v[8:9], v[8:9] op_sel:[0,1]
	s_and_saveexec_b64 s[6:7], vcc
	s_cbranch_execz .LBB7_8
; %bb.7:                                ;   in Loop: Header=BB7_4 Depth=1
	v_mov_b32_e32 v1, s19
	v_add_co_u32_e64 v6, s[2:3], s18, v54
	v_addc_co_u32_e64 v7, s[2:3], v55, v1, s[2:3]
	global_load_dwordx4 v[6:9], v[6:7], off offset:-8
.LBB7_8:                                ;   in Loop: Header=BB7_4 Depth=1
	s_or_b64 exec, exec, s[6:7]
	v_mov_b32_e32 v1, s37
	v_add_co_u32_e64 v14, s[2:3], s38, v82
	v_addc_co_u32_e64 v15, s[2:3], v1, v83, s[2:3]
	v_pk_mov_b32 v[20:21], 0, 0
	v_cmp_gt_u64_e64 s[2:3], s[20:21], v[14:15]
	v_pk_mov_b32 v[24:25], v[20:21], v[20:21] op_sel:[0,1]
	v_pk_mov_b32 v[22:23], v[20:21], v[20:21] op_sel:[0,1]
	;; [unrolled: 1-line block ×4, first 2 shown]
	s_and_saveexec_b64 s[8:9], s[2:3]
	s_cbranch_execz .LBB7_10
; %bb.9:                                ;   in Loop: Header=BB7_4 Depth=1
	v_mov_b32_e32 v1, s19
	v_add_co_u32_e64 v18, s[6:7], s18, v80
	v_addc_co_u32_e64 v19, s[6:7], v81, v1, s[6:7]
	v_add_co_u32_e64 v26, s[6:7], s18, v60
	v_addc_co_u32_e64 v27, s[6:7], v61, v1, s[6:7]
	global_load_dwordx4 v[14:17], v[26:27], off
	global_load_dwordx4 v[22:25], v[18:19], off
.LBB7_10:                               ;   in Loop: Header=BB7_4 Depth=1
	s_or_b64 exec, exec, s[8:9]
	v_pk_mov_b32 v[18:19], v[20:21], v[20:21] op_sel:[0,1]
	s_and_saveexec_b64 s[8:9], s[2:3]
	s_cbranch_execz .LBB7_12
; %bb.11:                               ;   in Loop: Header=BB7_4 Depth=1
	v_mov_b32_e32 v1, s19
	v_add_co_u32_e64 v18, s[6:7], s18, v56
	v_addc_co_u32_e64 v19, s[6:7], v57, v1, s[6:7]
	global_load_dwordx4 v[18:21], v[18:19], off
.LBB7_12:                               ;   in Loop: Header=BB7_4 Depth=1
	s_or_b64 exec, exec, s[8:9]
	v_mov_b32_e32 v1, s40
	v_add_co_u32_e64 v26, s[6:7], s39, v82
	v_addc_co_u32_e64 v27, s[6:7], v1, v83, s[6:7]
	v_pk_mov_b32 v[32:33], 0, 0
	v_cmp_gt_u64_e64 s[6:7], s[20:21], v[26:27]
	v_pk_mov_b32 v[36:37], v[32:33], v[32:33] op_sel:[0,1]
	v_pk_mov_b32 v[34:35], v[32:33], v[32:33] op_sel:[0,1]
	;; [unrolled: 1-line block ×4, first 2 shown]
	s_and_saveexec_b64 s[10:11], s[6:7]
	s_cbranch_execz .LBB7_14
; %bb.13:                               ;   in Loop: Header=BB7_4 Depth=1
	v_mov_b32_e32 v1, s19
	v_add_co_u32_e64 v30, s[8:9], s18, v76
	v_addc_co_u32_e64 v31, s[8:9], v77, v1, s[8:9]
	v_add_co_u32_e64 v38, s[8:9], s18, v74
	v_addc_co_u32_e64 v39, s[8:9], v75, v1, s[8:9]
	global_load_dwordx4 v[26:29], v[38:39], off offset:-8
	global_load_dwordx4 v[34:37], v[30:31], off offset:-8
.LBB7_14:                               ;   in Loop: Header=BB7_4 Depth=1
	s_or_b64 exec, exec, s[10:11]
	v_pk_mov_b32 v[30:31], v[32:33], v[32:33] op_sel:[0,1]
	s_and_saveexec_b64 s[10:11], s[6:7]
	s_cbranch_execz .LBB7_16
; %bb.15:                               ;   in Loop: Header=BB7_4 Depth=1
	v_mov_b32_e32 v1, s19
	v_add_co_u32_e64 v30, s[8:9], s18, v72
	v_addc_co_u32_e64 v31, s[8:9], v73, v1, s[8:9]
	global_load_dwordx4 v[30:33], v[30:31], off
.LBB7_16:                               ;   in Loop: Header=BB7_4 Depth=1
	s_or_b64 exec, exec, s[10:11]
	v_mov_b32_e32 v1, s42
	v_add_co_u32_e64 v38, s[8:9], s41, v82
	v_addc_co_u32_e64 v39, s[8:9], v1, v83, s[8:9]
	v_pk_mov_b32 v[44:45], 0, 0
	v_cmp_gt_u64_e64 s[8:9], s[20:21], v[38:39]
	v_pk_mov_b32 v[48:49], v[44:45], v[44:45] op_sel:[0,1]
	v_pk_mov_b32 v[46:47], v[44:45], v[44:45] op_sel:[0,1]
	;; [unrolled: 1-line block ×4, first 2 shown]
	s_and_saveexec_b64 s[26:27], s[8:9]
	s_cbranch_execnz .LBB7_22
; %bb.17:                               ;   in Loop: Header=BB7_4 Depth=1
	s_or_b64 exec, exec, s[26:27]
	v_pk_mov_b32 v[42:43], v[44:45], v[44:45] op_sel:[0,1]
	s_and_saveexec_b64 s[26:27], s[8:9]
	s_cbranch_execnz .LBB7_23
.LBB7_18:                               ;   in Loop: Header=BB7_4 Depth=1
	s_or_b64 exec, exec, s[26:27]
	s_and_saveexec_b64 s[10:11], vcc
	s_cbranch_execnz .LBB7_24
.LBB7_19:                               ;   in Loop: Header=BB7_4 Depth=1
	s_or_b64 exec, exec, s[10:11]
	s_and_saveexec_b64 s[10:11], s[2:3]
	s_cbranch_execnz .LBB7_25
.LBB7_20:                               ;   in Loop: Header=BB7_4 Depth=1
	s_or_b64 exec, exec, s[10:11]
	s_and_saveexec_b64 s[2:3], s[6:7]
	s_cbranch_execnz .LBB7_26
.LBB7_21:                               ;   in Loop: Header=BB7_4 Depth=1
	s_or_b64 exec, exec, s[2:3]
	s_and_saveexec_b64 s[2:3], s[8:9]
	s_cbranch_execz .LBB7_3
	s_branch .LBB7_27
.LBB7_22:                               ;   in Loop: Header=BB7_4 Depth=1
	v_mov_b32_e32 v1, s19
	v_add_co_u32_e64 v42, s[10:11], s18, v62
	v_addc_co_u32_e64 v43, s[10:11], v63, v1, s[10:11]
	v_add_co_u32_e64 v84, s[10:11], s18, v64
	v_addc_co_u32_e64 v85, s[10:11], v65, v1, s[10:11]
	global_load_dwordx4 v[38:41], v[84:85], off offset:-8
	global_load_dwordx4 v[46:49], v[42:43], off offset:-8
	s_or_b64 exec, exec, s[26:27]
	v_pk_mov_b32 v[42:43], v[44:45], v[44:45] op_sel:[0,1]
	s_and_saveexec_b64 s[26:27], s[8:9]
	s_cbranch_execz .LBB7_18
.LBB7_23:                               ;   in Loop: Header=BB7_4 Depth=1
	v_mov_b32_e32 v1, s19
	v_add_co_u32_e64 v42, s[10:11], s18, v66
	v_addc_co_u32_e64 v43, s[10:11], v67, v1, s[10:11]
	global_load_dwordx4 v[42:45], v[42:43], off offset:-8
	s_or_b64 exec, exec, s[26:27]
	s_and_saveexec_b64 s[10:11], vcc
	s_cbranch_execz .LBB7_19
.LBB7_24:                               ;   in Loop: Header=BB7_4 Depth=1
	s_waitcnt vmcnt(0)
	v_mul_f64 v[84:85], v[12:13], v[8:9]
	v_fma_f64 v[84:85], v[10:11], v[6:7], -v[84:85]
	v_mul_f64 v[6:7], v[12:13], v[6:7]
	v_fmac_f64_e32 v[6:7], v[10:11], v[8:9]
	v_mul_f64 v[8:9], s[14:15], v[6:7]
	v_fma_f64 v[8:9], s[12:13], v[84:85], -v[8:9]
	v_cndmask_b32_e64 v9, v9, v85, s[0:1]
	v_cndmask_b32_e64 v8, v8, v84, s[0:1]
	v_add_f64 v[2:3], v[2:3], v[8:9]
	v_mul_f64 v[8:9], s[14:15], v[84:85]
	v_fmac_f64_e32 v[8:9], s[12:13], v[6:7]
	v_cndmask_b32_e64 v7, v9, v7, s[0:1]
	v_cndmask_b32_e64 v6, v8, v6, s[0:1]
	v_add_f64 v[4:5], v[4:5], v[6:7]
	v_mov_b32_e32 v1, s19
	v_add_co_u32_e32 v6, vcc, s18, v58
	v_addc_co_u32_e32 v7, vcc, v59, v1, vcc
	global_store_dwordx4 v[6:7], v[2:5], off offset:-8
	s_or_b64 exec, exec, s[10:11]
	s_and_saveexec_b64 s[10:11], s[2:3]
	s_cbranch_execz .LBB7_20
.LBB7_25:                               ;   in Loop: Header=BB7_4 Depth=1
	s_waitcnt vmcnt(0)
	v_mul_f64 v[2:3], v[24:25], v[20:21]
	v_mul_f64 v[4:5], v[24:25], v[18:19]
	v_fma_f64 v[2:3], v[22:23], v[18:19], -v[2:3]
	v_fmac_f64_e32 v[4:5], v[22:23], v[20:21]
	v_mul_f64 v[6:7], s[14:15], v[4:5]
	v_mul_f64 v[8:9], s[14:15], v[2:3]
	v_fma_f64 v[6:7], s[12:13], v[2:3], -v[6:7]
	v_fmac_f64_e32 v[8:9], s[12:13], v[4:5]
	v_cndmask_b32_e64 v3, v7, v3, s[0:1]
	v_cndmask_b32_e64 v2, v6, v2, s[0:1]
	;; [unrolled: 1-line block ×4, first 2 shown]
	v_mov_b32_e32 v1, s19
	v_add_co_u32_e32 v6, vcc, s18, v52
	v_add_f64 v[4:5], v[16:17], v[4:5]
	v_add_f64 v[2:3], v[14:15], v[2:3]
	v_addc_co_u32_e32 v7, vcc, v53, v1, vcc
	global_store_dwordx4 v[6:7], v[2:5], off
	s_or_b64 exec, exec, s[10:11]
	s_and_saveexec_b64 s[2:3], s[6:7]
	s_cbranch_execz .LBB7_21
.LBB7_26:                               ;   in Loop: Header=BB7_4 Depth=1
	s_waitcnt vmcnt(0)
	v_mul_f64 v[2:3], v[36:37], v[32:33]
	v_mul_f64 v[4:5], v[36:37], v[30:31]
	v_fma_f64 v[2:3], v[34:35], v[30:31], -v[2:3]
	v_fmac_f64_e32 v[4:5], v[34:35], v[32:33]
	v_mul_f64 v[6:7], s[14:15], v[4:5]
	v_mul_f64 v[8:9], s[14:15], v[2:3]
	v_fma_f64 v[6:7], s[12:13], v[2:3], -v[6:7]
	v_fmac_f64_e32 v[8:9], s[12:13], v[4:5]
	v_cndmask_b32_e64 v3, v7, v3, s[0:1]
	v_cndmask_b32_e64 v2, v6, v2, s[0:1]
	;; [unrolled: 1-line block ×4, first 2 shown]
	v_mov_b32_e32 v1, s19
	v_add_co_u32_e32 v6, vcc, s18, v68
	v_add_f64 v[4:5], v[28:29], v[4:5]
	v_add_f64 v[2:3], v[26:27], v[2:3]
	v_addc_co_u32_e32 v7, vcc, v69, v1, vcc
	global_store_dwordx4 v[6:7], v[2:5], off
	s_or_b64 exec, exec, s[2:3]
	s_and_saveexec_b64 s[2:3], s[8:9]
	s_cbranch_execz .LBB7_3
.LBB7_27:                               ;   in Loop: Header=BB7_4 Depth=1
	s_waitcnt vmcnt(0)
	v_mul_f64 v[2:3], v[48:49], v[44:45]
	v_mul_f64 v[4:5], v[48:49], v[42:43]
	v_fma_f64 v[2:3], v[46:47], v[42:43], -v[2:3]
	v_fmac_f64_e32 v[4:5], v[46:47], v[44:45]
	v_mul_f64 v[6:7], s[14:15], v[4:5]
	v_mul_f64 v[8:9], s[14:15], v[2:3]
	v_fma_f64 v[6:7], s[12:13], v[2:3], -v[6:7]
	v_fmac_f64_e32 v[8:9], s[12:13], v[4:5]
	v_cndmask_b32_e64 v3, v7, v3, s[0:1]
	v_cndmask_b32_e64 v2, v6, v2, s[0:1]
	;; [unrolled: 1-line block ×4, first 2 shown]
	v_mov_b32_e32 v1, s19
	v_add_co_u32_e32 v6, vcc, s18, v70
	v_add_f64 v[4:5], v[40:41], v[4:5]
	v_add_f64 v[2:3], v[38:39], v[2:3]
	v_addc_co_u32_e32 v7, vcc, v71, v1, vcc
	global_store_dwordx4 v[6:7], v[2:5], off offset:-8
	s_branch .LBB7_3
.LBB7_28:
	s_mov_b64 s[0:1], 0
.LBB7_29:
	s_andn2_b64 vcc, exec, s[0:1]
	s_cbranch_vccnz .LBB7_33
; %bb.30:
	v_mov_b32_e32 v3, 0
	v_lshlrev_b32_e32 v2, 2, v0
	s_mov_b32 s0, 0
	v_cmp_gt_i64_e32 vcc, s[16:17], v[2:3]
	s_and_saveexec_b64 s[2:3], vcc
	s_cbranch_execz .LBB7_33
; %bb.31:
	s_load_dword s1, s[4:5], 0xc0c
	v_cmp_eq_f64_e64 s[2:3], s[12:13], 1.0
	v_cmp_eq_f64_e64 s[4:5], s[14:15], 0
	s_mov_b64 s[6:7], 0
	s_and_b64 vcc, s[2:3], s[4:5]
	s_waitcnt lgkmcnt(0)
	s_and_b32 s1, s1, 0xffff
	v_add_lshl_u32 v2, v0, s1, 2
	s_lshl_b32 s10, s1, 2
	v_lshlrev_b32_e32 v0, 6, v0
	s_lshl_b32 s11, s1, 6
	s_mov_b64 s[8:9], 0xffff
	v_mov_b32_e32 v1, s0
.LBB7_32:                               ; =>This Inner Loop Header: Depth=1
	v_mov_b32_e32 v5, s31
	v_add_co_u32_e64 v52, s[0:1], s30, v0
	s_waitcnt vmcnt(0)
	v_mov_b32_e32 v6, s34
	v_add_co_u32_e64 v54, s[2:3], s33, v0
	v_mov_b32_e32 v4, s29
	v_add_co_u32_e64 v56, s[4:5], s28, v0
	v_addc_co_u32_e64 v53, s[0:1], 0, v5, s[0:1]
	v_addc_co_u32_e64 v55, s[0:1], 0, v6, s[2:3]
	;; [unrolled: 1-line block ×3, first 2 shown]
	global_load_dwordx4 v[4:7], v[54:55], off
	global_load_dwordx4 v[8:11], v[52:53], off
	global_load_dwordx4 v[12:15], v[52:53], off offset:16
	global_load_dwordx4 v[16:19], v[54:55], off offset:16
	;; [unrolled: 1-line block ×6, first 2 shown]
	global_load_dwordx4 v[36:39], v[56:57], off
	global_load_dwordx4 v[40:43], v[56:57], off offset:16
	global_load_dwordx4 v[44:47], v[56:57], off offset:32
	;; [unrolled: 1-line block ×3, first 2 shown]
	v_cmp_le_i64_e64 s[0:1], s[16:17], v[2:3]
	v_cmp_lt_u64_e64 s[2:3], s[8:9], v[2:3]
	s_or_b64 s[0:1], s[0:1], s[2:3]
	v_add_co_u32_e64 v2, s[4:5], s10, v2
	s_add_u32 s28, s28, s11
	v_addc_co_u32_e64 v3, s[4:5], v3, v1, s[4:5]
	s_addc_u32 s29, s29, 0
	v_add_co_u32_e64 v52, s[4:5], s35, v0
	s_add_u32 s35, s35, s11
	v_mov_b32_e32 v58, s36
	s_addc_u32 s36, s36, 0
	s_add_u32 s30, s30, s11
	v_addc_co_u32_e64 v53, s[4:5], 0, v58, s[4:5]
	s_addc_u32 s31, s31, 0
	s_add_u32 s33, s33, s11
	s_addc_u32 s34, s34, 0
	s_and_b64 s[0:1], exec, s[0:1]
	s_or_b64 s[6:7], s[0:1], s[6:7]
	s_waitcnt vmcnt(10)
	v_mul_f64 v[54:55], v[10:11], v[6:7]
	v_mul_f64 v[6:7], v[8:9], v[6:7]
	s_waitcnt vmcnt(8)
	v_mul_f64 v[56:57], v[14:15], v[18:19]
	v_mul_f64 v[18:19], v[12:13], v[18:19]
	;; [unrolled: 3-line block ×4, first 2 shown]
	v_fma_f64 v[8:9], v[8:9], v[4:5], -v[54:55]
	v_fmac_f64_e32 v[6:7], v[10:11], v[4:5]
	v_fma_f64 v[4:5], v[12:13], v[16:17], -v[56:57]
	v_fmac_f64_e32 v[18:19], v[14:15], v[16:17]
	;; [unrolled: 2-line block ×4, first 2 shown]
	v_mul_f64 v[14:15], s[14:15], v[6:7]
	v_mul_f64 v[16:17], s[14:15], v[8:9]
	;; [unrolled: 1-line block ×8, first 2 shown]
	v_fma_f64 v[14:15], s[12:13], v[8:9], -v[14:15]
	v_fmac_f64_e32 v[16:17], s[12:13], v[6:7]
	v_fma_f64 v[20:21], s[12:13], v[4:5], -v[20:21]
	v_fmac_f64_e32 v[24:25], s[12:13], v[18:19]
	;; [unrolled: 2-line block ×4, first 2 shown]
	v_cndmask_b32_e32 v9, v15, v9, vcc
	v_cndmask_b32_e32 v8, v14, v8, vcc
	v_cndmask_b32_e32 v7, v17, v7, vcc
	v_cndmask_b32_e32 v6, v16, v6, vcc
	v_cndmask_b32_e32 v15, v21, v5, vcc
	v_cndmask_b32_e32 v14, v20, v4, vcc
	v_cndmask_b32_e32 v17, v25, v19, vcc
	v_cndmask_b32_e32 v16, v24, v18, vcc
	v_cndmask_b32_e32 v19, v27, v11, vcc
	v_cndmask_b32_e32 v18, v26, v10, vcc
	v_cndmask_b32_e32 v21, v29, v23, vcc
	v_cndmask_b32_e32 v20, v28, v22, vcc
	v_cndmask_b32_e32 v23, v31, v13, vcc
	v_cndmask_b32_e32 v22, v30, v12, vcc
	v_cndmask_b32_e32 v25, v33, v35, vcc
	v_cndmask_b32_e32 v24, v32, v34, vcc
	s_waitcnt vmcnt(3)
	v_add_f64 v[6:7], v[38:39], v[6:7]
	v_add_f64 v[4:5], v[36:37], v[8:9]
	s_waitcnt vmcnt(2)
	v_add_f64 v[10:11], v[42:43], v[16:17]
	v_add_f64 v[8:9], v[40:41], v[14:15]
	s_waitcnt vmcnt(1)
	v_add_f64 v[14:15], v[46:47], v[20:21]
	v_add_f64 v[12:13], v[44:45], v[18:19]
	s_waitcnt vmcnt(0)
	v_add_f64 v[18:19], v[50:51], v[24:25]
	v_add_f64 v[16:17], v[48:49], v[22:23]
	global_store_dwordx4 v[52:53], v[4:7], off
	global_store_dwordx4 v[52:53], v[8:11], off offset:16
	global_store_dwordx4 v[52:53], v[12:15], off offset:32
	;; [unrolled: 1-line block ×3, first 2 shown]
	s_andn2_b64 exec, exec, s[6:7]
	s_cbranch_execnz .LBB7_32
.LBB7_33:
	s_endpgm
	.section	.rodata,"a",@progbits
	.p2align	6, 0x0
	.amdhsa_kernel _ZN2at6native12_GLOBAL__N_125multi_tensor_apply_kernelINS1_18TensorListMetadataILi4EEENS1_24PointwiseOpScalarFunctorIN3c107complexIdEELi4ELi3ELi3EEEJSt10multipliesIS8_ES8_EEEvT_T0_DpT1_
		.amdhsa_group_segment_fixed_size 0
		.amdhsa_private_segment_fixed_size 0
		.amdhsa_kernarg_size 3328
		.amdhsa_user_sgpr_count 6
		.amdhsa_user_sgpr_private_segment_buffer 1
		.amdhsa_user_sgpr_dispatch_ptr 0
		.amdhsa_user_sgpr_queue_ptr 0
		.amdhsa_user_sgpr_kernarg_segment_ptr 1
		.amdhsa_user_sgpr_dispatch_id 0
		.amdhsa_user_sgpr_flat_scratch_init 0
		.amdhsa_user_sgpr_kernarg_preload_length 0
		.amdhsa_user_sgpr_kernarg_preload_offset 0
		.amdhsa_user_sgpr_private_segment_size 0
		.amdhsa_uses_dynamic_stack 0
		.amdhsa_system_sgpr_private_segment_wavefront_offset 0
		.amdhsa_system_sgpr_workgroup_id_x 1
		.amdhsa_system_sgpr_workgroup_id_y 0
		.amdhsa_system_sgpr_workgroup_id_z 0
		.amdhsa_system_sgpr_workgroup_info 0
		.amdhsa_system_vgpr_workitem_id 0
		.amdhsa_next_free_vgpr 86
		.amdhsa_next_free_sgpr 45
		.amdhsa_accum_offset 88
		.amdhsa_reserve_vcc 1
		.amdhsa_reserve_flat_scratch 0
		.amdhsa_float_round_mode_32 0
		.amdhsa_float_round_mode_16_64 0
		.amdhsa_float_denorm_mode_32 3
		.amdhsa_float_denorm_mode_16_64 3
		.amdhsa_dx10_clamp 1
		.amdhsa_ieee_mode 1
		.amdhsa_fp16_overflow 0
		.amdhsa_tg_split 0
		.amdhsa_exception_fp_ieee_invalid_op 0
		.amdhsa_exception_fp_denorm_src 0
		.amdhsa_exception_fp_ieee_div_zero 0
		.amdhsa_exception_fp_ieee_overflow 0
		.amdhsa_exception_fp_ieee_underflow 0
		.amdhsa_exception_fp_ieee_inexact 0
		.amdhsa_exception_int_div_zero 0
	.end_amdhsa_kernel
	.section	.text._ZN2at6native12_GLOBAL__N_125multi_tensor_apply_kernelINS1_18TensorListMetadataILi4EEENS1_24PointwiseOpScalarFunctorIN3c107complexIdEELi4ELi3ELi3EEEJSt10multipliesIS8_ES8_EEEvT_T0_DpT1_,"axG",@progbits,_ZN2at6native12_GLOBAL__N_125multi_tensor_apply_kernelINS1_18TensorListMetadataILi4EEENS1_24PointwiseOpScalarFunctorIN3c107complexIdEELi4ELi3ELi3EEEJSt10multipliesIS8_ES8_EEEvT_T0_DpT1_,comdat
.Lfunc_end7:
	.size	_ZN2at6native12_GLOBAL__N_125multi_tensor_apply_kernelINS1_18TensorListMetadataILi4EEENS1_24PointwiseOpScalarFunctorIN3c107complexIdEELi4ELi3ELi3EEEJSt10multipliesIS8_ES8_EEEvT_T0_DpT1_, .Lfunc_end7-_ZN2at6native12_GLOBAL__N_125multi_tensor_apply_kernelINS1_18TensorListMetadataILi4EEENS1_24PointwiseOpScalarFunctorIN3c107complexIdEELi4ELi3ELi3EEEJSt10multipliesIS8_ES8_EEEvT_T0_DpT1_
                                        ; -- End function
	.section	.AMDGPU.csdata,"",@progbits
; Kernel info:
; codeLenInByte = 2908
; NumSgprs: 49
; NumVgprs: 86
; NumAgprs: 0
; TotalNumVgprs: 86
; ScratchSize: 0
; MemoryBound: 1
; FloatMode: 240
; IeeeMode: 1
; LDSByteSize: 0 bytes/workgroup (compile time only)
; SGPRBlocks: 6
; VGPRBlocks: 10
; NumSGPRsForWavesPerEU: 49
; NumVGPRsForWavesPerEU: 86
; AccumOffset: 88
; Occupancy: 5
; WaveLimiterHint : 0
; COMPUTE_PGM_RSRC2:SCRATCH_EN: 0
; COMPUTE_PGM_RSRC2:USER_SGPR: 6
; COMPUTE_PGM_RSRC2:TRAP_HANDLER: 0
; COMPUTE_PGM_RSRC2:TGID_X_EN: 1
; COMPUTE_PGM_RSRC2:TGID_Y_EN: 0
; COMPUTE_PGM_RSRC2:TGID_Z_EN: 0
; COMPUTE_PGM_RSRC2:TIDIG_COMP_CNT: 0
; COMPUTE_PGM_RSRC3_GFX90A:ACCUM_OFFSET: 21
; COMPUTE_PGM_RSRC3_GFX90A:TG_SPLIT: 0
	.section	.text._ZN2at6native12_GLOBAL__N_125multi_tensor_apply_kernelINS1_18TensorListMetadataILi4EEENS1_24PointwiseOpScalarFunctorIN3c107complexIfEELi4ELi3ELi3EEEJSt10multipliesIS8_ES8_EEEvT_T0_DpT1_,"axG",@progbits,_ZN2at6native12_GLOBAL__N_125multi_tensor_apply_kernelINS1_18TensorListMetadataILi4EEENS1_24PointwiseOpScalarFunctorIN3c107complexIfEELi4ELi3ELi3EEEJSt10multipliesIS8_ES8_EEEvT_T0_DpT1_,comdat
	.globl	_ZN2at6native12_GLOBAL__N_125multi_tensor_apply_kernelINS1_18TensorListMetadataILi4EEENS1_24PointwiseOpScalarFunctorIN3c107complexIfEELi4ELi3ELi3EEEJSt10multipliesIS8_ES8_EEEvT_T0_DpT1_ ; -- Begin function _ZN2at6native12_GLOBAL__N_125multi_tensor_apply_kernelINS1_18TensorListMetadataILi4EEENS1_24PointwiseOpScalarFunctorIN3c107complexIfEELi4ELi3ELi3EEEJSt10multipliesIS8_ES8_EEEvT_T0_DpT1_
	.p2align	8
	.type	_ZN2at6native12_GLOBAL__N_125multi_tensor_apply_kernelINS1_18TensorListMetadataILi4EEENS1_24PointwiseOpScalarFunctorIN3c107complexIfEELi4ELi3ELi3EEEJSt10multipliesIS8_ES8_EEEvT_T0_DpT1_,@function
_ZN2at6native12_GLOBAL__N_125multi_tensor_apply_kernelINS1_18TensorListMetadataILi4EEENS1_24PointwiseOpScalarFunctorIN3c107complexIfEELi4ELi3ELi3EEEJSt10multipliesIS8_ES8_EEEvT_T0_DpT1_: ; @_ZN2at6native12_GLOBAL__N_125multi_tensor_apply_kernelINS1_18TensorListMetadataILi4EEENS1_24PointwiseOpScalarFunctorIN3c107complexIfEELi4ELi3ELi3EEEJSt10multipliesIS8_ES8_EEEvT_T0_DpT1_
; %bb.0:
	v_mov_b32_e32 v1, s6
	global_load_ubyte v1, v1, s[4:5] offset:1440
	s_add_u32 s0, s4, s6
	s_mul_hi_u32 s1, s6, 3
	s_mul_i32 s6, s6, 3
	s_addc_u32 s2, s5, 0
	s_add_u32 s0, s0, s6
	s_addc_u32 s1, s2, s1
	s_load_dword s0, s[0:1], 0x6e0
	s_mov_b32 s19, 0
	s_mov_b32 s21, s19
	s_waitcnt lgkmcnt(0)
	s_ashr_i32 s1, s0, 31
	s_lshl_b64 s[16:17], s[0:1], 19
	s_waitcnt vmcnt(0)
	v_readfirstlane_b32 s2, v1
	s_lshl_b32 s14, s2, 3
	s_load_dwordx2 s[10:11], s[4:5], s14 offset:0x0
	s_load_dwordx2 s[12:13], s[4:5], 0xbf0
	s_load_dwordx2 s[22:23], s[4:5], s14 offset:0x480
	s_load_dwordx2 s[8:9], s[4:5], s14 offset:0x120
	;; [unrolled: 1-line block ×4, first 2 shown]
	s_waitcnt lgkmcnt(0)
	s_add_u32 s26, s10, s16
	s_addc_u32 s27, s11, s17
	s_add_u32 s28, s8, s16
	s_addc_u32 s29, s9, s17
	s_and_b32 s18, s28, 31
	s_add_u32 s30, s2, s16
	s_addc_u32 s31, s3, s17
	s_add_u32 s33, s6, s16
	s_addc_u32 s34, s7, s17
	s_or_b32 s14, s33, s30
	s_and_b32 s14, s14, 31
	s_cmp_eq_u32 s14, 0
	s_cselect_b64 s[14:15], -1, 0
	s_and_b32 s20, s26, 31
	s_cmp_eq_u64 s[18:19], 0
	s_cselect_b64 s[24:25], -1, 0
	s_lshl_b64 s[0:1], s[0:1], 16
	s_and_b64 s[24:25], s[14:15], s[24:25]
	s_sub_u32 s14, s22, s0
	s_subb_u32 s15, s23, s1
	s_and_b32 s18, s22, 3
	s_or_b64 s[0:1], s[20:21], s[18:19]
	s_cmp_eq_u64 s[0:1], 0
	s_cselect_b64 s[0:1], -1, 0
	s_and_b64 s[18:19], s[24:25], s[0:1]
	s_mov_b64 s[0:1], -1
	s_and_b64 vcc, exec, s[18:19]
	s_cbranch_vccnz .LBB8_29
; %bb.1:
	v_cmp_lt_i64_e64 s[0:1], s[14:15], 1
	s_and_b64 vcc, exec, s[0:1]
	s_cbranch_vccnz .LBB8_28
; %bb.2:
	s_load_dword s0, s[4:5], 0xc04
	v_mov_b32_e32 v2, 0x10000
	v_mov_b32_e32 v3, 0
	v_cmp_lt_u64_e32 vcc, s[14:15], v[2:3]
	v_lshlrev_b32_e32 v28, 3, v0
	s_waitcnt lgkmcnt(0)
	s_and_b32 s36, s0, 0xffff
	s_and_b64 s[0:1], vcc, exec
	v_mov_b32_e32 v25, s11
	v_add_co_u32_e32 v2, vcc, s10, v28
	v_addc_co_u32_e32 v3, vcc, 0, v25, vcc
	v_mov_b32_e32 v27, s9
	v_add_co_u32_e32 v4, vcc, s8, v28
	v_addc_co_u32_e32 v5, vcc, 0, v27, vcc
	v_mov_b32_e32 v30, s7
	v_add_co_u32_e32 v6, vcc, s6, v28
	v_mov_b32_e32 v1, 0
	v_addc_co_u32_e32 v7, vcc, 0, v30, vcc
	v_mov_b32_e32 v29, v1
	v_add_co_u32_e32 v6, vcc, 4, v6
	v_addc_co_u32_e32 v7, vcc, 0, v7, vcc
	v_mad_u64_u32 v[14:15], s[22:23], s36, 24, v[28:29]
	v_add_co_u32_e32 v8, vcc, s10, v14
	v_addc_co_u32_e32 v9, vcc, v25, v15, vcc
	v_add_co_u32_e32 v10, vcc, s8, v14
	v_addc_co_u32_e32 v11, vcc, v27, v15, vcc
	v_mov_b32_e32 v31, s3
	v_add_co_u32_e32 v12, vcc, s2, v14
	s_cselect_b32 s19, s15, 0
	s_cselect_b32 s18, s14, 0x10000
	s_lshl_b32 s37, s36, 1
	s_and_b32 s20, s13, 0x7fffffff
	v_addc_co_u32_e32 v13, vcc, v31, v15, vcc
	s_cmp_eq_u32 s20, 0
	v_mov_b32_e32 v16, s7
	v_add_co_u32_e32 v14, vcc, s6, v14
	s_cselect_b64 s[20:21], -1, 0
	v_addc_co_u32_e32 v15, vcc, v16, v15, vcc
	s_lshl_b32 s3, s36, 4
	v_add_co_u32_e32 v22, vcc, s3, v28
	v_addc_co_u32_e64 v23, s[22:23], 0, 0, vcc
	v_add_co_u32_e32 v16, vcc, s10, v22
	v_addc_co_u32_e32 v17, vcc, v25, v23, vcc
	v_add_co_u32_e32 v18, vcc, s8, v22
	v_addc_co_u32_e32 v19, vcc, v27, v23, vcc
	;; [unrolled: 2-line block ×5, first 2 shown]
	v_add_lshl_u32 v29, v0, s36, 3
	v_add_co_u32_e32 v24, vcc, s10, v29
	v_addc_co_u32_e32 v25, vcc, 0, v25, vcc
	v_add_co_u32_e32 v26, vcc, s8, v29
	v_addc_co_u32_e32 v27, vcc, 0, v27, vcc
	;; [unrolled: 2-line block ×3, first 2 shown]
	v_add_co_u32_e32 v28, vcc, s2, v28
	v_add_co_u32_e64 v30, s[2:3], s2, v29
	s_mov_b32 s35, 0
	v_cmp_eq_f32_e64 s[0:1], s12, 1.0
	v_addc_co_u32_e32 v29, vcc, 0, v31, vcc
	v_addc_co_u32_e64 v31, vcc, 0, v31, s[2:3]
	s_and_b64 s[0:1], s[0:1], s[20:21]
	s_lshl_b32 s20, s36, 2
	s_mov_b32 s21, s35
	v_add_co_u32_e32 v32, vcc, 4, v32
	s_mov_b32 s38, s35
	s_mul_i32 s39, s36, 3
	s_mov_b32 s40, s35
	s_lshl_b32 s41, s36, 5
	s_mov_b32 s42, s35
	s_mov_b64 s[22:23], s[20:21]
	v_addc_co_u32_e32 v33, vcc, 0, v33, vcc
	v_pk_mov_b32 v[34:35], v[0:1], v[0:1] op_sel:[0,1]
	s_branch .LBB8_4
.LBB8_3:                                ;   in Loop: Header=BB8_4 Depth=1
	s_or_b64 exec, exec, s[2:3]
	v_mov_b32_e32 v1, s21
	v_add_co_u32_e64 v34, s[6:7], s20, v34
	v_addc_co_u32_e64 v35, s[6:7], v35, v1, s[6:7]
	v_mov_b32_e32 v1, s42
	v_add_co_u32_e64 v2, s[6:7], s41, v2
	v_addc_co_u32_e64 v3, s[6:7], v3, v1, s[6:7]
	v_add_co_u32_e64 v4, s[6:7], s41, v4
	v_addc_co_u32_e64 v5, s[6:7], v5, v1, s[6:7]
	;; [unrolled: 2-line block ×12, first 2 shown]
	v_add_co_u32_e64 v24, s[6:7], s41, v24
	s_waitcnt vmcnt(1)
	v_pk_mov_b32 v[36:37], s[14:15], s[14:15] op_sel:[0,1]
	v_addc_co_u32_e64 v25, s[6:7], v25, v1, s[6:7]
	v_cmp_lt_i64_e32 vcc, s[22:23], v[36:37]
	v_mov_b32_e32 v36, 0x10000
	v_add_co_u32_e64 v26, s[6:7], s41, v26
	v_mov_b32_e32 v37, 0
	v_addc_co_u32_e64 v27, s[6:7], v27, v1, s[6:7]
	v_cmp_lt_u64_e64 s[2:3], s[22:23], v[36:37]
	v_add_co_u32_e64 v30, s[6:7], s41, v30
	v_addc_co_u32_e64 v31, s[6:7], v31, v1, s[6:7]
	s_and_b64 s[2:3], vcc, s[2:3]
	v_add_co_u32_e64 v32, s[6:7], s41, v32
	s_add_u32 s22, s22, s20
	v_addc_co_u32_e64 v33, s[6:7], v33, v1, s[6:7]
	s_addc_u32 s23, s23, 0
	s_and_b64 vcc, exec, s[2:3]
	s_cbranch_vccz .LBB8_28
.LBB8_4:                                ; =>This Inner Loop Header: Depth=1
	v_cmp_gt_u64_e32 vcc, s[18:19], v[34:35]
	s_waitcnt vmcnt(0)
	v_mov_b32_e32 v39, 0
	v_mov_b32_e32 v38, 0
	;; [unrolled: 1-line block ×4, first 2 shown]
	s_and_saveexec_b64 s[6:7], vcc
	s_cbranch_execz .LBB8_6
; %bb.5:                                ;   in Loop: Header=BB8_4 Depth=1
	v_mov_b32_e32 v1, s17
	v_add_co_u32_e64 v36, s[2:3], s16, v2
	v_addc_co_u32_e64 v37, s[2:3], v3, v1, s[2:3]
	v_add_co_u32_e64 v38, s[2:3], s16, v4
	v_addc_co_u32_e64 v39, s[2:3], v5, v1, s[2:3]
	global_load_dwordx2 v[36:37], v[36:37], off
	s_nop 0
	global_load_dwordx2 v[38:39], v[38:39], off
.LBB8_6:                                ;   in Loop: Header=BB8_4 Depth=1
	s_or_b64 exec, exec, s[6:7]
	v_mov_b32_e32 v41, 0
	v_mov_b32_e32 v45, 0
	;; [unrolled: 1-line block ×3, first 2 shown]
	s_and_saveexec_b64 s[6:7], vcc
	s_cbranch_execz .LBB8_8
; %bb.7:                                ;   in Loop: Header=BB8_4 Depth=1
	v_mov_b32_e32 v1, s17
	v_add_co_u32_e64 v42, s[2:3], s16, v28
	v_addc_co_u32_e64 v43, s[2:3], v29, v1, s[2:3]
	global_load_dwordx2 v[44:45], v[42:43], off
.LBB8_8:                                ;   in Loop: Header=BB8_4 Depth=1
	s_or_b64 exec, exec, s[6:7]
	v_mov_b32_e32 v1, s35
	v_add_co_u32_e64 v42, s[2:3], s36, v34
	v_addc_co_u32_e64 v43, s[2:3], v1, v35, s[2:3]
	v_cmp_gt_u64_e64 s[2:3], s[18:19], v[42:43]
	v_mov_b32_e32 v40, 0
	v_mov_b32_e32 v43, 0
	;; [unrolled: 1-line block ×3, first 2 shown]
	s_and_saveexec_b64 s[8:9], s[2:3]
	s_cbranch_execz .LBB8_10
; %bb.9:                                ;   in Loop: Header=BB8_4 Depth=1
	v_mov_b32_e32 v1, s17
	v_add_co_u32_e64 v40, s[6:7], s16, v24
	v_addc_co_u32_e64 v41, s[6:7], v25, v1, s[6:7]
	global_load_dwordx2 v[42:43], v[40:41], off
	v_add_co_u32_e64 v40, s[6:7], s16, v26
	v_addc_co_u32_e64 v41, s[6:7], v27, v1, s[6:7]
	global_load_dwordx2 v[40:41], v[40:41], off
.LBB8_10:                               ;   in Loop: Header=BB8_4 Depth=1
	s_or_b64 exec, exec, s[8:9]
	v_mov_b32_e32 v47, 0
	v_mov_b32_e32 v51, 0
	;; [unrolled: 1-line block ×3, first 2 shown]
	s_and_saveexec_b64 s[8:9], s[2:3]
	s_cbranch_execz .LBB8_12
; %bb.11:                               ;   in Loop: Header=BB8_4 Depth=1
	v_mov_b32_e32 v1, s17
	v_add_co_u32_e64 v48, s[6:7], s16, v30
	v_addc_co_u32_e64 v49, s[6:7], v31, v1, s[6:7]
	global_load_dwordx2 v[50:51], v[48:49], off
.LBB8_12:                               ;   in Loop: Header=BB8_4 Depth=1
	s_or_b64 exec, exec, s[8:9]
	v_mov_b32_e32 v1, s38
	v_add_co_u32_e64 v48, s[6:7], s37, v34
	v_addc_co_u32_e64 v49, s[6:7], v1, v35, s[6:7]
	v_cmp_gt_u64_e64 s[6:7], s[18:19], v[48:49]
	v_mov_b32_e32 v46, 0
	v_mov_b32_e32 v49, 0
	;; [unrolled: 1-line block ×3, first 2 shown]
	s_and_saveexec_b64 s[10:11], s[6:7]
	s_cbranch_execz .LBB8_14
; %bb.13:                               ;   in Loop: Header=BB8_4 Depth=1
	v_mov_b32_e32 v1, s17
	v_add_co_u32_e64 v46, s[8:9], s16, v16
	v_addc_co_u32_e64 v47, s[8:9], v17, v1, s[8:9]
	global_load_dwordx2 v[48:49], v[46:47], off
	v_add_co_u32_e64 v46, s[8:9], s16, v18
	v_addc_co_u32_e64 v47, s[8:9], v19, v1, s[8:9]
	global_load_dwordx2 v[46:47], v[46:47], off
.LBB8_14:                               ;   in Loop: Header=BB8_4 Depth=1
	s_or_b64 exec, exec, s[10:11]
	v_mov_b32_e32 v53, 0
	v_mov_b32_e32 v57, 0
	;; [unrolled: 1-line block ×3, first 2 shown]
	s_and_saveexec_b64 s[10:11], s[6:7]
	s_cbranch_execz .LBB8_16
; %bb.15:                               ;   in Loop: Header=BB8_4 Depth=1
	v_mov_b32_e32 v1, s17
	v_add_co_u32_e64 v54, s[8:9], s16, v20
	v_addc_co_u32_e64 v55, s[8:9], v21, v1, s[8:9]
	global_load_dwordx2 v[56:57], v[54:55], off
.LBB8_16:                               ;   in Loop: Header=BB8_4 Depth=1
	s_or_b64 exec, exec, s[10:11]
	v_mov_b32_e32 v1, s40
	v_add_co_u32_e64 v54, s[8:9], s39, v34
	v_addc_co_u32_e64 v55, s[8:9], v1, v35, s[8:9]
	v_cmp_gt_u64_e64 s[8:9], s[18:19], v[54:55]
	v_mov_b32_e32 v52, 0
	v_mov_b32_e32 v54, 0
	;; [unrolled: 1-line block ×3, first 2 shown]
	s_and_saveexec_b64 s[24:25], s[8:9]
	s_cbranch_execz .LBB8_18
; %bb.17:                               ;   in Loop: Header=BB8_4 Depth=1
	v_mov_b32_e32 v1, s17
	v_add_co_u32_e64 v52, s[10:11], s16, v8
	v_addc_co_u32_e64 v53, s[10:11], v9, v1, s[10:11]
	global_load_dwordx2 v[54:55], v[52:53], off
	v_add_co_u32_e64 v52, s[10:11], s16, v10
	v_addc_co_u32_e64 v53, s[10:11], v11, v1, s[10:11]
	global_load_dwordx2 v[52:53], v[52:53], off
.LBB8_18:                               ;   in Loop: Header=BB8_4 Depth=1
	s_or_b64 exec, exec, s[24:25]
	v_mov_b32_e32 v58, 0
	v_mov_b32_e32 v59, 0
	s_and_saveexec_b64 s[24:25], s[8:9]
	s_cbranch_execnz .LBB8_23
; %bb.19:                               ;   in Loop: Header=BB8_4 Depth=1
	s_or_b64 exec, exec, s[24:25]
	s_and_saveexec_b64 s[10:11], vcc
	s_cbranch_execnz .LBB8_24
.LBB8_20:                               ;   in Loop: Header=BB8_4 Depth=1
	s_or_b64 exec, exec, s[10:11]
	s_and_saveexec_b64 s[10:11], s[2:3]
	s_cbranch_execnz .LBB8_25
.LBB8_21:                               ;   in Loop: Header=BB8_4 Depth=1
	s_or_b64 exec, exec, s[10:11]
	s_and_saveexec_b64 s[2:3], s[6:7]
	s_cbranch_execnz .LBB8_26
.LBB8_22:                               ;   in Loop: Header=BB8_4 Depth=1
	s_or_b64 exec, exec, s[2:3]
	s_and_saveexec_b64 s[2:3], s[8:9]
	s_cbranch_execz .LBB8_3
	s_branch .LBB8_27
.LBB8_23:                               ;   in Loop: Header=BB8_4 Depth=1
	v_mov_b32_e32 v1, s17
	v_add_co_u32_e64 v58, s[10:11], s16, v12
	v_addc_co_u32_e64 v59, s[10:11], v13, v1, s[10:11]
	global_load_dwordx2 v[58:59], v[58:59], off
	s_or_b64 exec, exec, s[24:25]
	s_and_saveexec_b64 s[10:11], vcc
	s_cbranch_execz .LBB8_20
.LBB8_24:                               ;   in Loop: Header=BB8_4 Depth=1
	s_waitcnt vmcnt(0)
	v_mul_f32_e32 v1, v39, v44
	v_mul_f32_e32 v39, v39, v45
	v_fmac_f32_e32 v1, v38, v45
	v_fma_f32 v38, v38, v44, -v39
	v_mul_f32_e32 v39, s13, v38
	v_fmac_f32_e32 v39, s12, v1
	v_cndmask_b32_e64 v39, v39, v1, s[0:1]
	v_mul_f32_e32 v1, s13, v1
	v_fma_f32 v1, v38, s12, -v1
	v_cndmask_b32_e64 v1, v1, v38, s[0:1]
	v_add_f32_e32 v36, v36, v1
	v_mov_b32_e32 v1, s17
	v_add_co_u32_e32 v38, vcc, s16, v6
	v_add_f32_e32 v37, v37, v39
	v_addc_co_u32_e32 v39, vcc, v7, v1, vcc
	global_store_dwordx2 v[38:39], v[36:37], off offset:-4
	s_or_b64 exec, exec, s[10:11]
	s_and_saveexec_b64 s[10:11], s[2:3]
	s_cbranch_execz .LBB8_21
.LBB8_25:                               ;   in Loop: Header=BB8_4 Depth=1
	s_waitcnt vmcnt(0)
	v_mul_f32_e32 v36, v41, v50
	v_mul_f32_e32 v1, v41, v51
	v_fmac_f32_e32 v36, v40, v51
	v_fma_f32 v1, v40, v50, -v1
	v_mul_f32_e32 v37, s13, v36
	v_fma_f32 v37, v1, s12, -v37
	v_mul_f32_e32 v38, s13, v1
	v_fmac_f32_e32 v38, s12, v36
	v_cndmask_b32_e64 v1, v37, v1, s[0:1]
	v_cndmask_b32_e64 v37, v38, v36, s[0:1]
	v_add_f32_e32 v36, v42, v1
	v_mov_b32_e32 v1, s17
	v_add_co_u32_e32 v38, vcc, s16, v32
	v_add_f32_e32 v37, v43, v37
	v_addc_co_u32_e32 v39, vcc, v33, v1, vcc
	global_store_dwordx2 v[38:39], v[36:37], off offset:-4
	s_or_b64 exec, exec, s[10:11]
	s_and_saveexec_b64 s[2:3], s[6:7]
	s_cbranch_execz .LBB8_22
.LBB8_26:                               ;   in Loop: Header=BB8_4 Depth=1
	s_waitcnt vmcnt(0)
	v_mul_f32_e32 v36, v47, v56
	v_mul_f32_e32 v1, v47, v57
	v_fmac_f32_e32 v36, v46, v57
	v_fma_f32 v1, v46, v56, -v1
	v_mul_f32_e32 v37, s13, v36
	v_fma_f32 v37, v1, s12, -v37
	v_mul_f32_e32 v38, s13, v1
	v_fmac_f32_e32 v38, s12, v36
	v_cndmask_b32_e64 v1, v37, v1, s[0:1]
	v_cndmask_b32_e64 v37, v38, v36, s[0:1]
	v_add_f32_e32 v36, v48, v1
	v_mov_b32_e32 v1, s17
	v_add_co_u32_e32 v38, vcc, s16, v22
	v_add_f32_e32 v37, v49, v37
	v_addc_co_u32_e32 v39, vcc, v23, v1, vcc
	global_store_dwordx2 v[38:39], v[36:37], off offset:-4
	s_or_b64 exec, exec, s[2:3]
	s_and_saveexec_b64 s[2:3], s[8:9]
	s_cbranch_execz .LBB8_3
.LBB8_27:                               ;   in Loop: Header=BB8_4 Depth=1
	s_waitcnt vmcnt(0)
	v_mov_b32_e32 v36, v53
	v_pk_mul_f32 v[36:37], v[36:37], v[58:59] op_sel_hi:[0,1]
	v_pk_fma_f32 v[38:39], v[52:53], v[58:59], v[36:37] op_sel:[0,0,1] op_sel_hi:[0,1,0] neg_lo:[0,0,1] neg_hi:[0,0,1]
	v_pk_fma_f32 v[36:37], v[52:53], v[58:59], v[36:37] op_sel:[0,0,1] op_sel_hi:[0,1,0]
	v_pk_mul_f32 v[40:41], v[36:37], s[12:13] op_sel:[1,0]
	v_pk_fma_f32 v[42:43], v[38:39], s[12:13], v[40:41] op_sel:[0,0,1] op_sel_hi:[1,1,0] neg_lo:[0,0,1] neg_hi:[0,0,1]
	v_pk_fma_f32 v[40:41], v[38:39], s[12:13], v[40:41] op_sel:[0,0,1] op_sel_hi:[0,1,0]
	v_cndmask_b32_e64 v37, v41, v37, s[0:1]
	v_cndmask_b32_e64 v36, v42, v38, s[0:1]
	v_mov_b32_e32 v1, s17
	v_add_co_u32_e32 v38, vcc, s16, v14
	v_pk_add_f32 v[36:37], v[54:55], v[36:37]
	v_addc_co_u32_e32 v39, vcc, v15, v1, vcc
	global_store_dwordx2 v[38:39], v[36:37], off
	s_branch .LBB8_3
.LBB8_28:
	s_mov_b64 s[0:1], 0
.LBB8_29:
	s_andn2_b64 vcc, exec, s[0:1]
	s_cbranch_vccnz .LBB8_33
; %bb.30:
	v_mov_b32_e32 v3, 0
	v_lshlrev_b32_e32 v2, 2, v0
	s_mov_b32 s0, 0
	v_cmp_gt_i64_e32 vcc, s[14:15], v[2:3]
	s_and_saveexec_b64 s[2:3], vcc
	s_cbranch_execz .LBB8_33
; %bb.31:
	s_load_dword s1, s[4:5], 0xc04
	s_and_b32 s4, s13, 0x7fffffff
	s_cmp_eq_u32 s4, 0
	v_cmp_eq_f32_e64 s[2:3], s12, 1.0
	s_cselect_b64 s[4:5], -1, 0
	s_waitcnt lgkmcnt(0)
	s_and_b32 s1, s1, 0xffff
	s_and_b64 vcc, s[2:3], s[4:5]
	v_add_lshl_u32 v2, v0, s1, 2
	s_lshl_b32 s10, s1, 2
	v_lshlrev_b32_e32 v0, 5, v0
	s_lshl_b32 s11, s1, 5
	s_mov_b64 s[6:7], 0
	s_mov_b64 s[8:9], 0xffff
	v_mov_b32_e32 v1, s0
.LBB8_32:                               ; =>This Inner Loop Header: Depth=1
	v_mov_b32_e32 v5, s29
	v_add_co_u32_e64 v28, s[0:1], s28, v0
	v_mov_b32_e32 v4, s27
	v_mov_b32_e32 v6, s31
	v_add_co_u32_e64 v30, s[2:3], s30, v0
	v_add_co_u32_e64 v32, s[4:5], s26, v0
	v_addc_co_u32_e64 v29, s[0:1], 0, v5, s[0:1]
	v_addc_co_u32_e64 v33, s[4:5], 0, v4, s[4:5]
	v_addc_co_u32_e64 v31, s[0:1], 0, v6, s[2:3]
	global_load_dwordx4 v[4:7], v[28:29], off
	global_load_dwordx4 v[8:11], v[30:31], off
	global_load_dwordx4 v[12:15], v[28:29], off offset:16
	global_load_dwordx4 v[16:19], v[30:31], off offset:16
	global_load_dwordx4 v[20:23], v[32:33], off
	global_load_dwordx4 v[24:27], v[32:33], off offset:16
	v_cmp_le_i64_e64 s[0:1], s[14:15], v[2:3]
	v_cmp_lt_u64_e64 s[2:3], s[8:9], v[2:3]
	s_or_b64 s[0:1], s[0:1], s[2:3]
	v_add_co_u32_e64 v2, s[4:5], s10, v2
	s_add_u32 s26, s26, s11
	v_addc_co_u32_e64 v3, s[4:5], v3, v1, s[4:5]
	s_addc_u32 s27, s27, 0
	v_add_co_u32_e64 v28, s[4:5], s33, v0
	s_add_u32 s33, s33, s11
	v_mov_b32_e32 v29, s34
	s_addc_u32 s34, s34, 0
	s_add_u32 s28, s28, s11
	s_addc_u32 s29, s29, 0
	s_add_u32 s30, s30, s11
	s_addc_u32 s31, s31, 0
	s_and_b64 s[0:1], exec, s[0:1]
	v_addc_co_u32_e64 v29, s[4:5], 0, v29, s[4:5]
	s_or_b64 s[6:7], s[0:1], s[6:7]
	s_waitcnt vmcnt(4)
	v_mul_f32_e32 v30, v5, v9
	v_mul_f32_e32 v9, v4, v9
	;; [unrolled: 1-line block ×4, first 2 shown]
	s_waitcnt vmcnt(2)
	v_mul_f32_e32 v32, v13, v17
	v_mul_f32_e32 v17, v12, v17
	;; [unrolled: 1-line block ×4, first 2 shown]
	v_fma_f32 v4, v4, v8, -v30
	v_fmac_f32_e32 v9, v5, v8
	v_fma_f32 v5, v6, v10, -v31
	v_fmac_f32_e32 v11, v7, v10
	;; [unrolled: 2-line block ×4, first 2 shown]
	v_mul_f32_e32 v8, s13, v9
	v_mul_f32_e32 v10, s13, v4
	;; [unrolled: 1-line block ×8, first 2 shown]
	v_fma_f32 v8, v4, s12, -v8
	v_fmac_f32_e32 v10, s12, v9
	v_fma_f32 v12, v5, s12, -v12
	v_fmac_f32_e32 v13, s12, v11
	;; [unrolled: 2-line block ×4, first 2 shown]
	v_cndmask_b32_e32 v4, v8, v4, vcc
	v_cndmask_b32_e32 v8, v10, v9, vcc
	;; [unrolled: 1-line block ×8, first 2 shown]
	s_waitcnt vmcnt(1)
	v_add_f32_e32 v4, v20, v4
	v_add_f32_e32 v5, v21, v8
	;; [unrolled: 1-line block ×4, first 2 shown]
	s_waitcnt vmcnt(0)
	v_add_f32_e32 v8, v24, v11
	v_add_f32_e32 v9, v25, v12
	;; [unrolled: 1-line block ×4, first 2 shown]
	global_store_dwordx4 v[28:29], v[4:7], off
	global_store_dwordx4 v[28:29], v[8:11], off offset:16
	s_andn2_b64 exec, exec, s[6:7]
	s_cbranch_execnz .LBB8_32
.LBB8_33:
	s_endpgm
	.section	.rodata,"a",@progbits
	.p2align	6, 0x0
	.amdhsa_kernel _ZN2at6native12_GLOBAL__N_125multi_tensor_apply_kernelINS1_18TensorListMetadataILi4EEENS1_24PointwiseOpScalarFunctorIN3c107complexIfEELi4ELi3ELi3EEEJSt10multipliesIS8_ES8_EEEvT_T0_DpT1_
		.amdhsa_group_segment_fixed_size 0
		.amdhsa_private_segment_fixed_size 0
		.amdhsa_kernarg_size 3320
		.amdhsa_user_sgpr_count 6
		.amdhsa_user_sgpr_private_segment_buffer 1
		.amdhsa_user_sgpr_dispatch_ptr 0
		.amdhsa_user_sgpr_queue_ptr 0
		.amdhsa_user_sgpr_kernarg_segment_ptr 1
		.amdhsa_user_sgpr_dispatch_id 0
		.amdhsa_user_sgpr_flat_scratch_init 0
		.amdhsa_user_sgpr_kernarg_preload_length 0
		.amdhsa_user_sgpr_kernarg_preload_offset 0
		.amdhsa_user_sgpr_private_segment_size 0
		.amdhsa_uses_dynamic_stack 0
		.amdhsa_system_sgpr_private_segment_wavefront_offset 0
		.amdhsa_system_sgpr_workgroup_id_x 1
		.amdhsa_system_sgpr_workgroup_id_y 0
		.amdhsa_system_sgpr_workgroup_id_z 0
		.amdhsa_system_sgpr_workgroup_info 0
		.amdhsa_system_vgpr_workitem_id 0
		.amdhsa_next_free_vgpr 60
		.amdhsa_next_free_sgpr 43
		.amdhsa_accum_offset 60
		.amdhsa_reserve_vcc 1
		.amdhsa_reserve_flat_scratch 0
		.amdhsa_float_round_mode_32 0
		.amdhsa_float_round_mode_16_64 0
		.amdhsa_float_denorm_mode_32 3
		.amdhsa_float_denorm_mode_16_64 3
		.amdhsa_dx10_clamp 1
		.amdhsa_ieee_mode 1
		.amdhsa_fp16_overflow 0
		.amdhsa_tg_split 0
		.amdhsa_exception_fp_ieee_invalid_op 0
		.amdhsa_exception_fp_denorm_src 0
		.amdhsa_exception_fp_ieee_div_zero 0
		.amdhsa_exception_fp_ieee_overflow 0
		.amdhsa_exception_fp_ieee_underflow 0
		.amdhsa_exception_fp_ieee_inexact 0
		.amdhsa_exception_int_div_zero 0
	.end_amdhsa_kernel
	.section	.text._ZN2at6native12_GLOBAL__N_125multi_tensor_apply_kernelINS1_18TensorListMetadataILi4EEENS1_24PointwiseOpScalarFunctorIN3c107complexIfEELi4ELi3ELi3EEEJSt10multipliesIS8_ES8_EEEvT_T0_DpT1_,"axG",@progbits,_ZN2at6native12_GLOBAL__N_125multi_tensor_apply_kernelINS1_18TensorListMetadataILi4EEENS1_24PointwiseOpScalarFunctorIN3c107complexIfEELi4ELi3ELi3EEEJSt10multipliesIS8_ES8_EEEvT_T0_DpT1_,comdat
.Lfunc_end8:
	.size	_ZN2at6native12_GLOBAL__N_125multi_tensor_apply_kernelINS1_18TensorListMetadataILi4EEENS1_24PointwiseOpScalarFunctorIN3c107complexIfEELi4ELi3ELi3EEEJSt10multipliesIS8_ES8_EEEvT_T0_DpT1_, .Lfunc_end8-_ZN2at6native12_GLOBAL__N_125multi_tensor_apply_kernelINS1_18TensorListMetadataILi4EEENS1_24PointwiseOpScalarFunctorIN3c107complexIfEELi4ELi3ELi3EEEJSt10multipliesIS8_ES8_EEEvT_T0_DpT1_
                                        ; -- End function
	.section	.AMDGPU.csdata,"",@progbits
; Kernel info:
; codeLenInByte = 2616
; NumSgprs: 47
; NumVgprs: 60
; NumAgprs: 0
; TotalNumVgprs: 60
; ScratchSize: 0
; MemoryBound: 0
; FloatMode: 240
; IeeeMode: 1
; LDSByteSize: 0 bytes/workgroup (compile time only)
; SGPRBlocks: 5
; VGPRBlocks: 7
; NumSGPRsForWavesPerEU: 47
; NumVGPRsForWavesPerEU: 60
; AccumOffset: 60
; Occupancy: 8
; WaveLimiterHint : 0
; COMPUTE_PGM_RSRC2:SCRATCH_EN: 0
; COMPUTE_PGM_RSRC2:USER_SGPR: 6
; COMPUTE_PGM_RSRC2:TRAP_HANDLER: 0
; COMPUTE_PGM_RSRC2:TGID_X_EN: 1
; COMPUTE_PGM_RSRC2:TGID_Y_EN: 0
; COMPUTE_PGM_RSRC2:TGID_Z_EN: 0
; COMPUTE_PGM_RSRC2:TIDIG_COMP_CNT: 0
; COMPUTE_PGM_RSRC3_GFX90A:ACCUM_OFFSET: 14
; COMPUTE_PGM_RSRC3_GFX90A:TG_SPLIT: 0
	.section	.text._ZN2at6native12_GLOBAL__N_125multi_tensor_apply_kernelINS1_18TensorListMetadataILi4EEENS1_24PointwiseOpScalarFunctorIN3c104HalfELi4ELi3ELi3EEEJSt10multipliesIfEfEEEvT_T0_DpT1_,"axG",@progbits,_ZN2at6native12_GLOBAL__N_125multi_tensor_apply_kernelINS1_18TensorListMetadataILi4EEENS1_24PointwiseOpScalarFunctorIN3c104HalfELi4ELi3ELi3EEEJSt10multipliesIfEfEEEvT_T0_DpT1_,comdat
	.globl	_ZN2at6native12_GLOBAL__N_125multi_tensor_apply_kernelINS1_18TensorListMetadataILi4EEENS1_24PointwiseOpScalarFunctorIN3c104HalfELi4ELi3ELi3EEEJSt10multipliesIfEfEEEvT_T0_DpT1_ ; -- Begin function _ZN2at6native12_GLOBAL__N_125multi_tensor_apply_kernelINS1_18TensorListMetadataILi4EEENS1_24PointwiseOpScalarFunctorIN3c104HalfELi4ELi3ELi3EEEJSt10multipliesIfEfEEEvT_T0_DpT1_
	.p2align	8
	.type	_ZN2at6native12_GLOBAL__N_125multi_tensor_apply_kernelINS1_18TensorListMetadataILi4EEENS1_24PointwiseOpScalarFunctorIN3c104HalfELi4ELi3ELi3EEEJSt10multipliesIfEfEEEvT_T0_DpT1_,@function
_ZN2at6native12_GLOBAL__N_125multi_tensor_apply_kernelINS1_18TensorListMetadataILi4EEENS1_24PointwiseOpScalarFunctorIN3c104HalfELi4ELi3ELi3EEEJSt10multipliesIfEfEEEvT_T0_DpT1_: ; @_ZN2at6native12_GLOBAL__N_125multi_tensor_apply_kernelINS1_18TensorListMetadataILi4EEENS1_24PointwiseOpScalarFunctorIN3c104HalfELi4ELi3ELi3EEEJSt10multipliesIfEfEEEvT_T0_DpT1_
; %bb.0:
	v_mov_b32_e32 v1, s6
	global_load_ubyte v1, v1, s[4:5] offset:1440
	s_add_u32 s0, s4, s6
	s_mul_hi_u32 s1, s6, 3
	s_mul_i32 s6, s6, 3
	s_addc_u32 s2, s5, 0
	s_add_u32 s0, s0, s6
	s_addc_u32 s1, s2, s1
	s_load_dword s0, s[0:1], 0x6e0
	s_mov_b32 s3, 0
	s_mov_b32 s13, s3
	;; [unrolled: 1-line block ×3, first 2 shown]
	s_waitcnt lgkmcnt(0)
	s_ashr_i32 s1, s0, 31
	s_lshl_b64 s[14:15], s[0:1], 17
	s_waitcnt vmcnt(0)
	v_readfirstlane_b32 s2, v1
	s_lshl_b32 s2, s2, 3
	s_load_dwordx2 s[20:21], s[4:5], s2 offset:0x0
	s_load_dword s24, s[4:5], 0xbec
	s_load_dwordx2 s[18:19], s[4:5], s2 offset:0x480
	s_load_dwordx2 s[10:11], s[4:5], s2 offset:0x120
	;; [unrolled: 1-line block ×4, first 2 shown]
	s_waitcnt lgkmcnt(0)
	s_add_u32 s25, s20, s14
	s_addc_u32 s26, s21, s15
	s_and_b32 s2, s25, 7
	s_add_u32 s27, s10, s14
	s_addc_u32 s28, s11, s15
	s_and_b32 s12, s27, 7
	s_cmp_eq_u64 s[12:13], 0
	s_cselect_b64 s[12:13], -1, 0
	s_add_u32 s29, s8, s14
	s_addc_u32 s30, s9, s15
	s_add_u32 s31, s6, s14
	s_addc_u32 s33, s7, s15
	s_or_b32 s16, s31, s29
	s_and_b32 s16, s16, 7
	s_cmp_eq_u32 s16, 0
	s_cselect_b64 s[22:23], -1, 0
	s_lshl_b64 s[0:1], s[0:1], 16
	s_and_b64 s[22:23], s[22:23], s[12:13]
	s_sub_u32 s12, s18, s0
	s_subb_u32 s13, s19, s1
	s_and_b32 s16, s18, 3
	s_or_b64 s[0:1], s[2:3], s[16:17]
	s_cmp_eq_u64 s[0:1], 0
	s_cselect_b64 s[0:1], -1, 0
	s_and_b64 s[2:3], s[22:23], s[0:1]
	s_mov_b64 s[0:1], -1
	s_and_b64 vcc, exec, s[2:3]
	s_cbranch_vccnz .LBB9_45
; %bb.1:
	v_cmp_lt_i64_e64 s[0:1], s[12:13], 1
	s_and_b64 vcc, exec, s[0:1]
	s_cbranch_vccnz .LBB9_44
; %bb.2:
	s_load_dword s0, s[4:5], 0xbfc
	v_mov_b32_e32 v19, 0
	v_lshlrev_b32_e32 v18, 1, v0
	v_mov_b32_e32 v21, s21
	v_mov_b32_e32 v23, s11
	s_waitcnt lgkmcnt(0)
	s_and_b32 s22, s0, 0xffff
	v_mad_u64_u32 v[16:17], s[2:3], s22, 6, v[18:19]
	v_add_co_u32_e64 v10, s[2:3], s20, v16
	v_addc_co_u32_e64 v5, s[2:3], v21, v17, s[2:3]
	v_add_co_u32_e64 v12, s[2:3], s10, v16
	v_addc_co_u32_e64 v7, s[2:3], v23, v17, s[2:3]
	v_mov_b32_e32 v27, s9
	v_add_co_u32_e64 v14, s[2:3], s8, v16
	v_mov_b32_e32 v2, 0x10000
	v_addc_co_u32_e64 v9, s[2:3], v27, v17, s[2:3]
	v_mov_b32_e32 v3, 0
	v_mov_b32_e32 v31, s7
	v_add_co_u32_e64 v16, s[2:3], s6, v16
	v_cmp_lt_u64_e32 vcc, s[12:13], v[2:3]
	s_mul_i32 s37, s22, 3
	v_addc_co_u32_e64 v11, s[2:3], v31, v17, s[2:3]
	s_and_b64 s[0:1], vcc, exec
	v_add_co_u32_e32 v2, vcc, s20, v18
	v_add_co_u32_e64 v33, s[2:3], s37, v0
	s_cselect_b32 s17, s13, 0
	s_cselect_b32 s16, s12, 0x10000
	s_lshl_b32 s35, s22, 2
	v_addc_co_u32_e32 v1, vcc, 0, v21, vcc
	v_addc_co_u32_e64 v34, s[2:3], 0, 0, s[2:3]
	v_add_co_u32_e32 v4, vcc, s10, v18
	v_add_co_u32_e64 v19, s[2:3], s35, v18
	v_addc_co_u32_e32 v3, vcc, 0, v23, vcc
	v_addc_co_u32_e64 v25, s[2:3], 0, 0, s[2:3]
	v_add_co_u32_e32 v6, vcc, s8, v18
	v_add_co_u32_e64 v8, s[0:1], s6, v18
	v_add_co_u32_e64 v18, s[2:3], s20, v19
	v_addc_co_u32_e64 v13, s[2:3], v21, v25, s[2:3]
	v_add_co_u32_e64 v20, s[2:3], s10, v19
	v_addc_co_u32_e64 v15, s[2:3], v23, v25, s[2:3]
	;; [unrolled: 2-line block ×3, first 2 shown]
	v_add_co_u32_e64 v24, s[2:3], s6, v19
	s_lshl_b32 s23, s22, 1
	v_addc_co_u32_e64 v19, s[2:3], v31, v25, s[2:3]
	v_add_co_u32_e64 v35, s[2:3], s23, v0
	v_addc_co_u32_e64 v36, s[2:3], 0, 0, s[2:3]
	v_add_co_u32_e64 v37, s[2:3], s22, v0
	v_addc_co_u32_e64 v38, s[2:3], 0, 0, s[2:3]
	v_lshlrev_b32_e32 v29, 1, v37
	v_addc_co_u32_e32 v25, vcc, 0, v27, vcc
	v_add_co_u32_e64 v26, s[2:3], s20, v29
	v_add_co_u32_e32 v30, vcc, s8, v29
	v_addc_co_u32_e64 v21, s[2:3], 0, v21, s[2:3]
	v_addc_co_u32_e32 v27, vcc, 0, v27, vcc
	v_add_co_u32_e64 v28, s[2:3], s10, v29
	v_add_co_u32_e32 v32, vcc, s6, v29
	s_mov_b32 s34, 0
	v_cmp_neq_f32_e64 s[18:19], s24, 1.0
	s_lshl_b32 s36, s22, 3
	s_mov_b64 s[20:21], 0
	v_addc_co_u32_e64 v23, s[2:3], 0, v23, s[2:3]
	v_addc_co_u32_e64 v29, s[0:1], 0, v31, s[0:1]
	v_addc_co_u32_e32 v31, vcc, 0, v31, vcc
	s_branch .LBB9_4
.LBB9_3:                                ;   in Loop: Header=BB9_4 Depth=1
	s_or_b64 exec, exec, s[0:1]
	v_mov_b32_e32 v39, s34
	v_add_co_u32_e64 v2, s[2:3], s36, v2
	v_addc_co_u32_e64 v1, s[2:3], v1, v39, s[2:3]
	v_add_co_u32_e64 v4, s[2:3], s36, v4
	v_addc_co_u32_e64 v3, s[2:3], v3, v39, s[2:3]
	v_add_co_u32_e64 v6, s[2:3], s36, v6
	v_addc_co_u32_e64 v25, s[2:3], v25, v39, s[2:3]
	v_add_co_u32_e64 v8, s[2:3], s36, v8
	v_addc_co_u32_e64 v29, s[2:3], v29, v39, s[2:3]
	v_add_co_u32_e64 v10, s[2:3], s36, v10
	v_addc_co_u32_e64 v5, s[2:3], v5, v39, s[2:3]
	v_add_co_u32_e64 v12, s[2:3], s36, v12
	v_addc_co_u32_e64 v7, s[2:3], v7, v39, s[2:3]
	v_add_co_u32_e64 v14, s[2:3], s36, v14
	v_addc_co_u32_e64 v9, s[2:3], v9, v39, s[2:3]
	v_add_co_u32_e64 v16, s[2:3], s36, v16
	v_addc_co_u32_e64 v11, s[2:3], v11, v39, s[2:3]
	v_add_co_u32_e64 v18, s[2:3], s36, v18
	v_addc_co_u32_e64 v13, s[2:3], v13, v39, s[2:3]
	v_add_co_u32_e64 v20, s[2:3], s36, v20
	v_addc_co_u32_e64 v15, s[2:3], v15, v39, s[2:3]
	v_add_co_u32_e64 v22, s[2:3], s36, v22
	v_addc_co_u32_e64 v17, s[2:3], v17, v39, s[2:3]
	v_add_co_u32_e64 v24, s[2:3], s36, v24
	v_addc_co_u32_e64 v19, s[2:3], v19, v39, s[2:3]
	v_add_co_u32_e64 v26, s[2:3], s36, v26
	s_add_u32 s20, s20, s35
	v_addc_co_u32_e64 v21, s[2:3], v21, v39, s[2:3]
	s_addc_u32 s21, s21, 0
	v_pk_mov_b32 v[40:41], s[12:13], s[12:13] op_sel:[0,1]
	v_add_co_u32_e64 v28, s[2:3], s36, v28
	v_cmp_ge_i64_e32 vcc, s[20:21], v[40:41]
	v_mov_b32_e32 v40, 0xffff
	v_addc_co_u32_e64 v23, s[2:3], v23, v39, s[2:3]
	v_mov_b32_e32 v41, 0
	v_add_co_u32_e64 v30, s[2:3], s36, v30
	v_cmp_gt_u64_e64 s[0:1], s[20:21], v[40:41]
	v_addc_co_u32_e64 v27, s[2:3], v27, v39, s[2:3]
	v_add_co_u32_e64 v32, s[2:3], s36, v32
	s_or_b64 s[0:1], vcc, s[0:1]
	v_addc_co_u32_e64 v31, s[2:3], v31, v39, s[2:3]
	s_and_b64 vcc, exec, s[0:1]
	s_cbranch_vccnz .LBB9_44
.LBB9_4:                                ; =>This Inner Loop Header: Depth=1
	v_mov_b32_e32 v39, s21
	v_add_co_u32_e32 v40, vcc, s20, v0
	v_addc_co_u32_e32 v41, vcc, 0, v39, vcc
	v_cmp_gt_u64_e64 s[0:1], s[16:17], v[40:41]
	v_mov_b32_e32 v40, 0
	v_mov_b32_e32 v41, 0
	s_and_saveexec_b64 s[2:3], s[0:1]
	s_cbranch_execz .LBB9_6
; %bb.5:                                ;   in Loop: Header=BB9_4 Depth=1
	v_mov_b32_e32 v39, s15
	v_add_co_u32_e32 v42, vcc, s14, v2
	v_addc_co_u32_e32 v43, vcc, v1, v39, vcc
	v_add_co_u32_e32 v44, vcc, s14, v4
	v_addc_co_u32_e32 v45, vcc, v3, v39, vcc
	global_load_ushort v40, v[42:43], off
	global_load_ushort v41, v[44:45], off
.LBB9_6:                                ;   in Loop: Header=BB9_4 Depth=1
	s_or_b64 exec, exec, s[2:3]
	v_mov_b32_e32 v39, 0
	v_mov_b32_e32 v44, 0
	s_and_saveexec_b64 s[2:3], s[0:1]
	s_cbranch_execz .LBB9_8
; %bb.7:                                ;   in Loop: Header=BB9_4 Depth=1
	v_mov_b32_e32 v43, s15
	v_add_co_u32_e32 v42, vcc, s14, v6
	v_addc_co_u32_e32 v43, vcc, v25, v43, vcc
	global_load_ushort v44, v[42:43], off
.LBB9_8:                                ;   in Loop: Header=BB9_4 Depth=1
	s_or_b64 exec, exec, s[2:3]
	v_mov_b32_e32 v43, s21
	v_add_co_u32_e32 v42, vcc, s20, v37
	v_addc_co_u32_e32 v43, vcc, v38, v43, vcc
	v_cmp_gt_u64_e64 s[2:3], s[16:17], v[42:43]
	v_mov_b32_e32 v43, 0
	s_and_saveexec_b64 s[6:7], s[2:3]
	s_cbranch_execz .LBB9_10
; %bb.9:                                ;   in Loop: Header=BB9_4 Depth=1
	v_mov_b32_e32 v39, s15
	v_add_co_u32_e32 v46, vcc, s14, v26
	v_addc_co_u32_e32 v47, vcc, v21, v39, vcc
	v_add_co_u32_e32 v48, vcc, s14, v28
	v_addc_co_u32_e32 v49, vcc, v23, v39, vcc
	global_load_ushort v39, v[46:47], off
	global_load_ushort v43, v[48:49], off
.LBB9_10:                               ;   in Loop: Header=BB9_4 Depth=1
	s_or_b64 exec, exec, s[6:7]
	v_mov_b32_e32 v42, 0
	v_mov_b32_e32 v47, 0
	s_and_saveexec_b64 s[6:7], s[2:3]
	s_cbranch_execz .LBB9_12
; %bb.11:                               ;   in Loop: Header=BB9_4 Depth=1
	v_mov_b32_e32 v45, s15
	v_add_co_u32_e32 v46, vcc, s14, v30
	v_addc_co_u32_e32 v47, vcc, v27, v45, vcc
	global_load_ushort v47, v[46:47], off
.LBB9_12:                               ;   in Loop: Header=BB9_4 Depth=1
	s_or_b64 exec, exec, s[6:7]
	v_mov_b32_e32 v45, s21
	v_add_co_u32_e32 v48, vcc, s20, v35
	v_addc_co_u32_e32 v49, vcc, v36, v45, vcc
	v_cmp_gt_u64_e64 s[6:7], s[16:17], v[48:49]
	v_mov_b32_e32 v46, 0
	s_and_saveexec_b64 s[8:9], s[6:7]
	s_cbranch_execz .LBB9_14
; %bb.13:                               ;   in Loop: Header=BB9_4 Depth=1
	v_mov_b32_e32 v42, s15
	v_add_co_u32_e32 v48, vcc, s14, v18
	v_addc_co_u32_e32 v49, vcc, v13, v42, vcc
	v_add_co_u32_e32 v50, vcc, s14, v20
	v_addc_co_u32_e32 v51, vcc, v15, v42, vcc
	global_load_ushort v42, v[48:49], off
	global_load_ushort v46, v[50:51], off
.LBB9_14:                               ;   in Loop: Header=BB9_4 Depth=1
	s_or_b64 exec, exec, s[8:9]
	v_mov_b32_e32 v45, 0
	v_mov_b32_e32 v48, 0
	s_and_saveexec_b64 s[8:9], s[6:7]
	s_cbranch_execz .LBB9_16
; %bb.15:                               ;   in Loop: Header=BB9_4 Depth=1
	v_mov_b32_e32 v49, s15
	v_add_co_u32_e32 v48, vcc, s14, v22
	v_addc_co_u32_e32 v49, vcc, v17, v49, vcc
	global_load_ushort v48, v[48:49], off
.LBB9_16:                               ;   in Loop: Header=BB9_4 Depth=1
	s_or_b64 exec, exec, s[8:9]
	v_mov_b32_e32 v49, s21
	v_add_co_u32_e32 v50, vcc, s20, v33
	v_addc_co_u32_e32 v51, vcc, v34, v49, vcc
	v_cmp_gt_u64_e64 s[8:9], s[16:17], v[50:51]
	v_mov_b32_e32 v49, 0
	s_and_saveexec_b64 s[10:11], s[8:9]
	s_cbranch_execz .LBB9_18
; %bb.17:                               ;   in Loop: Header=BB9_4 Depth=1
	v_mov_b32_e32 v45, s15
	v_add_co_u32_e32 v50, vcc, s14, v10
	v_addc_co_u32_e32 v51, vcc, v5, v45, vcc
	v_add_co_u32_e32 v52, vcc, s14, v12
	v_addc_co_u32_e32 v53, vcc, v7, v45, vcc
	global_load_ushort v45, v[50:51], off
	global_load_ushort v49, v[52:53], off
.LBB9_18:                               ;   in Loop: Header=BB9_4 Depth=1
	s_or_b64 exec, exec, s[10:11]
	v_mov_b32_e32 v50, 0
	s_and_saveexec_b64 s[10:11], s[8:9]
	s_cbranch_execz .LBB9_20
; %bb.19:                               ;   in Loop: Header=BB9_4 Depth=1
	v_mov_b32_e32 v51, s15
	v_add_co_u32_e32 v50, vcc, s14, v14
	v_addc_co_u32_e32 v51, vcc, v9, v51, vcc
	global_load_ushort v50, v[50:51], off
.LBB9_20:                               ;   in Loop: Header=BB9_4 Depth=1
	s_or_b64 exec, exec, s[10:11]
	s_waitcnt vmcnt(1)
	v_cvt_f32_f16_e32 v51, v40
	s_waitcnt vmcnt(0)
	v_cvt_f32_f16_e32 v41, v41
	v_cvt_f32_f16_e32 v44, v44
	s_and_b64 vcc, exec, s[18:19]
	s_cbranch_vccz .LBB9_40
; %bb.21:                               ;   in Loop: Header=BB9_4 Depth=1
	v_mul_f32_e32 v40, v41, v44
	v_fma_f32 v40, s24, v40, v51
	s_cbranch_execnz .LBB9_23
.LBB9_22:                               ;   in Loop: Header=BB9_4 Depth=1
	v_fmac_f32_e32 v51, v41, v44
	v_mov_b32_e32 v40, v51
.LBB9_23:                               ;   in Loop: Header=BB9_4 Depth=1
	v_cvt_f32_f16_e32 v41, v39
	v_cvt_f32_f16_e32 v43, v43
	;; [unrolled: 1-line block ×3, first 2 shown]
	v_cndmask_b32_e64 v39, 0, 1, s[18:19]
	v_cmp_ne_u32_e64 s[10:11], 1, v39
	s_andn2_b64 vcc, exec, s[18:19]
	s_cbranch_vccnz .LBB9_41
; %bb.24:                               ;   in Loop: Header=BB9_4 Depth=1
	v_mul_f32_e32 v39, v43, v44
	v_fma_f32 v39, s24, v39, v41
	s_cbranch_execnz .LBB9_26
.LBB9_25:                               ;   in Loop: Header=BB9_4 Depth=1
	v_fmac_f32_e32 v41, v43, v44
	v_mov_b32_e32 v39, v41
.LBB9_26:                               ;   in Loop: Header=BB9_4 Depth=1
	v_cvt_f32_f16_e32 v42, v42
	v_cvt_f32_f16_e32 v43, v46
	;; [unrolled: 1-line block ×3, first 2 shown]
	s_and_b64 vcc, exec, s[10:11]
	s_cbranch_vccnz .LBB9_42
; %bb.27:                               ;   in Loop: Header=BB9_4 Depth=1
	v_mul_f32_e32 v41, v43, v44
	v_fma_f32 v41, s24, v41, v42
	s_cbranch_execnz .LBB9_29
.LBB9_28:                               ;   in Loop: Header=BB9_4 Depth=1
	v_fmac_f32_e32 v42, v43, v44
	v_mov_b32_e32 v41, v42
.LBB9_29:                               ;   in Loop: Header=BB9_4 Depth=1
	v_cvt_f32_f16_e32 v43, v45
	v_cvt_f32_f16_e32 v44, v49
	;; [unrolled: 1-line block ×3, first 2 shown]
	s_and_b64 vcc, exec, s[10:11]
	s_cbranch_vccnz .LBB9_43
; %bb.30:                               ;   in Loop: Header=BB9_4 Depth=1
	v_mul_f32_e32 v42, v44, v45
	v_fma_f32 v42, s24, v42, v43
	s_cbranch_execnz .LBB9_32
.LBB9_31:                               ;   in Loop: Header=BB9_4 Depth=1
	v_fmac_f32_e32 v43, v44, v45
	v_mov_b32_e32 v42, v43
.LBB9_32:                               ;   in Loop: Header=BB9_4 Depth=1
	s_and_saveexec_b64 s[10:11], s[0:1]
	s_xor_b64 s[0:1], exec, s[10:11]
	s_cbranch_execnz .LBB9_36
; %bb.33:                               ;   in Loop: Header=BB9_4 Depth=1
	s_or_b64 exec, exec, s[0:1]
	s_and_saveexec_b64 s[0:1], s[2:3]
	s_cbranch_execnz .LBB9_37
.LBB9_34:                               ;   in Loop: Header=BB9_4 Depth=1
	s_or_b64 exec, exec, s[0:1]
	s_and_saveexec_b64 s[0:1], s[6:7]
	s_cbranch_execnz .LBB9_38
.LBB9_35:                               ;   in Loop: Header=BB9_4 Depth=1
	s_or_b64 exec, exec, s[0:1]
	s_and_saveexec_b64 s[0:1], s[8:9]
	s_cbranch_execz .LBB9_3
	s_branch .LBB9_39
.LBB9_36:                               ;   in Loop: Header=BB9_4 Depth=1
	v_cvt_f16_f32_e32 v40, v40
	v_mov_b32_e32 v43, s15
	v_add_co_u32_e32 v44, vcc, s14, v8
	v_addc_co_u32_e32 v45, vcc, v29, v43, vcc
	global_store_short v[44:45], v40, off
	s_or_b64 exec, exec, s[0:1]
	s_and_saveexec_b64 s[0:1], s[2:3]
	s_cbranch_execz .LBB9_34
.LBB9_37:                               ;   in Loop: Header=BB9_4 Depth=1
	v_cvt_f16_f32_e32 v39, v39
	v_mov_b32_e32 v40, s15
	v_add_co_u32_e32 v44, vcc, s14, v32
	v_addc_co_u32_e32 v45, vcc, v31, v40, vcc
	global_store_short v[44:45], v39, off
	s_or_b64 exec, exec, s[0:1]
	s_and_saveexec_b64 s[0:1], s[6:7]
	s_cbranch_execz .LBB9_35
.LBB9_38:                               ;   in Loop: Header=BB9_4 Depth=1
	v_cvt_f16_f32_e32 v39, v41
	v_mov_b32_e32 v41, s15
	v_add_co_u32_e32 v40, vcc, s14, v24
	v_addc_co_u32_e32 v41, vcc, v19, v41, vcc
	global_store_short v[40:41], v39, off
	s_or_b64 exec, exec, s[0:1]
	s_and_saveexec_b64 s[0:1], s[8:9]
	s_cbranch_execz .LBB9_3
.LBB9_39:                               ;   in Loop: Header=BB9_4 Depth=1
	v_cvt_f16_f32_e32 v39, v42
	v_mov_b32_e32 v41, s15
	v_add_co_u32_e32 v40, vcc, s14, v16
	v_addc_co_u32_e32 v41, vcc, v11, v41, vcc
	global_store_short v[40:41], v39, off
	s_branch .LBB9_3
.LBB9_40:                               ;   in Loop: Header=BB9_4 Depth=1
                                        ; implicit-def: $vgpr40
	s_branch .LBB9_22
.LBB9_41:                               ;   in Loop: Header=BB9_4 Depth=1
                                        ; implicit-def: $vgpr39
	s_branch .LBB9_25
.LBB9_42:                               ;   in Loop: Header=BB9_4 Depth=1
                                        ; implicit-def: $vgpr41
	s_branch .LBB9_28
.LBB9_43:                               ;   in Loop: Header=BB9_4 Depth=1
                                        ; implicit-def: $vgpr42
	s_branch .LBB9_31
.LBB9_44:
	s_mov_b64 s[0:1], 0
.LBB9_45:
	s_andn2_b64 vcc, exec, s[0:1]
	s_cbranch_vccnz .LBB9_65
; %bb.46:
	v_mov_b32_e32 v3, 0
	v_lshlrev_b32_e32 v2, 2, v0
	s_mov_b32 s2, 0
	v_cmp_gt_i64_e32 vcc, s[12:13], v[2:3]
	s_and_saveexec_b64 s[0:1], vcc
	s_cbranch_execz .LBB9_65
; %bb.47:
	s_load_dword s0, s[4:5], 0xbfc
	v_cmp_neq_f32_e64 s[6:7], s24, 1.0
	v_lshlrev_b32_e32 v4, 3, v0
	s_mov_b64 s[4:5], 0
	s_mov_b64 s[8:9], 0xffff
	s_waitcnt lgkmcnt(0)
	s_and_b32 s0, s0, 0xffff
	v_add_lshl_u32 v2, v0, s0, 2
	v_cndmask_b32_e64 v0, 0, 1, s[6:7]
	s_lshl_b32 s10, s0, 3
	s_lshl_b32 s11, s0, 2
	v_cmp_ne_u32_e64 s[0:1], 1, v0
	v_mov_b32_e32 v5, s2
	s_branch .LBB9_49
.LBB9_48:                               ;   in Loop: Header=BB9_49 Depth=1
	v_cvt_f16_f32_e32 v8, v0
	v_mov_b32_e32 v1, s33
	v_add_co_u32_e32 v0, vcc, s31, v4
	v_addc_co_u32_e32 v1, vcc, 0, v1, vcc
	v_cmp_le_i64_e32 vcc, s[12:13], v[2:3]
	v_cmp_lt_u64_e64 s[2:3], s[8:9], v[2:3]
	s_or_b64 s[2:3], vcc, s[2:3]
	s_add_u32 s25, s25, s10
	s_addc_u32 s26, s26, 0
	s_add_u32 s27, s27, s10
	s_addc_u32 s28, s28, 0
	s_add_u32 s29, s29, s10
	v_cvt_f16_f32_e32 v6, v6
	v_cvt_f16_f32_e32 v10, v10
	;; [unrolled: 1-line block ×3, first 2 shown]
	s_addc_u32 s30, s30, 0
	s_add_u32 s31, s31, s10
	s_addc_u32 s33, s33, 0
	s_and_b64 s[2:3], exec, s[2:3]
	v_add_co_u32_e32 v2, vcc, s11, v2
	v_pack_b32_f16 v7, v6, v7
	v_pack_b32_f16 v6, v10, v8
	s_or_b64 s[4:5], s[2:3], s[4:5]
	v_addc_co_u32_e32 v3, vcc, v3, v5, vcc
	global_store_dwordx2 v[0:1], v[6:7], off
	s_andn2_b64 exec, exec, s[4:5]
	s_cbranch_execz .LBB9_65
.LBB9_49:                               ; =>This Inner Loop Header: Depth=1
	v_mov_b32_e32 v1, s26
	v_add_co_u32_e32 v0, vcc, s25, v4
	v_addc_co_u32_e32 v1, vcc, 0, v1, vcc
	v_mov_b32_e32 v7, s28
	v_add_co_u32_e32 v6, vcc, s27, v4
	v_addc_co_u32_e32 v7, vcc, 0, v7, vcc
	;; [unrolled: 3-line block ×3, first 2 shown]
	global_load_dwordx2 v[0:1], v[0:1], off
	s_and_b64 vcc, exec, s[6:7]
	global_load_dwordx2 v[6:7], v[6:7], off
	s_waitcnt vmcnt(1)
	v_cvt_f32_f16_e32 v11, v0
	global_load_dwordx2 v[8:9], v[8:9], off
	s_waitcnt vmcnt(1)
	v_cvt_f32_f16_e32 v12, v6
	s_waitcnt vmcnt(0)
	v_cvt_f32_f16_e32 v13, v8
	s_cbranch_vccz .LBB9_60
; %bb.50:                               ;   in Loop: Header=BB9_49 Depth=1
	v_mul_f32_e32 v10, v12, v13
	v_fma_f32 v10, s24, v10, v11
	s_cbranch_execnz .LBB9_52
.LBB9_51:                               ;   in Loop: Header=BB9_49 Depth=1
	v_fmac_f32_e32 v11, v12, v13
	v_mov_b32_e32 v10, v11
.LBB9_52:                               ;   in Loop: Header=BB9_49 Depth=1
	v_cvt_f32_f16_sdwa v11, v0 dst_sel:DWORD dst_unused:UNUSED_PAD src0_sel:WORD_1
	v_cvt_f32_f16_sdwa v6, v6 dst_sel:DWORD dst_unused:UNUSED_PAD src0_sel:WORD_1
	;; [unrolled: 1-line block ×3, first 2 shown]
	s_and_b64 vcc, exec, s[0:1]
	s_cbranch_vccnz .LBB9_61
; %bb.53:                               ;   in Loop: Header=BB9_49 Depth=1
	v_mul_f32_e32 v0, v6, v8
	v_fma_f32 v0, s24, v0, v11
	s_cbranch_execnz .LBB9_55
.LBB9_54:                               ;   in Loop: Header=BB9_49 Depth=1
	v_fmac_f32_e32 v11, v6, v8
	v_mov_b32_e32 v0, v11
.LBB9_55:                               ;   in Loop: Header=BB9_49 Depth=1
	v_cvt_f32_f16_e32 v8, v1
	v_cvt_f32_f16_e32 v11, v7
	;; [unrolled: 1-line block ×3, first 2 shown]
	s_and_b64 vcc, exec, s[0:1]
	s_cbranch_vccnz .LBB9_62
; %bb.56:                               ;   in Loop: Header=BB9_49 Depth=1
	v_mul_f32_e32 v6, v11, v12
	v_fma_f32 v6, s24, v6, v8
	s_cbranch_execnz .LBB9_58
.LBB9_57:                               ;   in Loop: Header=BB9_49 Depth=1
	v_fmac_f32_e32 v8, v11, v12
	v_mov_b32_e32 v6, v8
.LBB9_58:                               ;   in Loop: Header=BB9_49 Depth=1
	v_cvt_f32_f16_sdwa v1, v1 dst_sel:DWORD dst_unused:UNUSED_PAD src0_sel:WORD_1
	v_cvt_f32_f16_sdwa v7, v7 dst_sel:DWORD dst_unused:UNUSED_PAD src0_sel:WORD_1
	;; [unrolled: 1-line block ×3, first 2 shown]
	s_and_b64 vcc, exec, s[0:1]
	s_cbranch_vccnz .LBB9_63
; %bb.59:                               ;   in Loop: Header=BB9_49 Depth=1
	v_mul_f32_e32 v9, v7, v8
	v_fma_f32 v9, s24, v9, v1
	s_cbranch_execnz .LBB9_48
	s_branch .LBB9_64
.LBB9_60:                               ;   in Loop: Header=BB9_49 Depth=1
                                        ; implicit-def: $vgpr10
	s_branch .LBB9_51
.LBB9_61:                               ;   in Loop: Header=BB9_49 Depth=1
                                        ; implicit-def: $vgpr0
	s_branch .LBB9_54
.LBB9_62:                               ;   in Loop: Header=BB9_49 Depth=1
                                        ; implicit-def: $vgpr6
	s_branch .LBB9_57
.LBB9_63:                               ;   in Loop: Header=BB9_49 Depth=1
                                        ; implicit-def: $vgpr9
.LBB9_64:                               ;   in Loop: Header=BB9_49 Depth=1
	v_fmac_f32_e32 v1, v7, v8
	v_mov_b32_e32 v9, v1
	s_branch .LBB9_48
.LBB9_65:
	s_endpgm
	.section	.rodata,"a",@progbits
	.p2align	6, 0x0
	.amdhsa_kernel _ZN2at6native12_GLOBAL__N_125multi_tensor_apply_kernelINS1_18TensorListMetadataILi4EEENS1_24PointwiseOpScalarFunctorIN3c104HalfELi4ELi3ELi3EEEJSt10multipliesIfEfEEEvT_T0_DpT1_
		.amdhsa_group_segment_fixed_size 0
		.amdhsa_private_segment_fixed_size 0
		.amdhsa_kernarg_size 3312
		.amdhsa_user_sgpr_count 6
		.amdhsa_user_sgpr_private_segment_buffer 1
		.amdhsa_user_sgpr_dispatch_ptr 0
		.amdhsa_user_sgpr_queue_ptr 0
		.amdhsa_user_sgpr_kernarg_segment_ptr 1
		.amdhsa_user_sgpr_dispatch_id 0
		.amdhsa_user_sgpr_flat_scratch_init 0
		.amdhsa_user_sgpr_kernarg_preload_length 0
		.amdhsa_user_sgpr_kernarg_preload_offset 0
		.amdhsa_user_sgpr_private_segment_size 0
		.amdhsa_uses_dynamic_stack 0
		.amdhsa_system_sgpr_private_segment_wavefront_offset 0
		.amdhsa_system_sgpr_workgroup_id_x 1
		.amdhsa_system_sgpr_workgroup_id_y 0
		.amdhsa_system_sgpr_workgroup_id_z 0
		.amdhsa_system_sgpr_workgroup_info 0
		.amdhsa_system_vgpr_workitem_id 0
		.amdhsa_next_free_vgpr 54
		.amdhsa_next_free_sgpr 38
		.amdhsa_accum_offset 56
		.amdhsa_reserve_vcc 1
		.amdhsa_reserve_flat_scratch 0
		.amdhsa_float_round_mode_32 0
		.amdhsa_float_round_mode_16_64 0
		.amdhsa_float_denorm_mode_32 3
		.amdhsa_float_denorm_mode_16_64 3
		.amdhsa_dx10_clamp 1
		.amdhsa_ieee_mode 1
		.amdhsa_fp16_overflow 0
		.amdhsa_tg_split 0
		.amdhsa_exception_fp_ieee_invalid_op 0
		.amdhsa_exception_fp_denorm_src 0
		.amdhsa_exception_fp_ieee_div_zero 0
		.amdhsa_exception_fp_ieee_overflow 0
		.amdhsa_exception_fp_ieee_underflow 0
		.amdhsa_exception_fp_ieee_inexact 0
		.amdhsa_exception_int_div_zero 0
	.end_amdhsa_kernel
	.section	.text._ZN2at6native12_GLOBAL__N_125multi_tensor_apply_kernelINS1_18TensorListMetadataILi4EEENS1_24PointwiseOpScalarFunctorIN3c104HalfELi4ELi3ELi3EEEJSt10multipliesIfEfEEEvT_T0_DpT1_,"axG",@progbits,_ZN2at6native12_GLOBAL__N_125multi_tensor_apply_kernelINS1_18TensorListMetadataILi4EEENS1_24PointwiseOpScalarFunctorIN3c104HalfELi4ELi3ELi3EEEJSt10multipliesIfEfEEEvT_T0_DpT1_,comdat
.Lfunc_end9:
	.size	_ZN2at6native12_GLOBAL__N_125multi_tensor_apply_kernelINS1_18TensorListMetadataILi4EEENS1_24PointwiseOpScalarFunctorIN3c104HalfELi4ELi3ELi3EEEJSt10multipliesIfEfEEEvT_T0_DpT1_, .Lfunc_end9-_ZN2at6native12_GLOBAL__N_125multi_tensor_apply_kernelINS1_18TensorListMetadataILi4EEENS1_24PointwiseOpScalarFunctorIN3c104HalfELi4ELi3ELi3EEEJSt10multipliesIfEfEEEvT_T0_DpT1_
                                        ; -- End function
	.section	.AMDGPU.csdata,"",@progbits
; Kernel info:
; codeLenInByte = 2372
; NumSgprs: 42
; NumVgprs: 54
; NumAgprs: 0
; TotalNumVgprs: 54
; ScratchSize: 0
; MemoryBound: 0
; FloatMode: 240
; IeeeMode: 1
; LDSByteSize: 0 bytes/workgroup (compile time only)
; SGPRBlocks: 5
; VGPRBlocks: 6
; NumSGPRsForWavesPerEU: 42
; NumVGPRsForWavesPerEU: 54
; AccumOffset: 56
; Occupancy: 8
; WaveLimiterHint : 0
; COMPUTE_PGM_RSRC2:SCRATCH_EN: 0
; COMPUTE_PGM_RSRC2:USER_SGPR: 6
; COMPUTE_PGM_RSRC2:TRAP_HANDLER: 0
; COMPUTE_PGM_RSRC2:TGID_X_EN: 1
; COMPUTE_PGM_RSRC2:TGID_Y_EN: 0
; COMPUTE_PGM_RSRC2:TGID_Z_EN: 0
; COMPUTE_PGM_RSRC2:TIDIG_COMP_CNT: 0
; COMPUTE_PGM_RSRC3_GFX90A:ACCUM_OFFSET: 13
; COMPUTE_PGM_RSRC3_GFX90A:TG_SPLIT: 0
	.section	.text._ZN2at6native12_GLOBAL__N_125multi_tensor_apply_kernelINS1_18TensorListMetadataILi4EEENS1_24PointwiseOpScalarFunctorIN3c108BFloat16ELi4ELi3ELi3EEEJSt10multipliesIfEfEEEvT_T0_DpT1_,"axG",@progbits,_ZN2at6native12_GLOBAL__N_125multi_tensor_apply_kernelINS1_18TensorListMetadataILi4EEENS1_24PointwiseOpScalarFunctorIN3c108BFloat16ELi4ELi3ELi3EEEJSt10multipliesIfEfEEEvT_T0_DpT1_,comdat
	.globl	_ZN2at6native12_GLOBAL__N_125multi_tensor_apply_kernelINS1_18TensorListMetadataILi4EEENS1_24PointwiseOpScalarFunctorIN3c108BFloat16ELi4ELi3ELi3EEEJSt10multipliesIfEfEEEvT_T0_DpT1_ ; -- Begin function _ZN2at6native12_GLOBAL__N_125multi_tensor_apply_kernelINS1_18TensorListMetadataILi4EEENS1_24PointwiseOpScalarFunctorIN3c108BFloat16ELi4ELi3ELi3EEEJSt10multipliesIfEfEEEvT_T0_DpT1_
	.p2align	8
	.type	_ZN2at6native12_GLOBAL__N_125multi_tensor_apply_kernelINS1_18TensorListMetadataILi4EEENS1_24PointwiseOpScalarFunctorIN3c108BFloat16ELi4ELi3ELi3EEEJSt10multipliesIfEfEEEvT_T0_DpT1_,@function
_ZN2at6native12_GLOBAL__N_125multi_tensor_apply_kernelINS1_18TensorListMetadataILi4EEENS1_24PointwiseOpScalarFunctorIN3c108BFloat16ELi4ELi3ELi3EEEJSt10multipliesIfEfEEEvT_T0_DpT1_: ; @_ZN2at6native12_GLOBAL__N_125multi_tensor_apply_kernelINS1_18TensorListMetadataILi4EEENS1_24PointwiseOpScalarFunctorIN3c108BFloat16ELi4ELi3ELi3EEEJSt10multipliesIfEfEEEvT_T0_DpT1_
; %bb.0:
	v_mov_b32_e32 v1, s6
	global_load_ubyte v1, v1, s[4:5] offset:1440
	s_add_u32 s0, s4, s6
	s_mul_hi_u32 s1, s6, 3
	s_mul_i32 s6, s6, 3
	s_addc_u32 s2, s5, 0
	s_add_u32 s0, s0, s6
	s_addc_u32 s1, s2, s1
	s_load_dword s0, s[0:1], 0x6e0
	s_mov_b32 s3, 0
	s_mov_b32 s7, s3
	;; [unrolled: 1-line block ×3, first 2 shown]
	s_waitcnt lgkmcnt(0)
	s_ashr_i32 s1, s0, 31
	s_lshl_b64 s[22:23], s[0:1], 17
	s_waitcnt vmcnt(0)
	v_readfirstlane_b32 s2, v1
	s_lshl_b32 s2, s2, 3
	s_load_dwordx2 s[12:13], s[4:5], s2 offset:0x0
	s_load_dwordx2 s[14:15], s[4:5], s2 offset:0x120
	s_load_dword s33, s[4:5], 0xbec
	s_load_dwordx2 s[10:11], s[4:5], s2 offset:0x480
	s_load_dwordx2 s[16:17], s[4:5], s2 offset:0x240
	;; [unrolled: 1-line block ×3, first 2 shown]
	s_waitcnt lgkmcnt(0)
	s_add_u32 s6, s14, s22
	s_and_b32 s2, s12, 7
	s_and_b32 s6, s6, 7
	s_cmp_eq_u64 s[6:7], 0
	s_cselect_b64 s[6:7], -1, 0
	s_add_u32 s8, s16, s22
	s_or_b32 s8, s18, s8
	s_and_b32 s8, s8, 7
	s_cmp_eq_u32 s8, 0
	s_cselect_b64 s[20:21], -1, 0
	s_lshl_b64 s[0:1], s[0:1], 16
	s_and_b64 s[6:7], s[20:21], s[6:7]
	s_sub_u32 s20, s10, s0
	s_subb_u32 s21, s11, s1
	s_and_b32 s8, s10, 3
	s_or_b64 s[0:1], s[2:3], s[8:9]
	s_cmp_eq_u64 s[0:1], 0
	s_cselect_b64 s[0:1], -1, 0
	s_and_b64 s[2:3], s[6:7], s[0:1]
	s_mov_b64 s[0:1], -1
	s_and_b64 vcc, exec, s[2:3]
	s_cbranch_vccnz .LBB10_45
; %bb.1:
	v_cmp_lt_i64_e64 s[0:1], s[20:21], 1
	s_and_b64 vcc, exec, s[0:1]
	s_cbranch_vccnz .LBB10_44
; %bb.2:
	s_load_dword s0, s[4:5], 0xbfc
	v_mov_b32_e32 v19, 0
	v_lshlrev_b32_e32 v18, 1, v0
	v_mov_b32_e32 v21, s13
	v_mov_b32_e32 v23, s15
	s_waitcnt lgkmcnt(0)
	s_and_b32 s6, s0, 0xffff
	v_mad_u64_u32 v[16:17], s[2:3], s6, 6, v[18:19]
	v_add_co_u32_e64 v10, s[2:3], s12, v16
	v_addc_co_u32_e64 v5, s[2:3], v21, v17, s[2:3]
	v_add_co_u32_e64 v12, s[2:3], s14, v16
	v_addc_co_u32_e64 v7, s[2:3], v23, v17, s[2:3]
	v_mov_b32_e32 v27, s17
	v_add_co_u32_e64 v14, s[2:3], s16, v16
	v_mov_b32_e32 v2, 0x10000
	v_addc_co_u32_e64 v9, s[2:3], v27, v17, s[2:3]
	v_mov_b32_e32 v3, 0
	v_mov_b32_e32 v31, s19
	v_add_co_u32_e64 v16, s[2:3], s18, v16
	v_cmp_lt_u64_e32 vcc, s[20:21], v[2:3]
	s_mul_i32 s8, s6, 3
	v_addc_co_u32_e64 v11, s[2:3], v31, v17, s[2:3]
	s_and_b64 s[0:1], vcc, exec
	v_add_co_u32_e32 v2, vcc, s12, v18
	v_add_co_u32_e64 v33, s[2:3], s8, v0
	s_cselect_b32 s25, s21, 0
	s_cselect_b32 s24, s20, 0x10000
	s_lshl_b32 s35, s6, 2
	v_addc_co_u32_e32 v1, vcc, 0, v21, vcc
	v_addc_co_u32_e64 v34, s[2:3], 0, 0, s[2:3]
	v_add_co_u32_e32 v4, vcc, s14, v18
	v_add_co_u32_e64 v19, s[2:3], s35, v18
	v_addc_co_u32_e32 v3, vcc, 0, v23, vcc
	v_addc_co_u32_e64 v25, s[2:3], 0, 0, s[2:3]
	v_add_co_u32_e32 v6, vcc, s16, v18
	v_add_co_u32_e64 v8, s[0:1], s18, v18
	v_add_co_u32_e64 v18, s[2:3], s12, v19
	v_addc_co_u32_e64 v13, s[2:3], v21, v25, s[2:3]
	v_add_co_u32_e64 v20, s[2:3], s14, v19
	v_addc_co_u32_e64 v15, s[2:3], v23, v25, s[2:3]
	;; [unrolled: 2-line block ×3, first 2 shown]
	v_add_co_u32_e64 v24, s[2:3], s18, v19
	s_lshl_b32 s7, s6, 1
	v_addc_co_u32_e64 v19, s[2:3], v31, v25, s[2:3]
	v_add_co_u32_e64 v35, s[2:3], s7, v0
	v_addc_co_u32_e64 v36, s[2:3], 0, 0, s[2:3]
	v_add_co_u32_e64 v37, s[2:3], s6, v0
	v_addc_co_u32_e64 v38, s[2:3], 0, 0, s[2:3]
	v_lshlrev_b32_e32 v29, 1, v37
	v_addc_co_u32_e32 v25, vcc, 0, v27, vcc
	v_add_co_u32_e64 v26, s[2:3], s12, v29
	v_add_co_u32_e32 v30, vcc, s16, v29
	v_addc_co_u32_e64 v21, s[2:3], 0, v21, s[2:3]
	v_addc_co_u32_e32 v27, vcc, 0, v27, vcc
	v_add_co_u32_e64 v28, s[2:3], s14, v29
	v_add_co_u32_e32 v32, vcc, s18, v29
	s_mov_b32 s34, 0
	v_cmp_neq_f32_e64 s[26:27], s33, 1.0
	s_lshl_b32 s36, s6, 3
	s_mov_b64 s[28:29], 0
	s_movk_i32 s37, 0x7fff
	v_addc_co_u32_e64 v23, s[2:3], 0, v23, s[2:3]
	v_addc_co_u32_e64 v29, s[0:1], 0, v31, s[0:1]
	v_addc_co_u32_e32 v31, vcc, 0, v31, vcc
	v_mov_b32_e32 v39, 0x7fc0
	s_branch .LBB10_4
.LBB10_3:                               ;   in Loop: Header=BB10_4 Depth=1
	s_or_b64 exec, exec, s[0:1]
	s_add_u32 s28, s28, s35
	s_addc_u32 s29, s29, 0
	v_pk_mov_b32 v[40:41], s[20:21], s[20:21] op_sel:[0,1]
	v_cmp_ge_i64_e32 vcc, s[28:29], v[40:41]
	v_mov_b32_e32 v40, 0xffff
	v_mov_b32_e32 v41, 0
	v_cmp_gt_u64_e64 s[0:1], s[28:29], v[40:41]
	v_mov_b32_e32 v40, s34
	v_add_co_u32_e64 v2, s[2:3], s36, v2
	v_addc_co_u32_e64 v1, s[2:3], v1, v40, s[2:3]
	v_add_co_u32_e64 v4, s[2:3], s36, v4
	v_addc_co_u32_e64 v3, s[2:3], v3, v40, s[2:3]
	;; [unrolled: 2-line block ×15, first 2 shown]
	v_add_co_u32_e64 v32, s[2:3], s36, v32
	s_or_b64 s[0:1], vcc, s[0:1]
	v_addc_co_u32_e64 v31, s[2:3], v31, v40, s[2:3]
	s_and_b64 vcc, exec, s[0:1]
	s_cbranch_vccnz .LBB10_44
.LBB10_4:                               ; =>This Inner Loop Header: Depth=1
	v_mov_b32_e32 v41, s29
	v_add_co_u32_e32 v40, vcc, s28, v0
	v_addc_co_u32_e32 v41, vcc, 0, v41, vcc
	v_cmp_gt_u64_e64 s[0:1], s[24:25], v[40:41]
	v_mov_b32_e32 v41, 0
	v_mov_b32_e32 v42, 0
	s_and_saveexec_b64 s[2:3], s[0:1]
	s_cbranch_execz .LBB10_6
; %bb.5:                                ;   in Loop: Header=BB10_4 Depth=1
	v_mov_b32_e32 v40, s23
	v_add_co_u32_e32 v44, vcc, s22, v2
	v_addc_co_u32_e32 v45, vcc, v1, v40, vcc
	v_add_co_u32_e32 v46, vcc, s22, v4
	v_addc_co_u32_e32 v47, vcc, v3, v40, vcc
	global_load_ushort v41, v[44:45], off
	global_load_ushort v42, v[46:47], off
.LBB10_6:                               ;   in Loop: Header=BB10_4 Depth=1
	s_or_b64 exec, exec, s[2:3]
	v_mov_b32_e32 v40, 0
	v_mov_b32_e32 v45, 0
	s_and_saveexec_b64 s[2:3], s[0:1]
	s_cbranch_execz .LBB10_8
; %bb.7:                                ;   in Loop: Header=BB10_4 Depth=1
	v_mov_b32_e32 v43, s23
	v_add_co_u32_e32 v44, vcc, s22, v6
	v_addc_co_u32_e32 v45, vcc, v25, v43, vcc
	global_load_ushort v45, v[44:45], off
.LBB10_8:                               ;   in Loop: Header=BB10_4 Depth=1
	s_or_b64 exec, exec, s[2:3]
	v_mov_b32_e32 v43, s29
	v_add_co_u32_e32 v46, vcc, s28, v37
	v_addc_co_u32_e32 v47, vcc, v38, v43, vcc
	v_cmp_gt_u64_e64 s[2:3], s[24:25], v[46:47]
	v_mov_b32_e32 v44, 0
	s_and_saveexec_b64 s[6:7], s[2:3]
	s_cbranch_execz .LBB10_10
; %bb.9:                                ;   in Loop: Header=BB10_4 Depth=1
	v_mov_b32_e32 v40, s23
	v_add_co_u32_e32 v46, vcc, s22, v28
	v_addc_co_u32_e32 v47, vcc, v23, v40, vcc
	v_add_co_u32_e32 v48, vcc, s22, v26
	v_addc_co_u32_e32 v49, vcc, v21, v40, vcc
	global_load_ushort v40, v[48:49], off
	global_load_ushort v44, v[46:47], off
.LBB10_10:                              ;   in Loop: Header=BB10_4 Depth=1
	s_or_b64 exec, exec, s[6:7]
	v_mov_b32_e32 v43, 0
	v_mov_b32_e32 v47, 0
	s_and_saveexec_b64 s[6:7], s[2:3]
	s_cbranch_execz .LBB10_12
; %bb.11:                               ;   in Loop: Header=BB10_4 Depth=1
	v_mov_b32_e32 v47, s23
	v_add_co_u32_e32 v46, vcc, s22, v30
	v_addc_co_u32_e32 v47, vcc, v27, v47, vcc
	global_load_ushort v47, v[46:47], off
.LBB10_12:                              ;   in Loop: Header=BB10_4 Depth=1
	s_or_b64 exec, exec, s[6:7]
	v_mov_b32_e32 v46, s29
	v_add_co_u32_e32 v48, vcc, s28, v35
	v_addc_co_u32_e32 v49, vcc, v36, v46, vcc
	v_cmp_gt_u64_e64 s[6:7], s[24:25], v[48:49]
	v_mov_b32_e32 v48, 0
	s_and_saveexec_b64 s[8:9], s[6:7]
	s_cbranch_execz .LBB10_14
; %bb.13:                               ;   in Loop: Header=BB10_4 Depth=1
	v_mov_b32_e32 v43, s23
	v_add_co_u32_e32 v50, vcc, s22, v20
	v_addc_co_u32_e32 v51, vcc, v15, v43, vcc
	v_add_co_u32_e32 v52, vcc, s22, v18
	v_addc_co_u32_e32 v53, vcc, v13, v43, vcc
	global_load_ushort v43, v[52:53], off
	global_load_ushort v48, v[50:51], off
.LBB10_14:                              ;   in Loop: Header=BB10_4 Depth=1
	s_or_b64 exec, exec, s[8:9]
	v_mov_b32_e32 v46, 0
	v_mov_b32_e32 v49, 0
	s_and_saveexec_b64 s[8:9], s[6:7]
	s_cbranch_execz .LBB10_16
; %bb.15:                               ;   in Loop: Header=BB10_4 Depth=1
	v_mov_b32_e32 v49, s23
	v_add_co_u32_e32 v50, vcc, s22, v22
	v_addc_co_u32_e32 v51, vcc, v17, v49, vcc
	global_load_ushort v49, v[50:51], off
.LBB10_16:                              ;   in Loop: Header=BB10_4 Depth=1
	s_or_b64 exec, exec, s[8:9]
	v_mov_b32_e32 v51, s29
	v_add_co_u32_e32 v50, vcc, s28, v33
	v_addc_co_u32_e32 v51, vcc, v34, v51, vcc
	v_cmp_gt_u64_e64 s[8:9], s[24:25], v[50:51]
	v_mov_b32_e32 v50, 0
	s_and_saveexec_b64 s[10:11], s[8:9]
	s_cbranch_execz .LBB10_18
; %bb.17:                               ;   in Loop: Header=BB10_4 Depth=1
	v_mov_b32_e32 v46, s23
	v_add_co_u32_e32 v52, vcc, s22, v12
	v_addc_co_u32_e32 v53, vcc, v7, v46, vcc
	v_add_co_u32_e32 v54, vcc, s22, v10
	v_addc_co_u32_e32 v55, vcc, v5, v46, vcc
	global_load_ushort v46, v[54:55], off
	global_load_ushort v50, v[52:53], off
.LBB10_18:                              ;   in Loop: Header=BB10_4 Depth=1
	s_or_b64 exec, exec, s[10:11]
	v_mov_b32_e32 v51, 0
	s_and_saveexec_b64 s[10:11], s[8:9]
	s_cbranch_execz .LBB10_20
; %bb.19:                               ;   in Loop: Header=BB10_4 Depth=1
	v_mov_b32_e32 v51, s23
	v_add_co_u32_e32 v52, vcc, s22, v14
	v_addc_co_u32_e32 v53, vcc, v9, v51, vcc
	global_load_ushort v51, v[52:53], off
.LBB10_20:                              ;   in Loop: Header=BB10_4 Depth=1
	s_or_b64 exec, exec, s[10:11]
	s_waitcnt vmcnt(1)
	v_lshlrev_b32_e32 v52, 16, v41
	s_waitcnt vmcnt(0)
	v_lshlrev_b32_e32 v42, 16, v42
	v_lshlrev_b32_e32 v45, 16, v45
	s_and_b64 vcc, exec, s[26:27]
	s_cbranch_vccz .LBB10_40
; %bb.21:                               ;   in Loop: Header=BB10_4 Depth=1
	v_mul_f32_e32 v41, v42, v45
	v_fma_f32 v41, s33, v41, v52
	s_cbranch_execnz .LBB10_23
.LBB10_22:                              ;   in Loop: Header=BB10_4 Depth=1
	v_fmac_f32_e32 v52, v42, v45
	v_mov_b32_e32 v41, v52
.LBB10_23:                              ;   in Loop: Header=BB10_4 Depth=1
	v_lshlrev_b32_e32 v42, 16, v40
	v_cndmask_b32_e64 v40, 0, 1, s[26:27]
	v_lshlrev_b32_e32 v44, 16, v44
	v_cmp_ne_u32_e64 s[10:11], 1, v40
	s_andn2_b64 vcc, exec, s[26:27]
	v_lshlrev_b32_e32 v45, 16, v47
	s_cbranch_vccnz .LBB10_41
; %bb.24:                               ;   in Loop: Header=BB10_4 Depth=1
	v_mul_f32_e32 v40, v44, v45
	v_fma_f32 v40, s33, v40, v42
	s_cbranch_execnz .LBB10_26
.LBB10_25:                              ;   in Loop: Header=BB10_4 Depth=1
	v_fmac_f32_e32 v42, v44, v45
	v_mov_b32_e32 v40, v42
.LBB10_26:                              ;   in Loop: Header=BB10_4 Depth=1
	v_lshlrev_b32_e32 v43, 16, v43
	v_lshlrev_b32_e32 v44, 16, v48
	s_and_b64 vcc, exec, s[10:11]
	v_lshlrev_b32_e32 v45, 16, v49
	s_cbranch_vccnz .LBB10_42
; %bb.27:                               ;   in Loop: Header=BB10_4 Depth=1
	v_mul_f32_e32 v42, v44, v45
	v_fma_f32 v42, s33, v42, v43
	s_cbranch_execnz .LBB10_29
.LBB10_28:                              ;   in Loop: Header=BB10_4 Depth=1
	v_fmac_f32_e32 v43, v44, v45
	v_mov_b32_e32 v42, v43
.LBB10_29:                              ;   in Loop: Header=BB10_4 Depth=1
	v_lshlrev_b32_e32 v44, 16, v46
	v_lshlrev_b32_e32 v45, 16, v50
	s_and_b64 vcc, exec, s[10:11]
	v_lshlrev_b32_e32 v46, 16, v51
	s_cbranch_vccnz .LBB10_43
; %bb.30:                               ;   in Loop: Header=BB10_4 Depth=1
	v_mul_f32_e32 v43, v45, v46
	v_fma_f32 v43, s33, v43, v44
	s_cbranch_execnz .LBB10_32
.LBB10_31:                              ;   in Loop: Header=BB10_4 Depth=1
	v_fmac_f32_e32 v44, v45, v46
	v_mov_b32_e32 v43, v44
.LBB10_32:                              ;   in Loop: Header=BB10_4 Depth=1
	s_and_saveexec_b64 s[10:11], s[0:1]
	s_xor_b64 s[0:1], exec, s[10:11]
	s_cbranch_execnz .LBB10_36
; %bb.33:                               ;   in Loop: Header=BB10_4 Depth=1
	s_or_b64 exec, exec, s[0:1]
	s_and_saveexec_b64 s[0:1], s[2:3]
	s_cbranch_execnz .LBB10_37
.LBB10_34:                              ;   in Loop: Header=BB10_4 Depth=1
	s_or_b64 exec, exec, s[0:1]
	s_and_saveexec_b64 s[0:1], s[6:7]
	s_cbranch_execnz .LBB10_38
.LBB10_35:                              ;   in Loop: Header=BB10_4 Depth=1
	s_or_b64 exec, exec, s[0:1]
	s_and_saveexec_b64 s[0:1], s[8:9]
	s_cbranch_execz .LBB10_3
	s_branch .LBB10_39
.LBB10_36:                              ;   in Loop: Header=BB10_4 Depth=1
	v_bfe_u32 v44, v41, 16, 1
	v_add3_u32 v44, v41, v44, s37
	v_lshrrev_b32_e32 v44, 16, v44
	v_cmp_o_f32_e32 vcc, v41, v41
	v_cndmask_b32_e32 v41, v39, v44, vcc
	v_mov_b32_e32 v45, s23
	v_add_co_u32_e32 v44, vcc, s22, v8
	v_addc_co_u32_e32 v45, vcc, v29, v45, vcc
	global_store_short v[44:45], v41, off
	s_or_b64 exec, exec, s[0:1]
	s_and_saveexec_b64 s[0:1], s[2:3]
	s_cbranch_execz .LBB10_34
.LBB10_37:                              ;   in Loop: Header=BB10_4 Depth=1
	v_bfe_u32 v41, v40, 16, 1
	v_mov_b32_e32 v45, s23
	v_add_co_u32_e32 v44, vcc, s22, v32
	v_add3_u32 v41, v40, v41, s37
	v_addc_co_u32_e32 v45, vcc, v31, v45, vcc
	v_lshrrev_b32_e32 v41, 16, v41
	v_cmp_o_f32_e32 vcc, v40, v40
	v_cndmask_b32_e32 v40, v39, v41, vcc
	global_store_short v[44:45], v40, off
	s_or_b64 exec, exec, s[0:1]
	s_and_saveexec_b64 s[0:1], s[6:7]
	s_cbranch_execz .LBB10_35
.LBB10_38:                              ;   in Loop: Header=BB10_4 Depth=1
	v_bfe_u32 v40, v42, 16, 1
	v_add3_u32 v40, v42, v40, s37
	v_lshrrev_b32_e32 v44, 16, v40
	v_mov_b32_e32 v41, s23
	v_add_co_u32_e32 v40, vcc, s22, v24
	v_addc_co_u32_e32 v41, vcc, v19, v41, vcc
	v_cmp_o_f32_e32 vcc, v42, v42
	v_cndmask_b32_e32 v42, v39, v44, vcc
	global_store_short v[40:41], v42, off
	s_or_b64 exec, exec, s[0:1]
	s_and_saveexec_b64 s[0:1], s[8:9]
	s_cbranch_execz .LBB10_3
.LBB10_39:                              ;   in Loop: Header=BB10_4 Depth=1
	v_bfe_u32 v40, v43, 16, 1
	v_add3_u32 v40, v43, v40, s37
	v_lshrrev_b32_e32 v42, 16, v40
	v_mov_b32_e32 v41, s23
	v_add_co_u32_e32 v40, vcc, s22, v16
	v_addc_co_u32_e32 v41, vcc, v11, v41, vcc
	v_cmp_o_f32_e32 vcc, v43, v43
	v_cndmask_b32_e32 v42, v39, v42, vcc
	global_store_short v[40:41], v42, off
	s_branch .LBB10_3
.LBB10_40:                              ;   in Loop: Header=BB10_4 Depth=1
                                        ; implicit-def: $vgpr41
	s_branch .LBB10_22
.LBB10_41:                              ;   in Loop: Header=BB10_4 Depth=1
                                        ; implicit-def: $vgpr40
	s_branch .LBB10_25
.LBB10_42:                              ;   in Loop: Header=BB10_4 Depth=1
                                        ; implicit-def: $vgpr42
	s_branch .LBB10_28
.LBB10_43:                              ;   in Loop: Header=BB10_4 Depth=1
                                        ; implicit-def: $vgpr43
	s_branch .LBB10_31
.LBB10_44:
	s_mov_b64 s[0:1], 0
.LBB10_45:
	s_andn2_b64 vcc, exec, s[0:1]
	s_cbranch_vccnz .LBB10_65
; %bb.46:
	v_mov_b32_e32 v3, 0
	v_lshlrev_b32_e32 v2, 2, v0
	s_mov_b32 s2, 0
	v_cmp_gt_i64_e32 vcc, s[20:21], v[2:3]
	s_and_saveexec_b64 s[0:1], vcc
	s_cbranch_execz .LBB10_65
; %bb.47:
	s_load_dword s0, s[4:5], 0xbfc
	v_lshlrev_b32_e32 v1, 3, v0
	v_cmp_neq_f32_e64 s[6:7], s33, 1.0
	v_mov_b32_e32 v2, s23
	v_add_co_u32_e32 v4, vcc, s22, v1
	s_waitcnt lgkmcnt(0)
	s_and_b32 s0, s0, 0xffff
	v_cndmask_b32_e64 v6, 0, 1, s[6:7]
	v_addc_co_u32_e32 v1, vcc, 0, v2, vcc
	s_lshl_b32 s10, s0, 3
	v_add_lshl_u32 v2, v0, s0, 2
	s_lshl_b32 s11, s0, 2
	s_mov_b64 s[4:5], 0
	v_mov_b32_e32 v0, s13
	v_mov_b32_e32 v5, s15
	;; [unrolled: 1-line block ×3, first 2 shown]
	v_cmp_ne_u32_e64 s[0:1], 1, v6
	s_movk_i32 s13, 0x7fff
	v_mov_b32_e32 v13, 0x7fc0
	v_mov_b32_e32 v14, 0x7fc00000
	s_mov_b64 s[8:9], 0xffff
	v_mov_b32_e32 v15, s19
	v_mov_b32_e32 v16, s2
	;; [unrolled: 1-line block ×3, first 2 shown]
	s_branch .LBB10_49
.LBB10_48:                              ;   in Loop: Header=BB10_49 Depth=1
	v_bfe_u32 v8, v18, 16, 1
	v_add3_u32 v8, v18, v8, s13
	v_bfe_u32 v9, v19, 16, 1
	v_lshrrev_b32_e32 v8, 16, v8
	v_cmp_o_f32_e32 vcc, v18, v18
	v_add3_u32 v9, v19, v9, s13
	v_cndmask_b32_e32 v8, v13, v8, vcc
	v_and_b32_e32 v9, 0xffff0000, v9
	v_cmp_o_f32_e32 vcc, v19, v19
	v_cndmask_b32_e32 v9, v14, v9, vcc
	v_or_b32_e32 v8, v9, v8
	v_bfe_u32 v9, v6, 16, 1
	v_add3_u32 v9, v6, v9, s13
	v_lshrrev_b32_e32 v9, 16, v9
	v_cmp_o_f32_e32 vcc, v6, v6
	v_cndmask_b32_e32 v6, v13, v9, vcc
	v_bfe_u32 v9, v7, 16, 1
	v_add3_u32 v9, v7, v9, s13
	v_and_b32_e32 v9, 0xffff0000, v9
	v_cmp_o_f32_e32 vcc, v7, v7
	v_cndmask_b32_e32 v7, v14, v9, vcc
	v_or3_b32 v7, 0, v6, v7
	v_or3_b32 v6, v8, 0, 0
	v_add_co_u32_e32 v8, vcc, s18, v4
	v_addc_co_u32_e32 v9, vcc, v15, v1, vcc
	v_cmp_le_i64_e32 vcc, s[20:21], v[2:3]
	v_cmp_lt_u64_e64 s[2:3], s[8:9], v[2:3]
	s_or_b64 s[2:3], vcc, s[2:3]
	v_add_co_u32_e32 v4, vcc, s10, v4
	v_addc_co_u32_e32 v1, vcc, v1, v16, vcc
	s_and_b64 s[2:3], exec, s[2:3]
	v_add_co_u32_e32 v2, vcc, s11, v2
	s_or_b64 s[4:5], s[2:3], s[4:5]
	v_addc_co_u32_e32 v3, vcc, v3, v17, vcc
	global_store_dwordx2 v[8:9], v[6:7], off
	s_andn2_b64 exec, exec, s[4:5]
	s_cbranch_execz .LBB10_65
.LBB10_49:                              ; =>This Inner Loop Header: Depth=1
	v_add_co_u32_e32 v6, vcc, s12, v4
	v_addc_co_u32_e32 v7, vcc, v0, v1, vcc
	v_add_co_u32_e32 v8, vcc, s14, v4
	v_addc_co_u32_e32 v9, vcc, v5, v1, vcc
	;; [unrolled: 2-line block ×3, first 2 shown]
	global_load_dwordx2 v[6:7], v[6:7], off
	s_and_b64 vcc, exec, s[6:7]
	global_load_dwordx2 v[8:9], v[8:9], off
	s_waitcnt vmcnt(1)
	v_lshlrev_b32_e32 v19, 16, v6
	global_load_dwordx2 v[10:11], v[10:11], off
	s_waitcnt vmcnt(1)
	v_lshlrev_b32_e32 v20, 16, v8
	s_waitcnt vmcnt(0)
	v_lshlrev_b32_e32 v21, 16, v10
	s_cbranch_vccz .LBB10_60
; %bb.50:                               ;   in Loop: Header=BB10_49 Depth=1
	v_mul_f32_e32 v18, v20, v21
	v_fma_f32 v18, s33, v18, v19
	s_cbranch_execnz .LBB10_52
.LBB10_51:                              ;   in Loop: Header=BB10_49 Depth=1
	v_fmac_f32_e32 v19, v20, v21
	v_mov_b32_e32 v18, v19
.LBB10_52:                              ;   in Loop: Header=BB10_49 Depth=1
	v_and_b32_e32 v20, 0xffff0000, v6
	v_and_b32_e32 v21, 0xffff0000, v8
	s_and_b64 vcc, exec, s[0:1]
	v_and_b32_e32 v22, 0xffff0000, v10
	s_cbranch_vccnz .LBB10_61
; %bb.53:                               ;   in Loop: Header=BB10_49 Depth=1
	v_mul_f32_e32 v19, v21, v22
	v_fma_f32 v19, s33, v19, v20
	s_cbranch_execnz .LBB10_55
.LBB10_54:                              ;   in Loop: Header=BB10_49 Depth=1
	v_fmac_f32_e32 v20, v21, v22
	v_mov_b32_e32 v19, v20
.LBB10_55:                              ;   in Loop: Header=BB10_49 Depth=1
	v_alignbit_b32 v6, v7, v6, 16
	v_and_b32_e32 v20, 0xffff0000, v6
	v_alignbit_b32 v6, v9, v8, 16
	v_and_b32_e32 v8, 0xffff0000, v6
	v_alignbit_b32 v6, v11, v10, 16
	s_and_b64 vcc, exec, s[0:1]
	v_and_b32_e32 v10, 0xffff0000, v6
	s_cbranch_vccnz .LBB10_62
; %bb.56:                               ;   in Loop: Header=BB10_49 Depth=1
	v_mul_f32_e32 v6, v8, v10
	v_fma_f32 v6, s33, v6, v20
	s_cbranch_execnz .LBB10_58
.LBB10_57:                              ;   in Loop: Header=BB10_49 Depth=1
	v_fmac_f32_e32 v20, v8, v10
	v_mov_b32_e32 v6, v20
.LBB10_58:                              ;   in Loop: Header=BB10_49 Depth=1
	v_and_b32_e32 v8, 0xffff0000, v7
	v_and_b32_e32 v9, 0xffff0000, v9
	s_and_b64 vcc, exec, s[0:1]
	v_and_b32_e32 v10, 0xffff0000, v11
	s_cbranch_vccnz .LBB10_63
; %bb.59:                               ;   in Loop: Header=BB10_49 Depth=1
	v_mul_f32_e32 v7, v9, v10
	v_fma_f32 v7, s33, v7, v8
	s_cbranch_execnz .LBB10_48
	s_branch .LBB10_64
.LBB10_60:                              ;   in Loop: Header=BB10_49 Depth=1
                                        ; implicit-def: $vgpr18
	s_branch .LBB10_51
.LBB10_61:                              ;   in Loop: Header=BB10_49 Depth=1
                                        ; implicit-def: $vgpr19
	s_branch .LBB10_54
.LBB10_62:                              ;   in Loop: Header=BB10_49 Depth=1
                                        ; implicit-def: $vgpr6
	s_branch .LBB10_57
.LBB10_63:                              ;   in Loop: Header=BB10_49 Depth=1
                                        ; implicit-def: $vgpr7
.LBB10_64:                              ;   in Loop: Header=BB10_49 Depth=1
	v_fmac_f32_e32 v8, v9, v10
	v_mov_b32_e32 v7, v8
	s_branch .LBB10_48
.LBB10_65:
	s_endpgm
	.section	.rodata,"a",@progbits
	.p2align	6, 0x0
	.amdhsa_kernel _ZN2at6native12_GLOBAL__N_125multi_tensor_apply_kernelINS1_18TensorListMetadataILi4EEENS1_24PointwiseOpScalarFunctorIN3c108BFloat16ELi4ELi3ELi3EEEJSt10multipliesIfEfEEEvT_T0_DpT1_
		.amdhsa_group_segment_fixed_size 0
		.amdhsa_private_segment_fixed_size 0
		.amdhsa_kernarg_size 3312
		.amdhsa_user_sgpr_count 6
		.amdhsa_user_sgpr_private_segment_buffer 1
		.amdhsa_user_sgpr_dispatch_ptr 0
		.amdhsa_user_sgpr_queue_ptr 0
		.amdhsa_user_sgpr_kernarg_segment_ptr 1
		.amdhsa_user_sgpr_dispatch_id 0
		.amdhsa_user_sgpr_flat_scratch_init 0
		.amdhsa_user_sgpr_kernarg_preload_length 0
		.amdhsa_user_sgpr_kernarg_preload_offset 0
		.amdhsa_user_sgpr_private_segment_size 0
		.amdhsa_uses_dynamic_stack 0
		.amdhsa_system_sgpr_private_segment_wavefront_offset 0
		.amdhsa_system_sgpr_workgroup_id_x 1
		.amdhsa_system_sgpr_workgroup_id_y 0
		.amdhsa_system_sgpr_workgroup_id_z 0
		.amdhsa_system_sgpr_workgroup_info 0
		.amdhsa_system_vgpr_workitem_id 0
		.amdhsa_next_free_vgpr 56
		.amdhsa_next_free_sgpr 38
		.amdhsa_accum_offset 56
		.amdhsa_reserve_vcc 1
		.amdhsa_reserve_flat_scratch 0
		.amdhsa_float_round_mode_32 0
		.amdhsa_float_round_mode_16_64 0
		.amdhsa_float_denorm_mode_32 3
		.amdhsa_float_denorm_mode_16_64 3
		.amdhsa_dx10_clamp 1
		.amdhsa_ieee_mode 1
		.amdhsa_fp16_overflow 0
		.amdhsa_tg_split 0
		.amdhsa_exception_fp_ieee_invalid_op 0
		.amdhsa_exception_fp_denorm_src 0
		.amdhsa_exception_fp_ieee_div_zero 0
		.amdhsa_exception_fp_ieee_overflow 0
		.amdhsa_exception_fp_ieee_underflow 0
		.amdhsa_exception_fp_ieee_inexact 0
		.amdhsa_exception_int_div_zero 0
	.end_amdhsa_kernel
	.section	.text._ZN2at6native12_GLOBAL__N_125multi_tensor_apply_kernelINS1_18TensorListMetadataILi4EEENS1_24PointwiseOpScalarFunctorIN3c108BFloat16ELi4ELi3ELi3EEEJSt10multipliesIfEfEEEvT_T0_DpT1_,"axG",@progbits,_ZN2at6native12_GLOBAL__N_125multi_tensor_apply_kernelINS1_18TensorListMetadataILi4EEENS1_24PointwiseOpScalarFunctorIN3c108BFloat16ELi4ELi3ELi3EEEJSt10multipliesIfEfEEEvT_T0_DpT1_,comdat
.Lfunc_end10:
	.size	_ZN2at6native12_GLOBAL__N_125multi_tensor_apply_kernelINS1_18TensorListMetadataILi4EEENS1_24PointwiseOpScalarFunctorIN3c108BFloat16ELi4ELi3ELi3EEEJSt10multipliesIfEfEEEvT_T0_DpT1_, .Lfunc_end10-_ZN2at6native12_GLOBAL__N_125multi_tensor_apply_kernelINS1_18TensorListMetadataILi4EEENS1_24PointwiseOpScalarFunctorIN3c108BFloat16ELi4ELi3ELi3EEEJSt10multipliesIfEfEEEvT_T0_DpT1_
                                        ; -- End function
	.section	.AMDGPU.csdata,"",@progbits
; Kernel info:
; codeLenInByte = 2612
; NumSgprs: 42
; NumVgprs: 56
; NumAgprs: 0
; TotalNumVgprs: 56
; ScratchSize: 0
; MemoryBound: 0
; FloatMode: 240
; IeeeMode: 1
; LDSByteSize: 0 bytes/workgroup (compile time only)
; SGPRBlocks: 5
; VGPRBlocks: 6
; NumSGPRsForWavesPerEU: 42
; NumVGPRsForWavesPerEU: 56
; AccumOffset: 56
; Occupancy: 8
; WaveLimiterHint : 0
; COMPUTE_PGM_RSRC2:SCRATCH_EN: 0
; COMPUTE_PGM_RSRC2:USER_SGPR: 6
; COMPUTE_PGM_RSRC2:TRAP_HANDLER: 0
; COMPUTE_PGM_RSRC2:TGID_X_EN: 1
; COMPUTE_PGM_RSRC2:TGID_Y_EN: 0
; COMPUTE_PGM_RSRC2:TGID_Z_EN: 0
; COMPUTE_PGM_RSRC2:TIDIG_COMP_CNT: 0
; COMPUTE_PGM_RSRC3_GFX90A:ACCUM_OFFSET: 13
; COMPUTE_PGM_RSRC3_GFX90A:TG_SPLIT: 0
	.section	.text._ZN2at6native12_GLOBAL__N_125multi_tensor_apply_kernelINS1_18TensorListMetadataILi4EEENS1_32PointwiseOpScalar0dTensorFunctorIhLi4ELi2ELi3EEEJSt10multipliesIhEhEEEvT_T0_DpT1_,"axG",@progbits,_ZN2at6native12_GLOBAL__N_125multi_tensor_apply_kernelINS1_18TensorListMetadataILi4EEENS1_32PointwiseOpScalar0dTensorFunctorIhLi4ELi2ELi3EEEJSt10multipliesIhEhEEEvT_T0_DpT1_,comdat
	.globl	_ZN2at6native12_GLOBAL__N_125multi_tensor_apply_kernelINS1_18TensorListMetadataILi4EEENS1_32PointwiseOpScalar0dTensorFunctorIhLi4ELi2ELi3EEEJSt10multipliesIhEhEEEvT_T0_DpT1_ ; -- Begin function _ZN2at6native12_GLOBAL__N_125multi_tensor_apply_kernelINS1_18TensorListMetadataILi4EEENS1_32PointwiseOpScalar0dTensorFunctorIhLi4ELi2ELi3EEEJSt10multipliesIhEhEEEvT_T0_DpT1_
	.p2align	8
	.type	_ZN2at6native12_GLOBAL__N_125multi_tensor_apply_kernelINS1_18TensorListMetadataILi4EEENS1_32PointwiseOpScalar0dTensorFunctorIhLi4ELi2ELi3EEEJSt10multipliesIhEhEEEvT_T0_DpT1_,@function
_ZN2at6native12_GLOBAL__N_125multi_tensor_apply_kernelINS1_18TensorListMetadataILi4EEENS1_32PointwiseOpScalar0dTensorFunctorIhLi4ELi2ELi3EEEJSt10multipliesIhEhEEEvT_T0_DpT1_: ; @_ZN2at6native12_GLOBAL__N_125multi_tensor_apply_kernelINS1_18TensorListMetadataILi4EEENS1_32PointwiseOpScalar0dTensorFunctorIhLi4ELi2ELi3EEEJSt10multipliesIhEhEEEvT_T0_DpT1_
; %bb.0:
	v_mov_b32_e32 v1, s6
	global_load_ubyte v1, v1, s[4:5] offset:1440
	s_load_dword s0, s[4:5], 0xbe8
	s_mul_i32 s2, s6, 3
	s_mul_hi_u32 s1, s6, 3
	v_mov_b32_e32 v3, 0
	s_waitcnt lgkmcnt(0)
	s_lshr_b32 s22, s0, 16
	s_add_u32 s0, s4, s6
	s_addc_u32 s3, s5, 0
	s_add_u32 s0, s0, s2
	s_addc_u32 s1, s3, s1
	s_waitcnt vmcnt(0)
	v_readfirstlane_b32 s2, v1
	s_lshl_b32 s7, s2, 3
	s_load_dwordx2 s[2:3], s[4:5], s7 offset:0x120
	s_load_dwordx2 s[8:9], s[4:5], s7 offset:0x240
	;; [unrolled: 1-line block ×3, first 2 shown]
	s_waitcnt lgkmcnt(0)
	global_load_ubyte v1, v3, s[2:3]
	s_load_dword s6, s[0:1], 0x6e0
	s_load_dwordx2 s[12:13], s[4:5], s7 offset:0x0
	s_load_dwordx2 s[16:17], s[4:5], s7 offset:0x480
	s_mov_b32 s1, 0
	s_waitcnt lgkmcnt(0)
	s_ashr_i32 s7, s6, 31
	s_lshl_b64 s[14:15], s[6:7], 16
	s_add_u32 s6, s12, s14
	s_addc_u32 s7, s13, s15
	s_add_u32 s0, s2, s14
	s_and_b32 s0, s0, 3
	s_cmp_lg_u64 s[0:1], 0
	s_cselect_b64 s[2:3], -1, 0
	s_add_u32 s24, s8, s14
	s_addc_u32 s20, s9, s15
	s_add_u32 s25, s10, s14
	s_addc_u32 s21, s11, s15
	s_or_b32 s0, s25, s24
	s_and_b32 s0, s0, 3
	s_cmp_lg_u32 s0, 0
	s_cselect_b64 s[18:19], -1, 0
	s_or_b64 s[18:19], s[18:19], s[2:3]
	s_sub_u32 s2, s16, s14
	s_subb_u32 s3, s17, s15
	s_or_b64 s[16:17], s[16:17], s[6:7]
	s_and_b32 s0, s16, 3
	s_cmp_lg_u64 s[0:1], 0
	s_cselect_b64 s[0:1], -1, 0
	s_or_b64 s[0:1], s[18:19], s[0:1]
	s_andn2_b64 vcc, exec, s[0:1]
	s_mov_b64 s[0:1], -1
	s_waitcnt vmcnt(0)
	v_readfirstlane_b32 s23, v1
	s_cbranch_vccz .LBB11_5
; %bb.1:
	v_lshlrev_b32_e32 v2, 2, v0
	v_cmp_gt_i64_e32 vcc, s[2:3], v[2:3]
	s_and_saveexec_b64 s[16:17], vcc
	s_cbranch_execz .LBB11_4
; %bb.2:
	s_load_dword s0, s[4:5], 0xbfc
	s_and_b32 s26, s23, 0xff
	s_and_b32 s1, s22, 0xff
	s_mov_b32 s28, 0
	s_mul_i32 s26, s26, s1
	s_waitcnt lgkmcnt(0)
	s_and_b32 s0, s0, 0xffff
	s_lshl_b32 s27, s0, 2
	s_mov_b64 s[18:19], 0
	v_mov_b32_e32 v1, s7
	v_mov_b32_e32 v4, s20
	s_mov_b32 s7, 0x6050400
	v_mov_b32_e32 v5, s21
	v_mov_b32_e32 v6, s28
	s_mov_b64 s[20:21], 0xffff
.LBB11_3:                               ; =>This Inner Loop Header: Depth=1
	v_add_co_u32_e32 v8, vcc, s6, v2
	v_addc_co_u32_e32 v9, vcc, v1, v3, vcc
	v_add_co_u32_e32 v10, vcc, s24, v2
	v_addc_co_u32_e32 v11, vcc, v4, v3, vcc
	global_load_dword v7, v[8:9], off
	global_load_dword v12, v[10:11], off
	v_add_co_u32_e32 v8, vcc, s25, v2
	v_addc_co_u32_e32 v9, vcc, v5, v3, vcc
	v_add_co_u32_e32 v2, vcc, s27, v2
	v_addc_co_u32_e32 v3, vcc, v6, v3, vcc
	v_cmp_le_i64_e32 vcc, s[2:3], v[2:3]
	v_cmp_lt_u64_e64 s[0:1], s[20:21], v[2:3]
	s_or_b64 s[0:1], vcc, s[0:1]
	s_and_b64 s[0:1], exec, s[0:1]
	s_or_b64 s[18:19], s[0:1], s[18:19]
	s_waitcnt vmcnt(1)
	v_lshrrev_b32_e32 v11, 8, v7
	s_waitcnt vmcnt(0)
	v_lshrrev_b32_e32 v13, 8, v12
	v_lshrrev_b32_e32 v14, 16, v7
	;; [unrolled: 1-line block ×3, first 2 shown]
	v_mad_legacy_u16 v10, s26, v12, v7
	v_lshrrev_b32_e32 v7, 24, v7
	v_lshrrev_b32_e32 v12, 24, v12
	v_mad_legacy_u16 v11, s26, v13, v11
	v_mad_legacy_u16 v13, s26, v15, v14
	;; [unrolled: 1-line block ×3, first 2 shown]
	v_and_b32_e32 v11, 0xff, v11
	v_and_b32_e32 v12, 0xff, v13
	v_lshlrev_b32_e32 v7, 24, v7
	v_perm_b32 v10, v11, v10, s7
	v_lshlrev_b32_e32 v11, 16, v12
	v_or3_b32 v7, v10, v11, v7
	global_store_dword v[8:9], v7, off
	s_andn2_b64 exec, exec, s[18:19]
	s_cbranch_execnz .LBB11_3
.LBB11_4:
	s_or_b64 exec, exec, s[16:17]
	s_mov_b64 s[0:1], 0
.LBB11_5:
	s_andn2_b64 vcc, exec, s[0:1]
	s_cbranch_vccnz .LBB11_25
; %bb.6:
	v_cmp_lt_i64_e64 s[0:1], s[2:3], 1
	s_and_b64 vcc, exec, s[0:1]
	s_cbranch_vccnz .LBB11_25
; %bb.7:
	s_load_dword s0, s[4:5], 0xbfc
	v_mov_b32_e32 v2, 0x10000
	v_mov_b32_e32 v3, 0
	s_and_b32 s16, s23, 0xff
	s_and_b32 s1, s22, 0xff
	s_waitcnt lgkmcnt(0)
	s_and_b32 s18, s0, 0xffff
	v_cmp_lt_u64_e32 vcc, s[2:3], v[2:3]
	s_mul_i32 s16, s16, s1
	s_and_b64 s[0:1], vcc, exec
	v_mov_b32_e32 v1, s15
	v_add_co_u32_e32 v2, vcc, s14, v0
	v_addc_co_u32_e32 v3, vcc, 0, v1, vcc
	v_mov_b32_e32 v4, s13
	v_add_co_u32_e32 v1, vcc, s12, v2
	v_addc_co_u32_e32 v10, vcc, v4, v3, vcc
	v_mov_b32_e32 v5, s9
	v_add_co_u32_e32 v11, vcc, s8, v2
	s_cselect_b32 s7, s3, 0
	s_cselect_b32 s6, s2, 0x10000
	s_lshl_b32 s19, s18, 1
	s_mul_i32 s0, s18, 3
	s_lshl_b32 s17, s18, 2
	v_addc_co_u32_e32 v12, vcc, v5, v3, vcc
	v_mov_b32_e32 v6, s11
	v_add_co_u32_e32 v13, vcc, s10, v2
	s_add_u32 s1, s14, s0
	v_addc_co_u32_e32 v14, vcc, v6, v3, vcc
	s_addc_u32 s9, s15, 0
	v_mov_b32_e32 v7, s9
	v_add_co_u32_e32 v8, vcc, s1, v0
	v_addc_co_u32_e32 v7, vcc, 0, v7, vcc
	v_add_co_u32_e32 v15, vcc, s12, v8
	v_addc_co_u32_e32 v16, vcc, v4, v7, vcc
	;; [unrolled: 2-line block ×4, first 2 shown]
	v_add_co_u32_e32 v21, vcc, s0, v0
	v_addc_co_u32_e64 v22, s[0:1], 0, 0, vcc
	s_add_u32 s0, s14, s19
	s_addc_u32 s1, s15, 0
	v_mov_b32_e32 v7, s1
	v_add_co_u32_e32 v8, vcc, s0, v0
	v_addc_co_u32_e32 v7, vcc, 0, v7, vcc
	v_add_co_u32_e32 v23, vcc, s12, v8
	v_addc_co_u32_e32 v24, vcc, v4, v7, vcc
	;; [unrolled: 2-line block ×4, first 2 shown]
	v_add_co_u32_e32 v29, vcc, s19, v0
	v_addc_co_u32_e64 v30, s[0:1], 0, 0, vcc
	v_add_co_u32_e32 v2, vcc, s18, v2
	v_addc_co_u32_e32 v3, vcc, 0, v3, vcc
	v_add_co_u32_e32 v31, vcc, s12, v2
	v_addc_co_u32_e32 v32, vcc, v4, v3, vcc
	;; [unrolled: 2-line block ×4, first 2 shown]
	v_add_co_u32_e32 v37, vcc, s18, v0
	s_mov_b64 s[4:5], 0x10000
	v_addc_co_u32_e64 v38, s[0:1], 0, 0, vcc
	s_mov_b64 s[8:9], 0
	s_branch .LBB11_9
.LBB11_8:                               ;   in Loop: Header=BB11_9 Depth=1
	s_or_b64 exec, exec, s[0:1]
	s_add_u32 s8, s8, s17
	s_addc_u32 s9, s9, 0
	v_pk_mov_b32 v[2:3], s[2:3], s[2:3] op_sel:[0,1]
	v_cmp_ge_i64_e32 vcc, s[8:9], v[2:3]
	v_mov_b32_e32 v2, 0xffff
	v_mov_b32_e32 v3, 0
	v_cmp_gt_u64_e64 s[0:1], s[8:9], v[2:3]
	s_or_b64 s[0:1], vcc, s[0:1]
	s_and_b64 vcc, exec, s[0:1]
	s_cbranch_vccnz .LBB11_25
.LBB11_9:                               ; =>This Inner Loop Header: Depth=1
	v_mov_b32_e32 v3, s9
	v_add_co_u32_e32 v2, vcc, s8, v0
	v_addc_co_u32_e32 v3, vcc, 0, v3, vcc
	v_cmp_gt_i64_e32 vcc, s[2:3], v[2:3]
	v_cmp_gt_u64_e64 s[0:1], s[4:5], v[2:3]
	s_and_b64 s[10:11], vcc, s[0:1]
	s_waitcnt vmcnt(0)
	v_mov_b32_e32 v39, 0
	v_mov_b32_e32 v40, 0
	s_and_saveexec_b64 s[0:1], s[10:11]
	s_cbranch_execz .LBB11_11
; %bb.10:                               ;   in Loop: Header=BB11_9 Depth=1
	v_mov_b32_e32 v7, s9
	v_add_co_u32_e32 v4, vcc, s8, v1
	v_addc_co_u32_e32 v5, vcc, v10, v7, vcc
	v_add_co_u32_e32 v6, vcc, s8, v11
	v_addc_co_u32_e32 v7, vcc, v12, v7, vcc
	global_load_ubyte v40, v[4:5], off
	global_load_ubyte v39, v[6:7], off
.LBB11_11:                              ;   in Loop: Header=BB11_9 Depth=1
	s_or_b64 exec, exec, s[0:1]
	v_mov_b32_e32 v5, s9
	v_add_co_u32_e32 v4, vcc, s8, v37
	v_addc_co_u32_e32 v5, vcc, v38, v5, vcc
	v_cmp_gt_i64_e32 vcc, s[2:3], v[4:5]
	v_cmp_gt_u64_e64 s[0:1], s[4:5], v[4:5]
	s_and_b64 s[10:11], vcc, s[0:1]
	s_and_saveexec_b64 s[0:1], s[10:11]
	s_cbranch_execz .LBB11_13
; %bb.12:                               ;   in Loop: Header=BB11_9 Depth=1
	v_mov_b32_e32 v9, s9
	v_add_co_u32_e32 v6, vcc, s8, v33
	v_addc_co_u32_e32 v7, vcc, v34, v9, vcc
	v_add_co_u32_e32 v8, vcc, s8, v31
	v_addc_co_u32_e32 v9, vcc, v32, v9, vcc
	global_load_ubyte v41, v[8:9], off
	global_load_ubyte v42, v[6:7], off
	s_waitcnt vmcnt(1)
	v_lshl_or_b32 v40, v41, 8, v40
	s_waitcnt vmcnt(0)
	v_lshl_or_b32 v39, v42, 8, v39
.LBB11_13:                              ;   in Loop: Header=BB11_9 Depth=1
	s_or_b64 exec, exec, s[0:1]
	v_mov_b32_e32 v7, s9
	v_add_co_u32_e32 v6, vcc, s8, v29
	v_addc_co_u32_e32 v7, vcc, v30, v7, vcc
	v_cmp_gt_i64_e32 vcc, s[2:3], v[6:7]
	v_cmp_gt_u64_e64 s[0:1], s[4:5], v[6:7]
	s_and_b64 s[10:11], vcc, s[0:1]
	s_and_saveexec_b64 s[0:1], s[10:11]
	s_cbranch_execz .LBB11_15
; %bb.14:                               ;   in Loop: Header=BB11_9 Depth=1
	v_mov_b32_e32 v41, s9
	v_add_co_u32_e32 v8, vcc, s8, v25
	v_addc_co_u32_e32 v9, vcc, v26, v41, vcc
	v_add_co_u32_e32 v42, vcc, s8, v23
	v_addc_co_u32_e32 v43, vcc, v24, v41, vcc
	global_load_ubyte v41, v[42:43], off
	global_load_ubyte v44, v[8:9], off
	s_waitcnt vmcnt(1)
	v_lshl_or_b32 v40, v41, 16, v40
	s_waitcnt vmcnt(0)
	v_lshl_or_b32 v39, v44, 16, v39
.LBB11_15:                              ;   in Loop: Header=BB11_9 Depth=1
	s_or_b64 exec, exec, s[0:1]
	v_mov_b32_e32 v9, s9
	v_add_co_u32_e32 v8, vcc, s8, v21
	v_addc_co_u32_e32 v9, vcc, v22, v9, vcc
	v_cmp_gt_i64_e32 vcc, s[2:3], v[8:9]
	v_cmp_gt_u64_e64 s[0:1], s[4:5], v[8:9]
	s_and_b64 s[10:11], vcc, s[0:1]
	s_and_saveexec_b64 s[0:1], s[10:11]
	s_cbranch_execnz .LBB11_20
; %bb.16:                               ;   in Loop: Header=BB11_9 Depth=1
	s_or_b64 exec, exec, s[0:1]
	v_cmp_gt_u64_e32 vcc, s[6:7], v[2:3]
	s_and_saveexec_b64 s[0:1], vcc
	s_cbranch_execnz .LBB11_21
.LBB11_17:                              ;   in Loop: Header=BB11_9 Depth=1
	s_or_b64 exec, exec, s[0:1]
	v_cmp_gt_u64_e32 vcc, s[6:7], v[4:5]
	s_and_saveexec_b64 s[0:1], vcc
	s_cbranch_execnz .LBB11_22
.LBB11_18:                              ;   in Loop: Header=BB11_9 Depth=1
	s_or_b64 exec, exec, s[0:1]
	v_cmp_gt_u64_e32 vcc, s[6:7], v[6:7]
	s_and_saveexec_b64 s[0:1], vcc
	s_cbranch_execnz .LBB11_23
.LBB11_19:                              ;   in Loop: Header=BB11_9 Depth=1
	s_or_b64 exec, exec, s[0:1]
	v_cmp_gt_u64_e32 vcc, s[6:7], v[8:9]
	s_and_saveexec_b64 s[0:1], vcc
	s_cbranch_execz .LBB11_8
	s_branch .LBB11_24
.LBB11_20:                              ;   in Loop: Header=BB11_9 Depth=1
	v_mov_b32_e32 v41, s9
	v_add_co_u32_e32 v42, vcc, s8, v17
	v_addc_co_u32_e32 v43, vcc, v18, v41, vcc
	v_add_co_u32_e32 v44, vcc, s8, v15
	v_addc_co_u32_e32 v45, vcc, v16, v41, vcc
	global_load_ubyte v41, v[44:45], off
	global_load_ubyte v46, v[42:43], off
	s_waitcnt vmcnt(1)
	v_lshl_or_b32 v40, v41, 24, v40
	s_waitcnt vmcnt(0)
	v_lshl_or_b32 v39, v46, 24, v39
	s_or_b64 exec, exec, s[0:1]
	v_cmp_gt_u64_e32 vcc, s[6:7], v[2:3]
	s_and_saveexec_b64 s[0:1], vcc
	s_cbranch_execz .LBB11_17
.LBB11_21:                              ;   in Loop: Header=BB11_9 Depth=1
	v_mov_b32_e32 v3, s9
	v_add_co_u32_e32 v2, vcc, s8, v13
	s_waitcnt vmcnt(0)
	v_mad_legacy_u16 v41, s16, v39, v40
	v_addc_co_u32_e32 v3, vcc, v14, v3, vcc
	global_store_byte v[2:3], v41, off
	s_or_b64 exec, exec, s[0:1]
	v_cmp_gt_u64_e32 vcc, s[6:7], v[4:5]
	s_and_saveexec_b64 s[0:1], vcc
	s_cbranch_execz .LBB11_18
.LBB11_22:                              ;   in Loop: Header=BB11_9 Depth=1
	s_waitcnt vmcnt(1)
	v_lshrrev_b32_e32 v2, 8, v40
	s_waitcnt vmcnt(0)
	v_lshrrev_b32_e32 v3, 8, v39
	v_mad_legacy_u16 v4, s16, v3, v2
	v_mov_b32_e32 v3, s9
	v_add_co_u32_e32 v2, vcc, s8, v35
	v_addc_co_u32_e32 v3, vcc, v36, v3, vcc
	global_store_byte v[2:3], v4, off
	s_or_b64 exec, exec, s[0:1]
	v_cmp_gt_u64_e32 vcc, s[6:7], v[6:7]
	s_and_saveexec_b64 s[0:1], vcc
	s_cbranch_execz .LBB11_19
.LBB11_23:                              ;   in Loop: Header=BB11_9 Depth=1
	s_waitcnt vmcnt(1)
	v_lshrrev_b32_e32 v2, 16, v40
	s_waitcnt vmcnt(0)
	v_lshrrev_b32_e32 v3, 16, v39
	v_mad_legacy_u16 v4, s16, v3, v2
	v_mov_b32_e32 v3, s9
	v_add_co_u32_e32 v2, vcc, s8, v27
	v_addc_co_u32_e32 v3, vcc, v28, v3, vcc
	global_store_byte v[2:3], v4, off
	s_or_b64 exec, exec, s[0:1]
	v_cmp_gt_u64_e32 vcc, s[6:7], v[8:9]
	s_and_saveexec_b64 s[0:1], vcc
	s_cbranch_execz .LBB11_8
.LBB11_24:                              ;   in Loop: Header=BB11_9 Depth=1
	s_waitcnt vmcnt(1)
	v_lshrrev_b32_e32 v2, 24, v40
	s_waitcnt vmcnt(0)
	v_lshrrev_b32_e32 v3, 24, v39
	v_mad_legacy_u16 v4, s16, v3, v2
	v_mov_b32_e32 v3, s9
	v_add_co_u32_e32 v2, vcc, s8, v19
	v_addc_co_u32_e32 v3, vcc, v20, v3, vcc
	global_store_byte v[2:3], v4, off
	s_branch .LBB11_8
.LBB11_25:
	s_endpgm
	.section	.rodata,"a",@progbits
	.p2align	6, 0x0
	.amdhsa_kernel _ZN2at6native12_GLOBAL__N_125multi_tensor_apply_kernelINS1_18TensorListMetadataILi4EEENS1_32PointwiseOpScalar0dTensorFunctorIhLi4ELi2ELi3EEEJSt10multipliesIhEhEEEvT_T0_DpT1_
		.amdhsa_group_segment_fixed_size 0
		.amdhsa_private_segment_fixed_size 0
		.amdhsa_kernarg_size 3312
		.amdhsa_user_sgpr_count 6
		.amdhsa_user_sgpr_private_segment_buffer 1
		.amdhsa_user_sgpr_dispatch_ptr 0
		.amdhsa_user_sgpr_queue_ptr 0
		.amdhsa_user_sgpr_kernarg_segment_ptr 1
		.amdhsa_user_sgpr_dispatch_id 0
		.amdhsa_user_sgpr_flat_scratch_init 0
		.amdhsa_user_sgpr_kernarg_preload_length 0
		.amdhsa_user_sgpr_kernarg_preload_offset 0
		.amdhsa_user_sgpr_private_segment_size 0
		.amdhsa_uses_dynamic_stack 0
		.amdhsa_system_sgpr_private_segment_wavefront_offset 0
		.amdhsa_system_sgpr_workgroup_id_x 1
		.amdhsa_system_sgpr_workgroup_id_y 0
		.amdhsa_system_sgpr_workgroup_id_z 0
		.amdhsa_system_sgpr_workgroup_info 0
		.amdhsa_system_vgpr_workitem_id 0
		.amdhsa_next_free_vgpr 47
		.amdhsa_next_free_sgpr 29
		.amdhsa_accum_offset 48
		.amdhsa_reserve_vcc 1
		.amdhsa_reserve_flat_scratch 0
		.amdhsa_float_round_mode_32 0
		.amdhsa_float_round_mode_16_64 0
		.amdhsa_float_denorm_mode_32 3
		.amdhsa_float_denorm_mode_16_64 3
		.amdhsa_dx10_clamp 1
		.amdhsa_ieee_mode 1
		.amdhsa_fp16_overflow 0
		.amdhsa_tg_split 0
		.amdhsa_exception_fp_ieee_invalid_op 0
		.amdhsa_exception_fp_denorm_src 0
		.amdhsa_exception_fp_ieee_div_zero 0
		.amdhsa_exception_fp_ieee_overflow 0
		.amdhsa_exception_fp_ieee_underflow 0
		.amdhsa_exception_fp_ieee_inexact 0
		.amdhsa_exception_int_div_zero 0
	.end_amdhsa_kernel
	.section	.text._ZN2at6native12_GLOBAL__N_125multi_tensor_apply_kernelINS1_18TensorListMetadataILi4EEENS1_32PointwiseOpScalar0dTensorFunctorIhLi4ELi2ELi3EEEJSt10multipliesIhEhEEEvT_T0_DpT1_,"axG",@progbits,_ZN2at6native12_GLOBAL__N_125multi_tensor_apply_kernelINS1_18TensorListMetadataILi4EEENS1_32PointwiseOpScalar0dTensorFunctorIhLi4ELi2ELi3EEEJSt10multipliesIhEhEEEvT_T0_DpT1_,comdat
.Lfunc_end11:
	.size	_ZN2at6native12_GLOBAL__N_125multi_tensor_apply_kernelINS1_18TensorListMetadataILi4EEENS1_32PointwiseOpScalar0dTensorFunctorIhLi4ELi2ELi3EEEJSt10multipliesIhEhEEEvT_T0_DpT1_, .Lfunc_end11-_ZN2at6native12_GLOBAL__N_125multi_tensor_apply_kernelINS1_18TensorListMetadataILi4EEENS1_32PointwiseOpScalar0dTensorFunctorIhLi4ELi2ELi3EEEJSt10multipliesIhEhEEEvT_T0_DpT1_
                                        ; -- End function
	.section	.AMDGPU.csdata,"",@progbits
; Kernel info:
; codeLenInByte = 1624
; NumSgprs: 33
; NumVgprs: 47
; NumAgprs: 0
; TotalNumVgprs: 47
; ScratchSize: 0
; MemoryBound: 0
; FloatMode: 240
; IeeeMode: 1
; LDSByteSize: 0 bytes/workgroup (compile time only)
; SGPRBlocks: 4
; VGPRBlocks: 5
; NumSGPRsForWavesPerEU: 33
; NumVGPRsForWavesPerEU: 47
; AccumOffset: 48
; Occupancy: 8
; WaveLimiterHint : 0
; COMPUTE_PGM_RSRC2:SCRATCH_EN: 0
; COMPUTE_PGM_RSRC2:USER_SGPR: 6
; COMPUTE_PGM_RSRC2:TRAP_HANDLER: 0
; COMPUTE_PGM_RSRC2:TGID_X_EN: 1
; COMPUTE_PGM_RSRC2:TGID_Y_EN: 0
; COMPUTE_PGM_RSRC2:TGID_Z_EN: 0
; COMPUTE_PGM_RSRC2:TIDIG_COMP_CNT: 0
; COMPUTE_PGM_RSRC3_GFX90A:ACCUM_OFFSET: 11
; COMPUTE_PGM_RSRC3_GFX90A:TG_SPLIT: 0
	.section	.text._ZN2at6native12_GLOBAL__N_125multi_tensor_apply_kernelINS1_18TensorListMetadataILi4EEENS1_32PointwiseOpScalar0dTensorFunctorIaLi4ELi2ELi3EEEJSt10multipliesIaEaEEEvT_T0_DpT1_,"axG",@progbits,_ZN2at6native12_GLOBAL__N_125multi_tensor_apply_kernelINS1_18TensorListMetadataILi4EEENS1_32PointwiseOpScalar0dTensorFunctorIaLi4ELi2ELi3EEEJSt10multipliesIaEaEEEvT_T0_DpT1_,comdat
	.globl	_ZN2at6native12_GLOBAL__N_125multi_tensor_apply_kernelINS1_18TensorListMetadataILi4EEENS1_32PointwiseOpScalar0dTensorFunctorIaLi4ELi2ELi3EEEJSt10multipliesIaEaEEEvT_T0_DpT1_ ; -- Begin function _ZN2at6native12_GLOBAL__N_125multi_tensor_apply_kernelINS1_18TensorListMetadataILi4EEENS1_32PointwiseOpScalar0dTensorFunctorIaLi4ELi2ELi3EEEJSt10multipliesIaEaEEEvT_T0_DpT1_
	.p2align	8
	.type	_ZN2at6native12_GLOBAL__N_125multi_tensor_apply_kernelINS1_18TensorListMetadataILi4EEENS1_32PointwiseOpScalar0dTensorFunctorIaLi4ELi2ELi3EEEJSt10multipliesIaEaEEEvT_T0_DpT1_,@function
_ZN2at6native12_GLOBAL__N_125multi_tensor_apply_kernelINS1_18TensorListMetadataILi4EEENS1_32PointwiseOpScalar0dTensorFunctorIaLi4ELi2ELi3EEEJSt10multipliesIaEaEEEvT_T0_DpT1_: ; @_ZN2at6native12_GLOBAL__N_125multi_tensor_apply_kernelINS1_18TensorListMetadataILi4EEENS1_32PointwiseOpScalar0dTensorFunctorIaLi4ELi2ELi3EEEJSt10multipliesIaEaEEEvT_T0_DpT1_
; %bb.0:
	v_mov_b32_e32 v1, s6
	global_load_ubyte v1, v1, s[4:5] offset:1440
	s_load_dword s0, s[4:5], 0xbe8
	s_mul_i32 s2, s6, 3
	s_mul_hi_u32 s1, s6, 3
	v_mov_b32_e32 v3, 0
	s_waitcnt lgkmcnt(0)
	s_lshr_b32 s22, s0, 16
	s_add_u32 s0, s4, s6
	s_addc_u32 s3, s5, 0
	s_add_u32 s0, s0, s2
	s_addc_u32 s1, s3, s1
	s_waitcnt vmcnt(0)
	v_readfirstlane_b32 s2, v1
	s_lshl_b32 s7, s2, 3
	s_load_dwordx2 s[2:3], s[4:5], s7 offset:0x120
	s_load_dwordx2 s[8:9], s[4:5], s7 offset:0x240
	;; [unrolled: 1-line block ×3, first 2 shown]
	s_waitcnt lgkmcnt(0)
	global_load_ubyte v1, v3, s[2:3]
	s_load_dword s6, s[0:1], 0x6e0
	s_load_dwordx2 s[12:13], s[4:5], s7 offset:0x0
	s_load_dwordx2 s[16:17], s[4:5], s7 offset:0x480
	s_mov_b32 s1, 0
	s_waitcnt lgkmcnt(0)
	s_ashr_i32 s7, s6, 31
	s_lshl_b64 s[14:15], s[6:7], 16
	s_add_u32 s6, s12, s14
	s_addc_u32 s7, s13, s15
	s_add_u32 s0, s2, s14
	s_and_b32 s0, s0, 3
	s_cmp_lg_u64 s[0:1], 0
	s_cselect_b64 s[2:3], -1, 0
	s_add_u32 s24, s8, s14
	s_addc_u32 s20, s9, s15
	s_add_u32 s25, s10, s14
	s_addc_u32 s21, s11, s15
	s_or_b32 s0, s25, s24
	s_and_b32 s0, s0, 3
	s_cmp_lg_u32 s0, 0
	s_cselect_b64 s[18:19], -1, 0
	s_or_b64 s[18:19], s[18:19], s[2:3]
	s_sub_u32 s2, s16, s14
	s_subb_u32 s3, s17, s15
	s_or_b64 s[16:17], s[16:17], s[6:7]
	s_and_b32 s0, s16, 3
	s_cmp_lg_u64 s[0:1], 0
	s_cselect_b64 s[0:1], -1, 0
	s_or_b64 s[0:1], s[18:19], s[0:1]
	s_andn2_b64 vcc, exec, s[0:1]
	s_mov_b64 s[0:1], -1
	s_waitcnt vmcnt(0)
	v_readfirstlane_b32 s23, v1
	s_cbranch_vccz .LBB12_5
; %bb.1:
	v_lshlrev_b32_e32 v2, 2, v0
	v_cmp_gt_i64_e32 vcc, s[2:3], v[2:3]
	s_and_saveexec_b64 s[16:17], vcc
	s_cbranch_execz .LBB12_4
; %bb.2:
	s_load_dword s0, s[4:5], 0xbfc
	s_and_b32 s26, s23, 0xff
	s_and_b32 s1, s22, 0xff
	s_mov_b32 s28, 0
	s_mul_i32 s26, s26, s1
	s_waitcnt lgkmcnt(0)
	s_and_b32 s0, s0, 0xffff
	s_lshl_b32 s27, s0, 2
	s_mov_b64 s[18:19], 0
	v_mov_b32_e32 v1, s7
	v_mov_b32_e32 v4, s20
	s_mov_b32 s7, 0x6050400
	v_mov_b32_e32 v5, s21
	v_mov_b32_e32 v6, s28
	s_mov_b64 s[20:21], 0xffff
.LBB12_3:                               ; =>This Inner Loop Header: Depth=1
	v_add_co_u32_e32 v8, vcc, s6, v2
	v_addc_co_u32_e32 v9, vcc, v1, v3, vcc
	v_add_co_u32_e32 v10, vcc, s24, v2
	v_addc_co_u32_e32 v11, vcc, v4, v3, vcc
	global_load_dword v7, v[8:9], off
	global_load_dword v12, v[10:11], off
	v_add_co_u32_e32 v8, vcc, s25, v2
	v_addc_co_u32_e32 v9, vcc, v5, v3, vcc
	v_add_co_u32_e32 v2, vcc, s27, v2
	v_addc_co_u32_e32 v3, vcc, v6, v3, vcc
	v_cmp_le_i64_e32 vcc, s[2:3], v[2:3]
	v_cmp_lt_u64_e64 s[0:1], s[20:21], v[2:3]
	s_or_b64 s[0:1], vcc, s[0:1]
	s_and_b64 s[0:1], exec, s[0:1]
	s_or_b64 s[18:19], s[0:1], s[18:19]
	s_waitcnt vmcnt(1)
	v_lshrrev_b32_e32 v11, 8, v7
	s_waitcnt vmcnt(0)
	v_lshrrev_b32_e32 v13, 8, v12
	v_lshrrev_b32_e32 v14, 16, v7
	;; [unrolled: 1-line block ×3, first 2 shown]
	v_mad_legacy_u16 v10, s26, v12, v7
	v_lshrrev_b32_e32 v7, 24, v7
	v_lshrrev_b32_e32 v12, 24, v12
	v_mad_legacy_u16 v11, s26, v13, v11
	v_mad_legacy_u16 v13, s26, v15, v14
	;; [unrolled: 1-line block ×3, first 2 shown]
	v_and_b32_e32 v11, 0xff, v11
	v_and_b32_e32 v12, 0xff, v13
	v_lshlrev_b32_e32 v7, 24, v7
	v_perm_b32 v10, v11, v10, s7
	v_lshlrev_b32_e32 v11, 16, v12
	v_or3_b32 v7, v10, v11, v7
	global_store_dword v[8:9], v7, off
	s_andn2_b64 exec, exec, s[18:19]
	s_cbranch_execnz .LBB12_3
.LBB12_4:
	s_or_b64 exec, exec, s[16:17]
	s_mov_b64 s[0:1], 0
.LBB12_5:
	s_andn2_b64 vcc, exec, s[0:1]
	s_cbranch_vccnz .LBB12_25
; %bb.6:
	v_cmp_lt_i64_e64 s[0:1], s[2:3], 1
	s_and_b64 vcc, exec, s[0:1]
	s_cbranch_vccnz .LBB12_25
; %bb.7:
	s_load_dword s0, s[4:5], 0xbfc
	v_mov_b32_e32 v2, 0x10000
	v_mov_b32_e32 v3, 0
	s_and_b32 s16, s23, 0xff
	s_and_b32 s1, s22, 0xff
	s_waitcnt lgkmcnt(0)
	s_and_b32 s18, s0, 0xffff
	v_cmp_lt_u64_e32 vcc, s[2:3], v[2:3]
	s_mul_i32 s16, s16, s1
	s_and_b64 s[0:1], vcc, exec
	v_mov_b32_e32 v1, s15
	v_add_co_u32_e32 v2, vcc, s14, v0
	v_addc_co_u32_e32 v3, vcc, 0, v1, vcc
	v_mov_b32_e32 v4, s13
	v_add_co_u32_e32 v1, vcc, s12, v2
	v_addc_co_u32_e32 v10, vcc, v4, v3, vcc
	v_mov_b32_e32 v5, s9
	v_add_co_u32_e32 v11, vcc, s8, v2
	s_cselect_b32 s7, s3, 0
	s_cselect_b32 s6, s2, 0x10000
	s_lshl_b32 s19, s18, 1
	s_mul_i32 s0, s18, 3
	s_lshl_b32 s17, s18, 2
	v_addc_co_u32_e32 v12, vcc, v5, v3, vcc
	v_mov_b32_e32 v6, s11
	v_add_co_u32_e32 v13, vcc, s10, v2
	s_add_u32 s1, s14, s0
	v_addc_co_u32_e32 v14, vcc, v6, v3, vcc
	s_addc_u32 s9, s15, 0
	v_mov_b32_e32 v7, s9
	v_add_co_u32_e32 v8, vcc, s1, v0
	v_addc_co_u32_e32 v7, vcc, 0, v7, vcc
	v_add_co_u32_e32 v15, vcc, s12, v8
	v_addc_co_u32_e32 v16, vcc, v4, v7, vcc
	;; [unrolled: 2-line block ×4, first 2 shown]
	v_add_co_u32_e32 v21, vcc, s0, v0
	v_addc_co_u32_e64 v22, s[0:1], 0, 0, vcc
	s_add_u32 s0, s14, s19
	s_addc_u32 s1, s15, 0
	v_mov_b32_e32 v7, s1
	v_add_co_u32_e32 v8, vcc, s0, v0
	v_addc_co_u32_e32 v7, vcc, 0, v7, vcc
	v_add_co_u32_e32 v23, vcc, s12, v8
	v_addc_co_u32_e32 v24, vcc, v4, v7, vcc
	;; [unrolled: 2-line block ×4, first 2 shown]
	v_add_co_u32_e32 v29, vcc, s19, v0
	v_addc_co_u32_e64 v30, s[0:1], 0, 0, vcc
	v_add_co_u32_e32 v2, vcc, s18, v2
	v_addc_co_u32_e32 v3, vcc, 0, v3, vcc
	v_add_co_u32_e32 v31, vcc, s12, v2
	v_addc_co_u32_e32 v32, vcc, v4, v3, vcc
	;; [unrolled: 2-line block ×4, first 2 shown]
	v_add_co_u32_e32 v37, vcc, s18, v0
	s_mov_b64 s[4:5], 0x10000
	v_addc_co_u32_e64 v38, s[0:1], 0, 0, vcc
	s_mov_b64 s[8:9], 0
	s_branch .LBB12_9
.LBB12_8:                               ;   in Loop: Header=BB12_9 Depth=1
	s_or_b64 exec, exec, s[0:1]
	s_add_u32 s8, s8, s17
	s_addc_u32 s9, s9, 0
	v_pk_mov_b32 v[2:3], s[2:3], s[2:3] op_sel:[0,1]
	v_cmp_ge_i64_e32 vcc, s[8:9], v[2:3]
	v_mov_b32_e32 v2, 0xffff
	v_mov_b32_e32 v3, 0
	v_cmp_gt_u64_e64 s[0:1], s[8:9], v[2:3]
	s_or_b64 s[0:1], vcc, s[0:1]
	s_and_b64 vcc, exec, s[0:1]
	s_cbranch_vccnz .LBB12_25
.LBB12_9:                               ; =>This Inner Loop Header: Depth=1
	v_mov_b32_e32 v3, s9
	v_add_co_u32_e32 v2, vcc, s8, v0
	v_addc_co_u32_e32 v3, vcc, 0, v3, vcc
	v_cmp_gt_i64_e32 vcc, s[2:3], v[2:3]
	v_cmp_gt_u64_e64 s[0:1], s[4:5], v[2:3]
	s_and_b64 s[10:11], vcc, s[0:1]
	s_waitcnt vmcnt(0)
	v_mov_b32_e32 v39, 0
	v_mov_b32_e32 v40, 0
	s_and_saveexec_b64 s[0:1], s[10:11]
	s_cbranch_execz .LBB12_11
; %bb.10:                               ;   in Loop: Header=BB12_9 Depth=1
	v_mov_b32_e32 v7, s9
	v_add_co_u32_e32 v4, vcc, s8, v1
	v_addc_co_u32_e32 v5, vcc, v10, v7, vcc
	v_add_co_u32_e32 v6, vcc, s8, v11
	v_addc_co_u32_e32 v7, vcc, v12, v7, vcc
	global_load_ubyte v40, v[4:5], off
	global_load_ubyte v39, v[6:7], off
.LBB12_11:                              ;   in Loop: Header=BB12_9 Depth=1
	s_or_b64 exec, exec, s[0:1]
	v_mov_b32_e32 v5, s9
	v_add_co_u32_e32 v4, vcc, s8, v37
	v_addc_co_u32_e32 v5, vcc, v38, v5, vcc
	v_cmp_gt_i64_e32 vcc, s[2:3], v[4:5]
	v_cmp_gt_u64_e64 s[0:1], s[4:5], v[4:5]
	s_and_b64 s[10:11], vcc, s[0:1]
	s_and_saveexec_b64 s[0:1], s[10:11]
	s_cbranch_execz .LBB12_13
; %bb.12:                               ;   in Loop: Header=BB12_9 Depth=1
	v_mov_b32_e32 v9, s9
	v_add_co_u32_e32 v6, vcc, s8, v33
	v_addc_co_u32_e32 v7, vcc, v34, v9, vcc
	v_add_co_u32_e32 v8, vcc, s8, v31
	v_addc_co_u32_e32 v9, vcc, v32, v9, vcc
	global_load_ubyte v41, v[8:9], off
	global_load_ubyte v42, v[6:7], off
	s_waitcnt vmcnt(1)
	v_lshl_or_b32 v40, v41, 8, v40
	s_waitcnt vmcnt(0)
	v_lshl_or_b32 v39, v42, 8, v39
.LBB12_13:                              ;   in Loop: Header=BB12_9 Depth=1
	s_or_b64 exec, exec, s[0:1]
	v_mov_b32_e32 v7, s9
	v_add_co_u32_e32 v6, vcc, s8, v29
	v_addc_co_u32_e32 v7, vcc, v30, v7, vcc
	v_cmp_gt_i64_e32 vcc, s[2:3], v[6:7]
	v_cmp_gt_u64_e64 s[0:1], s[4:5], v[6:7]
	s_and_b64 s[10:11], vcc, s[0:1]
	s_and_saveexec_b64 s[0:1], s[10:11]
	s_cbranch_execz .LBB12_15
; %bb.14:                               ;   in Loop: Header=BB12_9 Depth=1
	v_mov_b32_e32 v41, s9
	v_add_co_u32_e32 v8, vcc, s8, v25
	v_addc_co_u32_e32 v9, vcc, v26, v41, vcc
	v_add_co_u32_e32 v42, vcc, s8, v23
	v_addc_co_u32_e32 v43, vcc, v24, v41, vcc
	global_load_ubyte v41, v[42:43], off
	global_load_ubyte v44, v[8:9], off
	s_waitcnt vmcnt(1)
	v_lshl_or_b32 v40, v41, 16, v40
	s_waitcnt vmcnt(0)
	v_lshl_or_b32 v39, v44, 16, v39
.LBB12_15:                              ;   in Loop: Header=BB12_9 Depth=1
	s_or_b64 exec, exec, s[0:1]
	v_mov_b32_e32 v9, s9
	v_add_co_u32_e32 v8, vcc, s8, v21
	v_addc_co_u32_e32 v9, vcc, v22, v9, vcc
	v_cmp_gt_i64_e32 vcc, s[2:3], v[8:9]
	v_cmp_gt_u64_e64 s[0:1], s[4:5], v[8:9]
	s_and_b64 s[10:11], vcc, s[0:1]
	s_and_saveexec_b64 s[0:1], s[10:11]
	s_cbranch_execnz .LBB12_20
; %bb.16:                               ;   in Loop: Header=BB12_9 Depth=1
	s_or_b64 exec, exec, s[0:1]
	v_cmp_gt_u64_e32 vcc, s[6:7], v[2:3]
	s_and_saveexec_b64 s[0:1], vcc
	s_cbranch_execnz .LBB12_21
.LBB12_17:                              ;   in Loop: Header=BB12_9 Depth=1
	s_or_b64 exec, exec, s[0:1]
	v_cmp_gt_u64_e32 vcc, s[6:7], v[4:5]
	s_and_saveexec_b64 s[0:1], vcc
	s_cbranch_execnz .LBB12_22
.LBB12_18:                              ;   in Loop: Header=BB12_9 Depth=1
	s_or_b64 exec, exec, s[0:1]
	v_cmp_gt_u64_e32 vcc, s[6:7], v[6:7]
	s_and_saveexec_b64 s[0:1], vcc
	s_cbranch_execnz .LBB12_23
.LBB12_19:                              ;   in Loop: Header=BB12_9 Depth=1
	s_or_b64 exec, exec, s[0:1]
	v_cmp_gt_u64_e32 vcc, s[6:7], v[8:9]
	s_and_saveexec_b64 s[0:1], vcc
	s_cbranch_execz .LBB12_8
	s_branch .LBB12_24
.LBB12_20:                              ;   in Loop: Header=BB12_9 Depth=1
	v_mov_b32_e32 v41, s9
	v_add_co_u32_e32 v42, vcc, s8, v17
	v_addc_co_u32_e32 v43, vcc, v18, v41, vcc
	v_add_co_u32_e32 v44, vcc, s8, v15
	v_addc_co_u32_e32 v45, vcc, v16, v41, vcc
	global_load_ubyte v41, v[44:45], off
	global_load_ubyte v46, v[42:43], off
	s_waitcnt vmcnt(1)
	v_lshl_or_b32 v40, v41, 24, v40
	s_waitcnt vmcnt(0)
	v_lshl_or_b32 v39, v46, 24, v39
	s_or_b64 exec, exec, s[0:1]
	v_cmp_gt_u64_e32 vcc, s[6:7], v[2:3]
	s_and_saveexec_b64 s[0:1], vcc
	s_cbranch_execz .LBB12_17
.LBB12_21:                              ;   in Loop: Header=BB12_9 Depth=1
	v_mov_b32_e32 v3, s9
	v_add_co_u32_e32 v2, vcc, s8, v13
	s_waitcnt vmcnt(0)
	v_mad_legacy_u16 v41, s16, v39, v40
	v_addc_co_u32_e32 v3, vcc, v14, v3, vcc
	global_store_byte v[2:3], v41, off
	s_or_b64 exec, exec, s[0:1]
	v_cmp_gt_u64_e32 vcc, s[6:7], v[4:5]
	s_and_saveexec_b64 s[0:1], vcc
	s_cbranch_execz .LBB12_18
.LBB12_22:                              ;   in Loop: Header=BB12_9 Depth=1
	s_waitcnt vmcnt(1)
	v_lshrrev_b32_e32 v2, 8, v40
	s_waitcnt vmcnt(0)
	v_lshrrev_b32_e32 v3, 8, v39
	v_mad_legacy_u16 v4, s16, v3, v2
	v_mov_b32_e32 v3, s9
	v_add_co_u32_e32 v2, vcc, s8, v35
	v_addc_co_u32_e32 v3, vcc, v36, v3, vcc
	global_store_byte v[2:3], v4, off
	s_or_b64 exec, exec, s[0:1]
	v_cmp_gt_u64_e32 vcc, s[6:7], v[6:7]
	s_and_saveexec_b64 s[0:1], vcc
	s_cbranch_execz .LBB12_19
.LBB12_23:                              ;   in Loop: Header=BB12_9 Depth=1
	s_waitcnt vmcnt(1)
	v_lshrrev_b32_e32 v2, 16, v40
	s_waitcnt vmcnt(0)
	v_lshrrev_b32_e32 v3, 16, v39
	v_mad_legacy_u16 v4, s16, v3, v2
	v_mov_b32_e32 v3, s9
	v_add_co_u32_e32 v2, vcc, s8, v27
	v_addc_co_u32_e32 v3, vcc, v28, v3, vcc
	global_store_byte v[2:3], v4, off
	s_or_b64 exec, exec, s[0:1]
	v_cmp_gt_u64_e32 vcc, s[6:7], v[8:9]
	s_and_saveexec_b64 s[0:1], vcc
	s_cbranch_execz .LBB12_8
.LBB12_24:                              ;   in Loop: Header=BB12_9 Depth=1
	s_waitcnt vmcnt(1)
	v_lshrrev_b32_e32 v2, 24, v40
	s_waitcnt vmcnt(0)
	v_lshrrev_b32_e32 v3, 24, v39
	v_mad_legacy_u16 v4, s16, v3, v2
	v_mov_b32_e32 v3, s9
	v_add_co_u32_e32 v2, vcc, s8, v19
	v_addc_co_u32_e32 v3, vcc, v20, v3, vcc
	global_store_byte v[2:3], v4, off
	s_branch .LBB12_8
.LBB12_25:
	s_endpgm
	.section	.rodata,"a",@progbits
	.p2align	6, 0x0
	.amdhsa_kernel _ZN2at6native12_GLOBAL__N_125multi_tensor_apply_kernelINS1_18TensorListMetadataILi4EEENS1_32PointwiseOpScalar0dTensorFunctorIaLi4ELi2ELi3EEEJSt10multipliesIaEaEEEvT_T0_DpT1_
		.amdhsa_group_segment_fixed_size 0
		.amdhsa_private_segment_fixed_size 0
		.amdhsa_kernarg_size 3312
		.amdhsa_user_sgpr_count 6
		.amdhsa_user_sgpr_private_segment_buffer 1
		.amdhsa_user_sgpr_dispatch_ptr 0
		.amdhsa_user_sgpr_queue_ptr 0
		.amdhsa_user_sgpr_kernarg_segment_ptr 1
		.amdhsa_user_sgpr_dispatch_id 0
		.amdhsa_user_sgpr_flat_scratch_init 0
		.amdhsa_user_sgpr_kernarg_preload_length 0
		.amdhsa_user_sgpr_kernarg_preload_offset 0
		.amdhsa_user_sgpr_private_segment_size 0
		.amdhsa_uses_dynamic_stack 0
		.amdhsa_system_sgpr_private_segment_wavefront_offset 0
		.amdhsa_system_sgpr_workgroup_id_x 1
		.amdhsa_system_sgpr_workgroup_id_y 0
		.amdhsa_system_sgpr_workgroup_id_z 0
		.amdhsa_system_sgpr_workgroup_info 0
		.amdhsa_system_vgpr_workitem_id 0
		.amdhsa_next_free_vgpr 47
		.amdhsa_next_free_sgpr 29
		.amdhsa_accum_offset 48
		.amdhsa_reserve_vcc 1
		.amdhsa_reserve_flat_scratch 0
		.amdhsa_float_round_mode_32 0
		.amdhsa_float_round_mode_16_64 0
		.amdhsa_float_denorm_mode_32 3
		.amdhsa_float_denorm_mode_16_64 3
		.amdhsa_dx10_clamp 1
		.amdhsa_ieee_mode 1
		.amdhsa_fp16_overflow 0
		.amdhsa_tg_split 0
		.amdhsa_exception_fp_ieee_invalid_op 0
		.amdhsa_exception_fp_denorm_src 0
		.amdhsa_exception_fp_ieee_div_zero 0
		.amdhsa_exception_fp_ieee_overflow 0
		.amdhsa_exception_fp_ieee_underflow 0
		.amdhsa_exception_fp_ieee_inexact 0
		.amdhsa_exception_int_div_zero 0
	.end_amdhsa_kernel
	.section	.text._ZN2at6native12_GLOBAL__N_125multi_tensor_apply_kernelINS1_18TensorListMetadataILi4EEENS1_32PointwiseOpScalar0dTensorFunctorIaLi4ELi2ELi3EEEJSt10multipliesIaEaEEEvT_T0_DpT1_,"axG",@progbits,_ZN2at6native12_GLOBAL__N_125multi_tensor_apply_kernelINS1_18TensorListMetadataILi4EEENS1_32PointwiseOpScalar0dTensorFunctorIaLi4ELi2ELi3EEEJSt10multipliesIaEaEEEvT_T0_DpT1_,comdat
.Lfunc_end12:
	.size	_ZN2at6native12_GLOBAL__N_125multi_tensor_apply_kernelINS1_18TensorListMetadataILi4EEENS1_32PointwiseOpScalar0dTensorFunctorIaLi4ELi2ELi3EEEJSt10multipliesIaEaEEEvT_T0_DpT1_, .Lfunc_end12-_ZN2at6native12_GLOBAL__N_125multi_tensor_apply_kernelINS1_18TensorListMetadataILi4EEENS1_32PointwiseOpScalar0dTensorFunctorIaLi4ELi2ELi3EEEJSt10multipliesIaEaEEEvT_T0_DpT1_
                                        ; -- End function
	.section	.AMDGPU.csdata,"",@progbits
; Kernel info:
; codeLenInByte = 1624
; NumSgprs: 33
; NumVgprs: 47
; NumAgprs: 0
; TotalNumVgprs: 47
; ScratchSize: 0
; MemoryBound: 0
; FloatMode: 240
; IeeeMode: 1
; LDSByteSize: 0 bytes/workgroup (compile time only)
; SGPRBlocks: 4
; VGPRBlocks: 5
; NumSGPRsForWavesPerEU: 33
; NumVGPRsForWavesPerEU: 47
; AccumOffset: 48
; Occupancy: 8
; WaveLimiterHint : 0
; COMPUTE_PGM_RSRC2:SCRATCH_EN: 0
; COMPUTE_PGM_RSRC2:USER_SGPR: 6
; COMPUTE_PGM_RSRC2:TRAP_HANDLER: 0
; COMPUTE_PGM_RSRC2:TGID_X_EN: 1
; COMPUTE_PGM_RSRC2:TGID_Y_EN: 0
; COMPUTE_PGM_RSRC2:TGID_Z_EN: 0
; COMPUTE_PGM_RSRC2:TIDIG_COMP_CNT: 0
; COMPUTE_PGM_RSRC3_GFX90A:ACCUM_OFFSET: 11
; COMPUTE_PGM_RSRC3_GFX90A:TG_SPLIT: 0
	.section	.text._ZN2at6native12_GLOBAL__N_125multi_tensor_apply_kernelINS1_18TensorListMetadataILi4EEENS1_32PointwiseOpScalar0dTensorFunctorIiLi4ELi2ELi3EEEJSt10multipliesIiEiEEEvT_T0_DpT1_,"axG",@progbits,_ZN2at6native12_GLOBAL__N_125multi_tensor_apply_kernelINS1_18TensorListMetadataILi4EEENS1_32PointwiseOpScalar0dTensorFunctorIiLi4ELi2ELi3EEEJSt10multipliesIiEiEEEvT_T0_DpT1_,comdat
	.globl	_ZN2at6native12_GLOBAL__N_125multi_tensor_apply_kernelINS1_18TensorListMetadataILi4EEENS1_32PointwiseOpScalar0dTensorFunctorIiLi4ELi2ELi3EEEJSt10multipliesIiEiEEEvT_T0_DpT1_ ; -- Begin function _ZN2at6native12_GLOBAL__N_125multi_tensor_apply_kernelINS1_18TensorListMetadataILi4EEENS1_32PointwiseOpScalar0dTensorFunctorIiLi4ELi2ELi3EEEJSt10multipliesIiEiEEEvT_T0_DpT1_
	.p2align	8
	.type	_ZN2at6native12_GLOBAL__N_125multi_tensor_apply_kernelINS1_18TensorListMetadataILi4EEENS1_32PointwiseOpScalar0dTensorFunctorIiLi4ELi2ELi3EEEJSt10multipliesIiEiEEEvT_T0_DpT1_,@function
_ZN2at6native12_GLOBAL__N_125multi_tensor_apply_kernelINS1_18TensorListMetadataILi4EEENS1_32PointwiseOpScalar0dTensorFunctorIiLi4ELi2ELi3EEEJSt10multipliesIiEiEEEvT_T0_DpT1_: ; @_ZN2at6native12_GLOBAL__N_125multi_tensor_apply_kernelINS1_18TensorListMetadataILi4EEENS1_32PointwiseOpScalar0dTensorFunctorIiLi4ELi2ELi3EEEJSt10multipliesIiEiEEEvT_T0_DpT1_
; %bb.0:
	v_mov_b32_e32 v1, s6
	global_load_ubyte v1, v1, s[4:5] offset:1440
	s_add_u32 s0, s4, s6
	s_mul_hi_u32 s1, s6, 3
	s_mul_i32 s6, s6, 3
	s_addc_u32 s2, s5, 0
	s_add_u32 s0, s0, s6
	s_addc_u32 s1, s2, s1
	s_load_dword s2, s[0:1], 0x6e0
	s_mov_b32 s1, 0
	s_mov_b32 s9, s1
	;; [unrolled: 1-line block ×3, first 2 shown]
	s_waitcnt lgkmcnt(0)
	s_ashr_i32 s3, s2, 31
	s_lshl_b64 s[6:7], s[2:3], 18
	s_waitcnt vmcnt(0)
	v_readfirstlane_b32 s0, v1
	s_lshl_b32 s0, s0, 3
	s_load_dwordx2 s[14:15], s[4:5], s0 offset:0x0
	s_load_dwordx2 s[18:19], s[4:5], s0 offset:0x120
	s_load_dword s22, s[4:5], 0xbec
	s_load_dwordx2 s[20:21], s[4:5], s0 offset:0x480
	s_load_dwordx2 s[16:17], s[4:5], s0 offset:0x240
	;; [unrolled: 1-line block ×3, first 2 shown]
	s_waitcnt lgkmcnt(0)
	s_add_u32 s8, s18, s6
	s_and_b32 s0, s14, 15
	s_and_b32 s8, s8, 15
	s_cmp_lg_u64 s[8:9], 0
	s_cselect_b64 s[8:9], -1, 0
	s_add_u32 s10, s16, s6
	s_or_b32 s10, s12, s10
	s_and_b32 s10, s10, 15
	s_cmp_lg_u32 s10, 0
	s_load_dword s23, s[18:19], 0x0
	s_cselect_b64 s[18:19], -1, 0
	s_lshl_b64 s[2:3], s[2:3], 16
	s_or_b64 s[18:19], s[18:19], s[8:9]
	s_sub_u32 s8, s20, s2
	s_subb_u32 s9, s21, s3
	s_and_b32 s10, s20, 3
	s_or_b64 s[2:3], s[0:1], s[10:11]
	s_cmp_lg_u64 s[2:3], 0
	s_cselect_b64 s[2:3], -1, 0
	s_or_b64 s[2:3], s[18:19], s[2:3]
	s_andn2_b64 vcc, exec, s[2:3]
	s_mov_b64 s[2:3], -1
	s_cbranch_vccz .LBB13_5
; %bb.1:
	v_mov_b32_e32 v3, 0
	v_lshlrev_b32_e32 v2, 2, v0
	v_cmp_gt_i64_e32 vcc, s[8:9], v[2:3]
	s_and_saveexec_b64 s[10:11], vcc
	s_cbranch_execz .LBB13_4
; %bb.2:
	s_load_dword s0, s[4:5], 0xbfc
	v_lshlrev_b32_e32 v1, 4, v0
	s_waitcnt lgkmcnt(0)
	s_mul_i32 s24, s23, s22
	v_mov_b32_e32 v5, s7
	v_add_co_u32_e32 v4, vcc, s6, v1
	s_and_b32 s0, s0, 0xffff
	s_lshl_b32 s26, s0, 2
	s_add_u32 s27, s14, 8
	s_addc_u32 s2, s15, 0
	s_lshl_b32 s28, s0, 4
	s_add_u32 s29, s16, 8
	s_addc_u32 s3, s17, 0
	s_mov_b32 s25, s24
	v_add_lshl_u32 v2, v0, s0, 2
	v_addc_co_u32_e32 v1, vcc, 0, v5, vcc
	s_mov_b64 s[18:19], 0
	v_mov_b32_e32 v5, s2
	v_mov_b32_e32 v6, s3
	;; [unrolled: 1-line block ×3, first 2 shown]
	s_mov_b64 s[20:21], 0xffff
	v_mov_b32_e32 v8, s1
	v_mov_b32_e32 v9, s1
.LBB13_3:                               ; =>This Inner Loop Header: Depth=1
	v_add_co_u32_e32 v18, vcc, s27, v4
	v_addc_co_u32_e32 v19, vcc, v5, v1, vcc
	v_add_co_u32_e32 v20, vcc, s29, v4
	v_addc_co_u32_e32 v21, vcc, v6, v1, vcc
	global_load_dwordx4 v[10:13], v[18:19], off offset:-8
	global_load_dwordx4 v[14:17], v[20:21], off offset:-8
	v_add_co_u32_e32 v18, vcc, s12, v4
	v_addc_co_u32_e32 v19, vcc, v7, v1, vcc
	v_cmp_le_i64_e32 vcc, s[8:9], v[2:3]
	v_cmp_lt_u64_e64 s[0:1], s[20:21], v[2:3]
	s_or_b64 s[0:1], vcc, s[0:1]
	v_add_co_u32_e64 v2, s[2:3], s26, v2
	s_and_b64 s[0:1], exec, s[0:1]
	v_addc_co_u32_e64 v3, s[2:3], v3, v8, s[2:3]
	s_or_b64 s[18:19], s[0:1], s[18:19]
	v_add_co_u32_e64 v4, s[2:3], s28, v4
	v_addc_co_u32_e64 v1, s[2:3], v1, v9, s[2:3]
	s_waitcnt vmcnt(1)
	v_mov_b32_e32 v20, v11
	s_waitcnt vmcnt(0)
	v_mad_u64_u32 v[10:11], s[0:1], v14, s24, v[10:11]
	v_mov_b32_e32 v14, v13
	v_mad_u64_u32 v[12:13], s[0:1], v16, s24, v[12:13]
	v_mad_u64_u32 v[20:21], s[0:1], v15, s25, v[20:21]
	;; [unrolled: 1-line block ×3, first 2 shown]
	v_mov_b32_e32 v11, v20
	v_mov_b32_e32 v13, v14
	global_store_dwordx4 v[18:19], v[10:13], off
	s_andn2_b64 exec, exec, s[18:19]
	s_cbranch_execnz .LBB13_3
.LBB13_4:
	s_or_b64 exec, exec, s[10:11]
	s_mov_b64 s[2:3], 0
.LBB13_5:
	s_andn2_b64 vcc, exec, s[2:3]
	s_cbranch_vccnz .LBB13_25
; %bb.6:
	v_cmp_lt_i64_e64 s[0:1], s[8:9], 1
	s_and_b64 vcc, exec, s[0:1]
	s_cbranch_vccnz .LBB13_25
; %bb.7:
	s_load_dword s0, s[4:5], 0xbfc
	v_mov_b32_e32 v2, 0x10000
	v_mov_b32_e32 v3, 0
	v_cmp_lt_u64_e32 vcc, s[8:9], v[2:3]
	v_lshlrev_b32_e32 v14, 2, v0
	s_waitcnt lgkmcnt(0)
	s_and_b32 s20, s0, 0xffff
	s_and_b64 s[0:1], vcc, exec
	v_mov_b32_e32 v21, s15
	v_add_co_u32_e32 v2, vcc, s14, v14
	v_addc_co_u32_e32 v3, vcc, 0, v21, vcc
	v_mov_b32_e32 v23, s17
	v_add_co_u32_e32 v4, vcc, s16, v14
	v_mov_b32_e32 v1, 0
	v_addc_co_u32_e32 v5, vcc, 0, v23, vcc
	v_mov_b32_e32 v15, v1
	v_mov_b32_e32 v25, s13
	v_add_co_u32_e32 v6, vcc, s12, v14
	v_addc_co_u32_e32 v7, vcc, 0, v25, vcc
	v_mad_u64_u32 v[12:13], s[0:1], s20, 12, v[14:15]
	v_add_co_u32_e32 v8, vcc, s14, v12
	v_addc_co_u32_e32 v9, vcc, v21, v13, vcc
	v_add_co_u32_e32 v10, vcc, s16, v12
	v_addc_co_u32_e32 v11, vcc, v23, v13, vcc
	v_add_co_u32_e32 v12, vcc, s12, v12
	s_cselect_b32 s5, s9, 0
	s_cselect_b32 s4, s8, 0x10000
	v_addc_co_u32_e32 v13, vcc, v25, v13, vcc
	s_lshl_b32 s0, s20, 3
	v_add_co_u32_e32 v18, vcc, s0, v14
	v_addc_co_u32_e64 v19, s[0:1], 0, 0, vcc
	v_add_co_u32_e32 v14, vcc, s14, v18
	v_addc_co_u32_e32 v15, vcc, v21, v19, vcc
	v_add_co_u32_e32 v16, vcc, s16, v18
	v_addc_co_u32_e32 v17, vcc, v23, v19, vcc
	;; [unrolled: 2-line block ×3, first 2 shown]
	v_add_lshl_u32 v24, v0, s20, 2
	v_add_co_u32_e32 v20, vcc, s14, v24
	v_addc_co_u32_e32 v21, vcc, 0, v21, vcc
	v_add_co_u32_e32 v22, vcc, s16, v24
	s_mov_b32 s18, 0
	v_addc_co_u32_e32 v23, vcc, 0, v23, vcc
	s_lshl_b32 s10, s20, 2
	s_mov_b32 s11, s18
	v_add_co_u32_e32 v24, vcc, s12, v24
	s_mul_i32 s19, s23, s22
	s_mov_b64 s[2:3], 0x10000
	s_lshl_b32 s21, s20, 1
	s_mov_b32 s22, s18
	s_mul_i32 s23, s20, 3
	s_mov_b32 s24, s18
	s_lshl_b32 s15, s20, 4
	s_mov_b32 s25, s18
	v_addc_co_u32_e32 v25, vcc, 0, v25, vcc
	s_mov_b64 s[12:13], s[10:11]
	s_branch .LBB13_9
.LBB13_8:                               ;   in Loop: Header=BB13_9 Depth=1
	s_or_b64 exec, exec, s[0:1]
	s_waitcnt vmcnt(0)
	v_pk_mov_b32 v[26:27], s[8:9], s[8:9] op_sel:[0,1]
	v_cmp_ge_i64_e32 vcc, s[12:13], v[26:27]
	v_mov_b32_e32 v26, 0xffff
	v_mov_b32_e32 v27, 0
	v_cmp_gt_u64_e64 s[0:1], s[12:13], v[26:27]
	s_or_b64 s[0:1], vcc, s[0:1]
	v_mov_b32_e32 v26, s25
	v_add_co_u32_e32 v2, vcc, s15, v2
	v_addc_co_u32_e32 v3, vcc, v3, v26, vcc
	v_add_co_u32_e32 v4, vcc, s15, v4
	v_addc_co_u32_e32 v5, vcc, v5, v26, vcc
	;; [unrolled: 2-line block ×3, first 2 shown]
	v_mov_b32_e32 v27, s11
	v_add_co_u32_e32 v0, vcc, s10, v0
	v_addc_co_u32_e32 v1, vcc, v1, v27, vcc
	v_add_co_u32_e32 v8, vcc, s15, v8
	v_addc_co_u32_e32 v9, vcc, v9, v26, vcc
	;; [unrolled: 2-line block ×9, first 2 shown]
	v_add_co_u32_e32 v24, vcc, s15, v24
	s_add_u32 s12, s12, s10
	v_addc_co_u32_e32 v25, vcc, v25, v26, vcc
	s_addc_u32 s13, s13, 0
	s_and_b64 vcc, exec, s[0:1]
	s_cbranch_vccnz .LBB13_25
.LBB13_9:                               ; =>This Inner Loop Header: Depth=1
	v_cmp_gt_i64_e32 vcc, s[8:9], v[0:1]
	v_cmp_gt_u64_e64 s[0:1], s[2:3], v[0:1]
	s_and_b64 s[16:17], vcc, s[0:1]
	v_mov_b32_e32 v27, 0
	v_mov_b32_e32 v26, 0
	s_and_saveexec_b64 s[0:1], s[16:17]
	s_cbranch_execz .LBB13_11
; %bb.10:                               ;   in Loop: Header=BB13_9 Depth=1
	v_mov_b32_e32 v26, s7
	v_add_co_u32_e32 v28, vcc, s6, v2
	v_addc_co_u32_e32 v29, vcc, v3, v26, vcc
	v_add_co_u32_e32 v30, vcc, s6, v4
	v_addc_co_u32_e32 v31, vcc, v5, v26, vcc
	global_load_dword v26, v[28:29], off
	global_load_dword v27, v[30:31], off
.LBB13_11:                              ;   in Loop: Header=BB13_9 Depth=1
	s_or_b64 exec, exec, s[0:1]
	v_mov_b32_e32 v29, s18
	v_add_co_u32_e32 v28, vcc, s20, v0
	v_addc_co_u32_e32 v29, vcc, v29, v1, vcc
	v_cmp_gt_i64_e32 vcc, s[8:9], v[28:29]
	v_cmp_gt_u64_e64 s[0:1], s[2:3], v[28:29]
	s_and_b64 s[16:17], vcc, s[0:1]
	v_mov_b32_e32 v31, 0
	v_mov_b32_e32 v35, 0
	;; [unrolled: 1-line block ×3, first 2 shown]
	s_and_saveexec_b64 s[0:1], s[16:17]
	s_cbranch_execz .LBB13_13
; %bb.12:                               ;   in Loop: Header=BB13_9 Depth=1
	v_mov_b32_e32 v30, s7
	v_add_co_u32_e32 v32, vcc, s6, v20
	v_addc_co_u32_e32 v33, vcc, v21, v30, vcc
	v_add_co_u32_e32 v36, vcc, s6, v22
	v_addc_co_u32_e32 v37, vcc, v23, v30, vcc
	global_load_dword v30, v[32:33], off
	global_load_dword v35, v[36:37], off
.LBB13_13:                              ;   in Loop: Header=BB13_9 Depth=1
	s_or_b64 exec, exec, s[0:1]
	v_mov_b32_e32 v33, s22
	v_add_co_u32_e32 v32, vcc, s21, v0
	v_addc_co_u32_e32 v33, vcc, v33, v1, vcc
	v_cmp_gt_i64_e32 vcc, s[8:9], v[32:33]
	v_cmp_gt_u64_e64 s[0:1], s[2:3], v[32:33]
	s_and_b64 s[16:17], vcc, s[0:1]
	v_mov_b32_e32 v34, 0
	s_and_saveexec_b64 s[0:1], s[16:17]
	s_cbranch_execz .LBB13_15
; %bb.14:                               ;   in Loop: Header=BB13_9 Depth=1
	v_mov_b32_e32 v31, s7
	v_add_co_u32_e32 v36, vcc, s6, v14
	v_addc_co_u32_e32 v37, vcc, v15, v31, vcc
	v_add_co_u32_e32 v38, vcc, s6, v16
	v_addc_co_u32_e32 v39, vcc, v17, v31, vcc
	global_load_dword v34, v[36:37], off
	global_load_dword v31, v[38:39], off
.LBB13_15:                              ;   in Loop: Header=BB13_9 Depth=1
	s_or_b64 exec, exec, s[0:1]
	v_mov_b32_e32 v37, s24
	v_add_co_u32_e32 v36, vcc, s23, v0
	v_addc_co_u32_e32 v37, vcc, v37, v1, vcc
	v_cmp_gt_i64_e32 vcc, s[8:9], v[36:37]
	v_cmp_gt_u64_e64 s[0:1], s[2:3], v[36:37]
	s_and_b64 s[16:17], vcc, s[0:1]
	v_mov_b32_e32 v39, 0
	v_mov_b32_e32 v38, 0
	s_and_saveexec_b64 s[0:1], s[16:17]
	s_cbranch_execnz .LBB13_20
; %bb.16:                               ;   in Loop: Header=BB13_9 Depth=1
	s_or_b64 exec, exec, s[0:1]
	v_cmp_gt_u64_e32 vcc, s[4:5], v[0:1]
	s_and_saveexec_b64 s[0:1], vcc
	s_cbranch_execnz .LBB13_21
.LBB13_17:                              ;   in Loop: Header=BB13_9 Depth=1
	s_or_b64 exec, exec, s[0:1]
	v_cmp_gt_u64_e32 vcc, s[4:5], v[28:29]
	s_and_saveexec_b64 s[0:1], vcc
	s_cbranch_execnz .LBB13_22
.LBB13_18:                              ;   in Loop: Header=BB13_9 Depth=1
	s_or_b64 exec, exec, s[0:1]
	v_cmp_gt_u64_e32 vcc, s[4:5], v[32:33]
	s_and_saveexec_b64 s[0:1], vcc
	s_cbranch_execnz .LBB13_23
.LBB13_19:                              ;   in Loop: Header=BB13_9 Depth=1
	s_or_b64 exec, exec, s[0:1]
	v_cmp_gt_u64_e32 vcc, s[4:5], v[36:37]
	s_and_saveexec_b64 s[0:1], vcc
	s_cbranch_execz .LBB13_8
	s_branch .LBB13_24
.LBB13_20:                              ;   in Loop: Header=BB13_9 Depth=1
	v_mov_b32_e32 v38, s7
	v_add_co_u32_e32 v40, vcc, s6, v8
	v_addc_co_u32_e32 v41, vcc, v9, v38, vcc
	v_add_co_u32_e32 v42, vcc, s6, v10
	v_addc_co_u32_e32 v43, vcc, v11, v38, vcc
	global_load_dword v38, v[40:41], off
	global_load_dword v39, v[42:43], off
	s_or_b64 exec, exec, s[0:1]
	v_cmp_gt_u64_e32 vcc, s[4:5], v[0:1]
	s_and_saveexec_b64 s[0:1], vcc
	s_cbranch_execz .LBB13_17
.LBB13_21:                              ;   in Loop: Header=BB13_9 Depth=1
	v_mov_b32_e32 v41, s7
	v_add_co_u32_e32 v40, vcc, s6, v6
	v_addc_co_u32_e32 v41, vcc, v7, v41, vcc
	s_waitcnt vmcnt(0)
	v_mad_u64_u32 v[26:27], s[16:17], v27, s19, v[26:27]
	global_store_dword v[40:41], v26, off
	s_or_b64 exec, exec, s[0:1]
	v_cmp_gt_u64_e32 vcc, s[4:5], v[28:29]
	s_and_saveexec_b64 s[0:1], vcc
	s_cbranch_execz .LBB13_18
.LBB13_22:                              ;   in Loop: Header=BB13_9 Depth=1
	s_waitcnt vmcnt(0)
	v_mad_u64_u32 v[26:27], s[16:17], v35, s19, v[30:31]
	v_mov_b32_e32 v27, s7
	v_add_co_u32_e32 v28, vcc, s6, v24
	v_addc_co_u32_e32 v29, vcc, v25, v27, vcc
	global_store_dword v[28:29], v26, off
	s_or_b64 exec, exec, s[0:1]
	v_cmp_gt_u64_e32 vcc, s[4:5], v[32:33]
	s_and_saveexec_b64 s[0:1], vcc
	s_cbranch_execz .LBB13_19
.LBB13_23:                              ;   in Loop: Header=BB13_9 Depth=1
	s_waitcnt vmcnt(0)
	v_mad_u64_u32 v[26:27], s[16:17], v31, s19, v[34:35]
	v_mov_b32_e32 v27, s7
	v_add_co_u32_e32 v28, vcc, s6, v18
	v_addc_co_u32_e32 v29, vcc, v19, v27, vcc
	global_store_dword v[28:29], v26, off
	s_or_b64 exec, exec, s[0:1]
	v_cmp_gt_u64_e32 vcc, s[4:5], v[36:37]
	s_and_saveexec_b64 s[0:1], vcc
	s_cbranch_execz .LBB13_8
.LBB13_24:                              ;   in Loop: Header=BB13_9 Depth=1
	s_waitcnt vmcnt(0)
	v_mad_u64_u32 v[26:27], s[16:17], v39, s19, v[38:39]
	v_mov_b32_e32 v27, s7
	v_add_co_u32_e32 v28, vcc, s6, v12
	v_addc_co_u32_e32 v29, vcc, v13, v27, vcc
	global_store_dword v[28:29], v26, off
	s_branch .LBB13_8
.LBB13_25:
	s_endpgm
	.section	.rodata,"a",@progbits
	.p2align	6, 0x0
	.amdhsa_kernel _ZN2at6native12_GLOBAL__N_125multi_tensor_apply_kernelINS1_18TensorListMetadataILi4EEENS1_32PointwiseOpScalar0dTensorFunctorIiLi4ELi2ELi3EEEJSt10multipliesIiEiEEEvT_T0_DpT1_
		.amdhsa_group_segment_fixed_size 0
		.amdhsa_private_segment_fixed_size 0
		.amdhsa_kernarg_size 3312
		.amdhsa_user_sgpr_count 6
		.amdhsa_user_sgpr_private_segment_buffer 1
		.amdhsa_user_sgpr_dispatch_ptr 0
		.amdhsa_user_sgpr_queue_ptr 0
		.amdhsa_user_sgpr_kernarg_segment_ptr 1
		.amdhsa_user_sgpr_dispatch_id 0
		.amdhsa_user_sgpr_flat_scratch_init 0
		.amdhsa_user_sgpr_kernarg_preload_length 0
		.amdhsa_user_sgpr_kernarg_preload_offset 0
		.amdhsa_user_sgpr_private_segment_size 0
		.amdhsa_uses_dynamic_stack 0
		.amdhsa_system_sgpr_private_segment_wavefront_offset 0
		.amdhsa_system_sgpr_workgroup_id_x 1
		.amdhsa_system_sgpr_workgroup_id_y 0
		.amdhsa_system_sgpr_workgroup_id_z 0
		.amdhsa_system_sgpr_workgroup_info 0
		.amdhsa_system_vgpr_workitem_id 0
		.amdhsa_next_free_vgpr 44
		.amdhsa_next_free_sgpr 30
		.amdhsa_accum_offset 44
		.amdhsa_reserve_vcc 1
		.amdhsa_reserve_flat_scratch 0
		.amdhsa_float_round_mode_32 0
		.amdhsa_float_round_mode_16_64 0
		.amdhsa_float_denorm_mode_32 3
		.amdhsa_float_denorm_mode_16_64 3
		.amdhsa_dx10_clamp 1
		.amdhsa_ieee_mode 1
		.amdhsa_fp16_overflow 0
		.amdhsa_tg_split 0
		.amdhsa_exception_fp_ieee_invalid_op 0
		.amdhsa_exception_fp_denorm_src 0
		.amdhsa_exception_fp_ieee_div_zero 0
		.amdhsa_exception_fp_ieee_overflow 0
		.amdhsa_exception_fp_ieee_underflow 0
		.amdhsa_exception_fp_ieee_inexact 0
		.amdhsa_exception_int_div_zero 0
	.end_amdhsa_kernel
	.section	.text._ZN2at6native12_GLOBAL__N_125multi_tensor_apply_kernelINS1_18TensorListMetadataILi4EEENS1_32PointwiseOpScalar0dTensorFunctorIiLi4ELi2ELi3EEEJSt10multipliesIiEiEEEvT_T0_DpT1_,"axG",@progbits,_ZN2at6native12_GLOBAL__N_125multi_tensor_apply_kernelINS1_18TensorListMetadataILi4EEENS1_32PointwiseOpScalar0dTensorFunctorIiLi4ELi2ELi3EEEJSt10multipliesIiEiEEEvT_T0_DpT1_,comdat
.Lfunc_end13:
	.size	_ZN2at6native12_GLOBAL__N_125multi_tensor_apply_kernelINS1_18TensorListMetadataILi4EEENS1_32PointwiseOpScalar0dTensorFunctorIiLi4ELi2ELi3EEEJSt10multipliesIiEiEEEvT_T0_DpT1_, .Lfunc_end13-_ZN2at6native12_GLOBAL__N_125multi_tensor_apply_kernelINS1_18TensorListMetadataILi4EEENS1_32PointwiseOpScalar0dTensorFunctorIiLi4ELi2ELi3EEEJSt10multipliesIiEiEEEvT_T0_DpT1_
                                        ; -- End function
	.section	.AMDGPU.csdata,"",@progbits
; Kernel info:
; codeLenInByte = 1576
; NumSgprs: 34
; NumVgprs: 44
; NumAgprs: 0
; TotalNumVgprs: 44
; ScratchSize: 0
; MemoryBound: 0
; FloatMode: 240
; IeeeMode: 1
; LDSByteSize: 0 bytes/workgroup (compile time only)
; SGPRBlocks: 4
; VGPRBlocks: 5
; NumSGPRsForWavesPerEU: 34
; NumVGPRsForWavesPerEU: 44
; AccumOffset: 44
; Occupancy: 8
; WaveLimiterHint : 0
; COMPUTE_PGM_RSRC2:SCRATCH_EN: 0
; COMPUTE_PGM_RSRC2:USER_SGPR: 6
; COMPUTE_PGM_RSRC2:TRAP_HANDLER: 0
; COMPUTE_PGM_RSRC2:TGID_X_EN: 1
; COMPUTE_PGM_RSRC2:TGID_Y_EN: 0
; COMPUTE_PGM_RSRC2:TGID_Z_EN: 0
; COMPUTE_PGM_RSRC2:TIDIG_COMP_CNT: 0
; COMPUTE_PGM_RSRC3_GFX90A:ACCUM_OFFSET: 10
; COMPUTE_PGM_RSRC3_GFX90A:TG_SPLIT: 0
	.section	.text._ZN2at6native12_GLOBAL__N_125multi_tensor_apply_kernelINS1_18TensorListMetadataILi4EEENS1_32PointwiseOpScalar0dTensorFunctorIlLi4ELi2ELi3EEEJSt10multipliesIlElEEEvT_T0_DpT1_,"axG",@progbits,_ZN2at6native12_GLOBAL__N_125multi_tensor_apply_kernelINS1_18TensorListMetadataILi4EEENS1_32PointwiseOpScalar0dTensorFunctorIlLi4ELi2ELi3EEEJSt10multipliesIlElEEEvT_T0_DpT1_,comdat
	.globl	_ZN2at6native12_GLOBAL__N_125multi_tensor_apply_kernelINS1_18TensorListMetadataILi4EEENS1_32PointwiseOpScalar0dTensorFunctorIlLi4ELi2ELi3EEEJSt10multipliesIlElEEEvT_T0_DpT1_ ; -- Begin function _ZN2at6native12_GLOBAL__N_125multi_tensor_apply_kernelINS1_18TensorListMetadataILi4EEENS1_32PointwiseOpScalar0dTensorFunctorIlLi4ELi2ELi3EEEJSt10multipliesIlElEEEvT_T0_DpT1_
	.p2align	8
	.type	_ZN2at6native12_GLOBAL__N_125multi_tensor_apply_kernelINS1_18TensorListMetadataILi4EEENS1_32PointwiseOpScalar0dTensorFunctorIlLi4ELi2ELi3EEEJSt10multipliesIlElEEEvT_T0_DpT1_,@function
_ZN2at6native12_GLOBAL__N_125multi_tensor_apply_kernelINS1_18TensorListMetadataILi4EEENS1_32PointwiseOpScalar0dTensorFunctorIlLi4ELi2ELi3EEEJSt10multipliesIlElEEEvT_T0_DpT1_: ; @_ZN2at6native12_GLOBAL__N_125multi_tensor_apply_kernelINS1_18TensorListMetadataILi4EEENS1_32PointwiseOpScalar0dTensorFunctorIlLi4ELi2ELi3EEEJSt10multipliesIlElEEEvT_T0_DpT1_
; %bb.0:
	v_mov_b32_e32 v1, s6
	global_load_ubyte v1, v1, s[4:5] offset:1440
	s_add_u32 s0, s4, s6
	s_mul_hi_u32 s1, s6, 3
	s_mul_i32 s6, s6, 3
	s_addc_u32 s2, s5, 0
	s_add_u32 s0, s0, s6
	s_addc_u32 s1, s2, s1
	s_load_dword s2, s[0:1], 0x6e0
	s_mov_b32 s1, 0
	s_mov_b32 s9, s1
	;; [unrolled: 1-line block ×3, first 2 shown]
	s_waitcnt lgkmcnt(0)
	s_ashr_i32 s3, s2, 31
	s_lshl_b64 s[6:7], s[2:3], 19
	s_waitcnt vmcnt(0)
	v_readfirstlane_b32 s0, v1
	s_lshl_b32 s0, s0, 3
	s_load_dwordx2 s[14:15], s[4:5], s0 offset:0x0
	s_load_dwordx2 s[22:23], s[4:5], s0 offset:0x120
	s_load_dwordx2 s[10:11], s[4:5], 0xbf0
	s_load_dwordx2 s[24:25], s[4:5], s0 offset:0x480
	s_load_dwordx2 s[16:17], s[4:5], s0 offset:0x240
	;; [unrolled: 1-line block ×3, first 2 shown]
	s_waitcnt lgkmcnt(0)
	s_add_u32 s26, s14, s6
	s_addc_u32 s27, s15, s7
	s_add_u32 s8, s22, s6
	s_and_b32 s0, s26, 31
	s_and_b32 s8, s8, 31
	s_cmp_lg_u64 s[8:9], 0
	s_cselect_b64 s[8:9], -1, 0
	s_add_u32 s28, s16, s6
	s_addc_u32 s29, s17, s7
	s_add_u32 s30, s12, s6
	s_addc_u32 s31, s13, s7
	s_or_b32 s20, s30, s28
	s_and_b32 s20, s20, 31
	s_cmp_lg_u32 s20, 0
	s_load_dwordx2 s[18:19], s[22:23], 0x0
	s_cselect_b64 s[22:23], -1, 0
	s_lshl_b64 s[2:3], s[2:3], 16
	s_or_b64 s[22:23], s[22:23], s[8:9]
	s_sub_u32 s8, s24, s2
	s_subb_u32 s9, s25, s3
	s_and_b32 s20, s24, 3
	s_or_b64 s[2:3], s[0:1], s[20:21]
	s_cmp_lg_u64 s[2:3], 0
	s_cselect_b64 s[2:3], -1, 0
	s_or_b64 s[2:3], s[22:23], s[2:3]
	s_andn2_b64 vcc, exec, s[2:3]
	s_mov_b64 s[2:3], -1
	s_cbranch_vccz .LBB14_5
; %bb.1:
	v_mov_b32_e32 v3, 0
	v_lshlrev_b32_e32 v2, 2, v0
	v_cmp_gt_i64_e32 vcc, s[8:9], v[2:3]
	s_and_saveexec_b64 s[20:21], vcc
	s_cbranch_execz .LBB14_4
; %bb.2:
	s_load_dword s3, s[4:5], 0xc04
	s_waitcnt lgkmcnt(0)
	s_mul_i32 s0, s18, s11
	s_mul_hi_u32 s2, s18, s10
	s_add_i32 s0, s2, s0
	s_mul_i32 s2, s19, s10
	s_add_i32 s33, s0, s2
	s_and_b32 s0, s3, 0xffff
	s_mul_i32 s34, s18, s10
	v_add_lshl_u32 v2, v0, s0, 2
	s_lshl_b32 s35, s0, 2
	v_lshlrev_b32_e32 v4, 5, v0
	s_lshl_b32 s36, s0, 5
	s_mov_b64 s[22:23], 0
	s_mov_b64 s[24:25], 0xffff
	v_mov_b32_e32 v1, s1
.LBB14_3:                               ; =>This Inner Loop Header: Depth=1
	v_mov_b32_e32 v5, s27
	v_add_co_u32_e64 v24, s[0:1], s26, v4
	v_mov_b32_e32 v6, s29
	v_add_co_u32_e32 v22, vcc, s28, v4
	v_addc_co_u32_e64 v25, s[0:1], 0, v5, s[0:1]
	v_addc_co_u32_e32 v23, vcc, 0, v6, vcc
	global_load_dwordx4 v[6:9], v[24:25], off
	global_load_dwordx4 v[10:13], v[22:23], off
	global_load_dwordx4 v[14:17], v[24:25], off offset:16
	global_load_dwordx4 v[18:21], v[22:23], off offset:16
	v_cmp_le_i64_e32 vcc, s[8:9], v[2:3]
	v_cmp_lt_u64_e64 s[0:1], s[24:25], v[2:3]
	s_or_b64 s[0:1], vcc, s[0:1]
	v_add_co_u32_e64 v2, s[2:3], s35, v2
	s_add_u32 s26, s26, s36
	v_addc_co_u32_e64 v3, s[2:3], v3, v1, s[2:3]
	s_addc_u32 s27, s27, 0
	v_add_co_u32_e64 v22, s[2:3], s30, v4
	s_add_u32 s30, s30, s36
	v_mov_b32_e32 v5, s31
	s_addc_u32 s31, s31, 0
	s_add_u32 s28, s28, s36
	s_addc_u32 s29, s29, 0
	s_and_b64 s[0:1], exec, s[0:1]
	v_addc_co_u32_e64 v23, s[2:3], 0, v5, s[2:3]
	s_or_b64 s[22:23], s[0:1], s[22:23]
	s_waitcnt vmcnt(2)
	v_mad_u64_u32 v[6:7], s[0:1], v10, s34, v[6:7]
	v_mul_lo_u32 v5, v10, s33
	v_mul_lo_u32 v24, v11, s34
	v_mad_u64_u32 v[8:9], s[0:1], v12, s34, v[8:9]
	v_mul_lo_u32 v25, v12, s33
	v_mul_lo_u32 v26, v13, s34
	s_waitcnt vmcnt(0)
	v_mad_u64_u32 v[10:11], s[0:1], v18, s34, v[14:15]
	v_mul_lo_u32 v14, v18, s33
	v_mul_lo_u32 v15, v19, s34
	v_mad_u64_u32 v[12:13], s[0:1], v20, s34, v[16:17]
	v_mul_lo_u32 v16, v20, s33
	v_mul_lo_u32 v17, v21, s34
	v_add3_u32 v7, v24, v7, v5
	v_add3_u32 v9, v26, v9, v25
	;; [unrolled: 1-line block ×4, first 2 shown]
	global_store_dwordx4 v[22:23], v[6:9], off
	global_store_dwordx4 v[22:23], v[10:13], off offset:16
	s_andn2_b64 exec, exec, s[22:23]
	s_cbranch_execnz .LBB14_3
.LBB14_4:
	s_or_b64 exec, exec, s[20:21]
	s_mov_b64 s[2:3], 0
.LBB14_5:
	s_andn2_b64 vcc, exec, s[2:3]
	s_cbranch_vccnz .LBB14_25
; %bb.6:
	v_cmp_lt_i64_e64 s[0:1], s[8:9], 1
	s_and_b64 vcc, exec, s[0:1]
	s_cbranch_vccnz .LBB14_25
; %bb.7:
	s_load_dword s0, s[4:5], 0xc04
	s_waitcnt lgkmcnt(0)
	s_mul_i32 s1, s18, s11
	s_mul_hi_u32 s2, s18, s10
	v_mov_b32_e32 v2, 0x10000
	v_mov_b32_e32 v3, 0
	s_and_b32 s21, s0, 0xffff
	s_add_i32 s0, s2, s1
	s_mul_i32 s1, s19, s10
	s_add_i32 s19, s0, s1
	v_cmp_lt_u64_e32 vcc, s[8:9], v[2:3]
	v_lshlrev_b32_e32 v14, 3, v0
	s_and_b64 s[0:1], vcc, exec
	v_mov_b32_e32 v21, s15
	v_add_co_u32_e32 v2, vcc, s14, v14
	v_addc_co_u32_e32 v3, vcc, 0, v21, vcc
	v_mov_b32_e32 v23, s17
	v_add_co_u32_e32 v4, vcc, s16, v14
	v_mov_b32_e32 v1, 0
	v_addc_co_u32_e32 v5, vcc, 0, v23, vcc
	v_mov_b32_e32 v15, v1
	v_mov_b32_e32 v25, s13
	v_add_co_u32_e32 v6, vcc, s12, v14
	v_addc_co_u32_e32 v7, vcc, 0, v25, vcc
	v_mad_u64_u32 v[12:13], s[0:1], s21, 24, v[14:15]
	v_add_co_u32_e32 v8, vcc, s14, v12
	v_addc_co_u32_e32 v9, vcc, v21, v13, vcc
	v_add_co_u32_e32 v10, vcc, s16, v12
	v_addc_co_u32_e32 v11, vcc, v23, v13, vcc
	v_add_co_u32_e32 v12, vcc, s12, v12
	s_cselect_b32 s5, s9, 0
	s_cselect_b32 s4, s8, 0x10000
	v_addc_co_u32_e32 v13, vcc, v25, v13, vcc
	s_lshl_b32 s0, s21, 4
	v_add_co_u32_e32 v18, vcc, s0, v14
	v_addc_co_u32_e64 v19, s[0:1], 0, 0, vcc
	v_add_co_u32_e32 v14, vcc, s14, v18
	v_addc_co_u32_e32 v15, vcc, v21, v19, vcc
	v_add_co_u32_e32 v16, vcc, s16, v18
	v_addc_co_u32_e32 v17, vcc, v23, v19, vcc
	;; [unrolled: 2-line block ×3, first 2 shown]
	v_add_lshl_u32 v24, v0, s21, 3
	v_add_co_u32_e32 v20, vcc, s14, v24
	v_addc_co_u32_e32 v21, vcc, 0, v21, vcc
	v_add_co_u32_e32 v22, vcc, s16, v24
	s_mov_b32 s20, 0
	v_addc_co_u32_e32 v23, vcc, 0, v23, vcc
	s_mul_i32 s18, s18, s10
	s_lshl_b32 s10, s21, 2
	s_mov_b32 s11, s20
	v_add_co_u32_e32 v24, vcc, s12, v24
	s_mov_b64 s[2:3], 0x10000
	s_lshl_b32 s22, s21, 1
	s_mov_b32 s23, s20
	s_mul_i32 s24, s21, 3
	s_mov_b32 s25, s20
	s_lshl_b32 s15, s21, 5
	s_mov_b32 s26, s20
	v_addc_co_u32_e32 v25, vcc, 0, v25, vcc
	s_mov_b64 s[12:13], s[10:11]
	s_branch .LBB14_9
.LBB14_8:                               ;   in Loop: Header=BB14_9 Depth=1
	s_or_b64 exec, exec, s[0:1]
	s_waitcnt vmcnt(0)
	v_pk_mov_b32 v[26:27], s[8:9], s[8:9] op_sel:[0,1]
	v_cmp_ge_i64_e32 vcc, s[12:13], v[26:27]
	v_mov_b32_e32 v26, 0xffff
	v_mov_b32_e32 v27, 0
	v_cmp_gt_u64_e64 s[0:1], s[12:13], v[26:27]
	s_or_b64 s[0:1], vcc, s[0:1]
	v_mov_b32_e32 v26, s26
	v_add_co_u32_e32 v2, vcc, s15, v2
	v_addc_co_u32_e32 v3, vcc, v3, v26, vcc
	v_add_co_u32_e32 v4, vcc, s15, v4
	v_addc_co_u32_e32 v5, vcc, v5, v26, vcc
	;; [unrolled: 2-line block ×3, first 2 shown]
	v_mov_b32_e32 v27, s11
	v_add_co_u32_e32 v0, vcc, s10, v0
	v_addc_co_u32_e32 v1, vcc, v1, v27, vcc
	v_add_co_u32_e32 v8, vcc, s15, v8
	v_addc_co_u32_e32 v9, vcc, v9, v26, vcc
	;; [unrolled: 2-line block ×9, first 2 shown]
	v_add_co_u32_e32 v24, vcc, s15, v24
	s_add_u32 s12, s12, s10
	v_addc_co_u32_e32 v25, vcc, v25, v26, vcc
	s_addc_u32 s13, s13, 0
	s_and_b64 vcc, exec, s[0:1]
	s_cbranch_vccnz .LBB14_25
.LBB14_9:                               ; =>This Inner Loop Header: Depth=1
	v_cmp_gt_i64_e32 vcc, s[8:9], v[0:1]
	v_cmp_gt_u64_e64 s[0:1], s[2:3], v[0:1]
	v_pk_mov_b32 v[26:27], 0, 0
	s_and_b64 s[16:17], vcc, s[0:1]
	v_pk_mov_b32 v[28:29], v[26:27], v[26:27] op_sel:[0,1]
	v_pk_mov_b32 v[30:31], v[26:27], v[26:27] op_sel:[0,1]
	s_and_saveexec_b64 s[0:1], s[16:17]
	s_cbranch_execz .LBB14_11
; %bb.10:                               ;   in Loop: Header=BB14_9 Depth=1
	v_mov_b32_e32 v28, s7
	v_add_co_u32_e32 v32, vcc, s6, v2
	v_addc_co_u32_e32 v33, vcc, v3, v28, vcc
	v_add_co_u32_e32 v34, vcc, s6, v4
	v_addc_co_u32_e32 v35, vcc, v5, v28, vcc
	global_load_dwordx2 v[30:31], v[32:33], off
	global_load_dwordx2 v[28:29], v[34:35], off
.LBB14_11:                              ;   in Loop: Header=BB14_9 Depth=1
	s_or_b64 exec, exec, s[0:1]
	v_mov_b32_e32 v33, s20
	v_add_co_u32_e32 v32, vcc, s21, v0
	v_addc_co_u32_e32 v33, vcc, v33, v1, vcc
	v_cmp_gt_i64_e32 vcc, s[8:9], v[32:33]
	v_cmp_gt_u64_e64 s[0:1], s[2:3], v[32:33]
	s_and_b64 s[16:17], vcc, s[0:1]
	v_pk_mov_b32 v[36:37], v[26:27], v[26:27] op_sel:[0,1]
	s_and_saveexec_b64 s[0:1], s[16:17]
	s_cbranch_execz .LBB14_13
; %bb.12:                               ;   in Loop: Header=BB14_9 Depth=1
	v_mov_b32_e32 v26, s7
	v_add_co_u32_e32 v34, vcc, s6, v20
	v_addc_co_u32_e32 v35, vcc, v21, v26, vcc
	v_add_co_u32_e32 v38, vcc, s6, v22
	v_addc_co_u32_e32 v39, vcc, v23, v26, vcc
	global_load_dwordx2 v[36:37], v[34:35], off
	global_load_dwordx2 v[26:27], v[38:39], off
.LBB14_13:                              ;   in Loop: Header=BB14_9 Depth=1
	s_or_b64 exec, exec, s[0:1]
	v_mov_b32_e32 v34, s23
	v_add_co_u32_e32 v38, vcc, s22, v0
	v_addc_co_u32_e32 v39, vcc, v34, v1, vcc
	v_cmp_gt_i64_e32 vcc, s[8:9], v[38:39]
	v_cmp_gt_u64_e64 s[0:1], s[2:3], v[38:39]
	v_pk_mov_b32 v[34:35], 0, 0
	s_and_b64 s[16:17], vcc, s[0:1]
	v_pk_mov_b32 v[40:41], v[34:35], v[34:35] op_sel:[0,1]
	v_pk_mov_b32 v[42:43], v[34:35], v[34:35] op_sel:[0,1]
	s_and_saveexec_b64 s[0:1], s[16:17]
	s_cbranch_execz .LBB14_15
; %bb.14:                               ;   in Loop: Header=BB14_9 Depth=1
	v_mov_b32_e32 v40, s7
	v_add_co_u32_e32 v44, vcc, s6, v14
	v_addc_co_u32_e32 v45, vcc, v15, v40, vcc
	v_add_co_u32_e32 v46, vcc, s6, v16
	v_addc_co_u32_e32 v47, vcc, v17, v40, vcc
	global_load_dwordx2 v[42:43], v[44:45], off
	global_load_dwordx2 v[40:41], v[46:47], off
.LBB14_15:                              ;   in Loop: Header=BB14_9 Depth=1
	s_or_b64 exec, exec, s[0:1]
	v_mov_b32_e32 v45, s25
	v_add_co_u32_e32 v44, vcc, s24, v0
	v_addc_co_u32_e32 v45, vcc, v45, v1, vcc
	v_cmp_gt_i64_e32 vcc, s[8:9], v[44:45]
	v_cmp_gt_u64_e64 s[0:1], s[2:3], v[44:45]
	s_and_b64 s[16:17], vcc, s[0:1]
	v_pk_mov_b32 v[46:47], v[34:35], v[34:35] op_sel:[0,1]
	s_and_saveexec_b64 s[0:1], s[16:17]
	s_cbranch_execnz .LBB14_20
; %bb.16:                               ;   in Loop: Header=BB14_9 Depth=1
	s_or_b64 exec, exec, s[0:1]
	v_cmp_gt_u64_e32 vcc, s[4:5], v[0:1]
	s_and_saveexec_b64 s[0:1], vcc
	s_cbranch_execnz .LBB14_21
.LBB14_17:                              ;   in Loop: Header=BB14_9 Depth=1
	s_or_b64 exec, exec, s[0:1]
	v_cmp_gt_u64_e32 vcc, s[4:5], v[32:33]
	s_and_saveexec_b64 s[0:1], vcc
	s_cbranch_execnz .LBB14_22
.LBB14_18:                              ;   in Loop: Header=BB14_9 Depth=1
	s_or_b64 exec, exec, s[0:1]
	v_cmp_gt_u64_e32 vcc, s[4:5], v[38:39]
	s_and_saveexec_b64 s[0:1], vcc
	s_cbranch_execnz .LBB14_23
.LBB14_19:                              ;   in Loop: Header=BB14_9 Depth=1
	s_or_b64 exec, exec, s[0:1]
	v_cmp_gt_u64_e32 vcc, s[4:5], v[44:45]
	s_and_saveexec_b64 s[0:1], vcc
	s_cbranch_execz .LBB14_8
	s_branch .LBB14_24
.LBB14_20:                              ;   in Loop: Header=BB14_9 Depth=1
	v_mov_b32_e32 v34, s7
	v_add_co_u32_e32 v48, vcc, s6, v8
	v_addc_co_u32_e32 v49, vcc, v9, v34, vcc
	v_add_co_u32_e32 v50, vcc, s6, v10
	v_addc_co_u32_e32 v51, vcc, v11, v34, vcc
	global_load_dwordx2 v[46:47], v[48:49], off
	global_load_dwordx2 v[34:35], v[50:51], off
	s_or_b64 exec, exec, s[0:1]
	v_cmp_gt_u64_e32 vcc, s[4:5], v[0:1]
	s_and_saveexec_b64 s[0:1], vcc
	s_cbranch_execz .LBB14_17
.LBB14_21:                              ;   in Loop: Header=BB14_9 Depth=1
	s_waitcnt vmcnt(0)
	v_mad_u64_u32 v[30:31], s[16:17], v28, s18, v[30:31]
	v_mul_lo_u32 v28, v28, s19
	v_mul_lo_u32 v29, v29, s18
	v_add3_u32 v31, v29, v31, v28
	v_mov_b32_e32 v29, s7
	v_add_co_u32_e32 v28, vcc, s6, v6
	v_addc_co_u32_e32 v29, vcc, v7, v29, vcc
	global_store_dwordx2 v[28:29], v[30:31], off
	s_or_b64 exec, exec, s[0:1]
	v_cmp_gt_u64_e32 vcc, s[4:5], v[32:33]
	s_and_saveexec_b64 s[0:1], vcc
	s_cbranch_execz .LBB14_18
.LBB14_22:                              ;   in Loop: Header=BB14_9 Depth=1
	s_waitcnt vmcnt(0)
	v_mad_u64_u32 v[28:29], s[16:17], v26, s18, v[36:37]
	v_mul_lo_u32 v26, v26, s19
	v_mul_lo_u32 v27, v27, s18
	v_add3_u32 v29, v27, v29, v26
	v_mov_b32_e32 v27, s7
	v_add_co_u32_e32 v26, vcc, s6, v24
	v_addc_co_u32_e32 v27, vcc, v25, v27, vcc
	global_store_dwordx2 v[26:27], v[28:29], off
	s_or_b64 exec, exec, s[0:1]
	v_cmp_gt_u64_e32 vcc, s[4:5], v[38:39]
	s_and_saveexec_b64 s[0:1], vcc
	s_cbranch_execz .LBB14_19
.LBB14_23:                              ;   in Loop: Header=BB14_9 Depth=1
	s_waitcnt vmcnt(0)
	v_mad_u64_u32 v[26:27], s[16:17], v40, s18, v[42:43]
	v_mul_lo_u32 v28, v40, s19
	v_mul_lo_u32 v29, v41, s18
	v_add3_u32 v27, v29, v27, v28
	v_mov_b32_e32 v29, s7
	v_add_co_u32_e32 v28, vcc, s6, v18
	v_addc_co_u32_e32 v29, vcc, v19, v29, vcc
	global_store_dwordx2 v[28:29], v[26:27], off
	s_or_b64 exec, exec, s[0:1]
	v_cmp_gt_u64_e32 vcc, s[4:5], v[44:45]
	s_and_saveexec_b64 s[0:1], vcc
	s_cbranch_execz .LBB14_8
.LBB14_24:                              ;   in Loop: Header=BB14_9 Depth=1
	s_waitcnt vmcnt(0)
	v_mad_u64_u32 v[26:27], s[16:17], v34, s18, v[46:47]
	v_mul_lo_u32 v28, v34, s19
	v_mul_lo_u32 v29, v35, s18
	v_add3_u32 v27, v29, v27, v28
	v_mov_b32_e32 v29, s7
	v_add_co_u32_e32 v28, vcc, s6, v12
	v_addc_co_u32_e32 v29, vcc, v13, v29, vcc
	global_store_dwordx2 v[28:29], v[26:27], off
	s_branch .LBB14_8
.LBB14_25:
	s_endpgm
	.section	.rodata,"a",@progbits
	.p2align	6, 0x0
	.amdhsa_kernel _ZN2at6native12_GLOBAL__N_125multi_tensor_apply_kernelINS1_18TensorListMetadataILi4EEENS1_32PointwiseOpScalar0dTensorFunctorIlLi4ELi2ELi3EEEJSt10multipliesIlElEEEvT_T0_DpT1_
		.amdhsa_group_segment_fixed_size 0
		.amdhsa_private_segment_fixed_size 0
		.amdhsa_kernarg_size 3320
		.amdhsa_user_sgpr_count 6
		.amdhsa_user_sgpr_private_segment_buffer 1
		.amdhsa_user_sgpr_dispatch_ptr 0
		.amdhsa_user_sgpr_queue_ptr 0
		.amdhsa_user_sgpr_kernarg_segment_ptr 1
		.amdhsa_user_sgpr_dispatch_id 0
		.amdhsa_user_sgpr_flat_scratch_init 0
		.amdhsa_user_sgpr_kernarg_preload_length 0
		.amdhsa_user_sgpr_kernarg_preload_offset 0
		.amdhsa_user_sgpr_private_segment_size 0
		.amdhsa_uses_dynamic_stack 0
		.amdhsa_system_sgpr_private_segment_wavefront_offset 0
		.amdhsa_system_sgpr_workgroup_id_x 1
		.amdhsa_system_sgpr_workgroup_id_y 0
		.amdhsa_system_sgpr_workgroup_id_z 0
		.amdhsa_system_sgpr_workgroup_info 0
		.amdhsa_system_vgpr_workitem_id 0
		.amdhsa_next_free_vgpr 52
		.amdhsa_next_free_sgpr 37
		.amdhsa_accum_offset 52
		.amdhsa_reserve_vcc 1
		.amdhsa_reserve_flat_scratch 0
		.amdhsa_float_round_mode_32 0
		.amdhsa_float_round_mode_16_64 0
		.amdhsa_float_denorm_mode_32 3
		.amdhsa_float_denorm_mode_16_64 3
		.amdhsa_dx10_clamp 1
		.amdhsa_ieee_mode 1
		.amdhsa_fp16_overflow 0
		.amdhsa_tg_split 0
		.amdhsa_exception_fp_ieee_invalid_op 0
		.amdhsa_exception_fp_denorm_src 0
		.amdhsa_exception_fp_ieee_div_zero 0
		.amdhsa_exception_fp_ieee_overflow 0
		.amdhsa_exception_fp_ieee_underflow 0
		.amdhsa_exception_fp_ieee_inexact 0
		.amdhsa_exception_int_div_zero 0
	.end_amdhsa_kernel
	.section	.text._ZN2at6native12_GLOBAL__N_125multi_tensor_apply_kernelINS1_18TensorListMetadataILi4EEENS1_32PointwiseOpScalar0dTensorFunctorIlLi4ELi2ELi3EEEJSt10multipliesIlElEEEvT_T0_DpT1_,"axG",@progbits,_ZN2at6native12_GLOBAL__N_125multi_tensor_apply_kernelINS1_18TensorListMetadataILi4EEENS1_32PointwiseOpScalar0dTensorFunctorIlLi4ELi2ELi3EEEJSt10multipliesIlElEEEvT_T0_DpT1_,comdat
.Lfunc_end14:
	.size	_ZN2at6native12_GLOBAL__N_125multi_tensor_apply_kernelINS1_18TensorListMetadataILi4EEENS1_32PointwiseOpScalar0dTensorFunctorIlLi4ELi2ELi3EEEJSt10multipliesIlElEEEvT_T0_DpT1_, .Lfunc_end14-_ZN2at6native12_GLOBAL__N_125multi_tensor_apply_kernelINS1_18TensorListMetadataILi4EEENS1_32PointwiseOpScalar0dTensorFunctorIlLi4ELi2ELi3EEEJSt10multipliesIlElEEEvT_T0_DpT1_
                                        ; -- End function
	.section	.AMDGPU.csdata,"",@progbits
; Kernel info:
; codeLenInByte = 1856
; NumSgprs: 41
; NumVgprs: 52
; NumAgprs: 0
; TotalNumVgprs: 52
; ScratchSize: 0
; MemoryBound: 0
; FloatMode: 240
; IeeeMode: 1
; LDSByteSize: 0 bytes/workgroup (compile time only)
; SGPRBlocks: 5
; VGPRBlocks: 6
; NumSGPRsForWavesPerEU: 41
; NumVGPRsForWavesPerEU: 52
; AccumOffset: 52
; Occupancy: 8
; WaveLimiterHint : 0
; COMPUTE_PGM_RSRC2:SCRATCH_EN: 0
; COMPUTE_PGM_RSRC2:USER_SGPR: 6
; COMPUTE_PGM_RSRC2:TRAP_HANDLER: 0
; COMPUTE_PGM_RSRC2:TGID_X_EN: 1
; COMPUTE_PGM_RSRC2:TGID_Y_EN: 0
; COMPUTE_PGM_RSRC2:TGID_Z_EN: 0
; COMPUTE_PGM_RSRC2:TIDIG_COMP_CNT: 0
; COMPUTE_PGM_RSRC3_GFX90A:ACCUM_OFFSET: 12
; COMPUTE_PGM_RSRC3_GFX90A:TG_SPLIT: 0
	.section	.text._ZN2at6native12_GLOBAL__N_125multi_tensor_apply_kernelINS1_18TensorListMetadataILi4EEENS1_32PointwiseOpScalar0dTensorFunctorIsLi4ELi2ELi3EEEJSt10multipliesIsEsEEEvT_T0_DpT1_,"axG",@progbits,_ZN2at6native12_GLOBAL__N_125multi_tensor_apply_kernelINS1_18TensorListMetadataILi4EEENS1_32PointwiseOpScalar0dTensorFunctorIsLi4ELi2ELi3EEEJSt10multipliesIsEsEEEvT_T0_DpT1_,comdat
	.globl	_ZN2at6native12_GLOBAL__N_125multi_tensor_apply_kernelINS1_18TensorListMetadataILi4EEENS1_32PointwiseOpScalar0dTensorFunctorIsLi4ELi2ELi3EEEJSt10multipliesIsEsEEEvT_T0_DpT1_ ; -- Begin function _ZN2at6native12_GLOBAL__N_125multi_tensor_apply_kernelINS1_18TensorListMetadataILi4EEENS1_32PointwiseOpScalar0dTensorFunctorIsLi4ELi2ELi3EEEJSt10multipliesIsEsEEEvT_T0_DpT1_
	.p2align	8
	.type	_ZN2at6native12_GLOBAL__N_125multi_tensor_apply_kernelINS1_18TensorListMetadataILi4EEENS1_32PointwiseOpScalar0dTensorFunctorIsLi4ELi2ELi3EEEJSt10multipliesIsEsEEEvT_T0_DpT1_,@function
_ZN2at6native12_GLOBAL__N_125multi_tensor_apply_kernelINS1_18TensorListMetadataILi4EEENS1_32PointwiseOpScalar0dTensorFunctorIsLi4ELi2ELi3EEEJSt10multipliesIsEsEEEvT_T0_DpT1_: ; @_ZN2at6native12_GLOBAL__N_125multi_tensor_apply_kernelINS1_18TensorListMetadataILi4EEENS1_32PointwiseOpScalar0dTensorFunctorIsLi4ELi2ELi3EEEJSt10multipliesIsEsEEEvT_T0_DpT1_
; %bb.0:
	v_mov_b32_e32 v1, s6
	global_load_ubyte v1, v1, s[4:5] offset:1440
	s_load_dword s0, s[4:5], 0xbe8
	s_mul_hi_u32 s2, s6, 3
	v_mov_b32_e32 v3, 0
	s_waitcnt lgkmcnt(0)
	s_lshr_b32 s22, s0, 16
	s_add_u32 s0, s4, s6
	s_addc_u32 s1, s5, 0
	s_mul_i32 s6, s6, 3
	s_add_u32 s0, s0, s6
	s_addc_u32 s1, s1, s2
	s_waitcnt vmcnt(0)
	v_readfirstlane_b32 s2, v1
	s_lshl_b32 s6, s2, 3
	s_load_dwordx2 s[2:3], s[4:5], s6 offset:0x120
	s_load_dwordx2 s[14:15], s[4:5], s6 offset:0x240
	;; [unrolled: 1-line block ×3, first 2 shown]
	s_waitcnt lgkmcnt(0)
	global_load_ushort v5, v3, s[2:3]
	s_load_dword s8, s[0:1], 0x6e0
	s_load_dwordx2 s[16:17], s[4:5], s6 offset:0x0
	s_load_dwordx2 s[10:11], s[4:5], s6 offset:0x480
	s_mov_b32 s1, 0
	s_mov_b32 s3, s1
	s_waitcnt lgkmcnt(0)
	s_ashr_i32 s9, s8, 31
	s_lshl_b64 s[6:7], s[8:9], 17
	s_add_u32 s2, s2, s6
	s_and_b32 s0, s16, 7
	s_and_b32 s2, s2, 7
	s_cmp_lg_u64 s[2:3], 0
	s_cselect_b64 s[2:3], -1, 0
	s_add_u32 s18, s14, s6
	s_or_b32 s18, s12, s18
	s_and_b32 s18, s18, 7
	s_cmp_lg_u32 s18, 0
	s_cselect_b64 s[18:19], -1, 0
	s_or_b64 s[2:3], s[18:19], s[2:3]
	s_lshl_b64 s[8:9], s[8:9], 16
	s_sub_u32 s8, s10, s8
	s_subb_u32 s9, s11, s9
	s_and_b32 s10, s10, 3
	s_mov_b32 s11, s1
	s_or_b64 s[10:11], s[0:1], s[10:11]
	s_cmp_lg_u64 s[10:11], 0
	s_cselect_b64 s[10:11], -1, 0
	s_or_b64 s[2:3], s[2:3], s[10:11]
	s_andn2_b64 vcc, exec, s[2:3]
	s_mov_b64 s[2:3], -1
	s_cbranch_vccz .LBB15_5
; %bb.1:
	v_lshlrev_b32_e32 v2, 2, v0
	v_cmp_gt_i64_e32 vcc, s[8:9], v[2:3]
	s_and_saveexec_b64 s[10:11], vcc
	s_cbranch_execz .LBB15_4
; %bb.2:
	s_load_dword s0, s[4:5], 0xbfc
	v_lshlrev_b32_e32 v1, 3, v0
	v_mov_b32_e32 v2, s7
	v_add_co_u32_e32 v4, vcc, s6, v1
	s_waitcnt lgkmcnt(0)
	s_and_b32 s0, s0, 0xffff
	s_waitcnt vmcnt(0)
	v_mul_lo_u32 v6, v5, s22
	v_mov_b32_e32 v3, 0
	v_addc_co_u32_e32 v1, vcc, 0, v2, vcc
	s_lshl_b32 s23, s0, 3
	v_add_lshl_u32 v2, v0, s0, 2
	s_lshl_b32 s24, s0, 2
	s_mov_b64 s[18:19], 0
	v_mov_b32_e32 v7, s17
	v_mov_b32_e32 v8, s15
	;; [unrolled: 1-line block ×3, first 2 shown]
	s_mov_b64 s[20:21], 0xffff
	v_mov_b32_e32 v10, s1
	v_mov_b32_e32 v11, s1
.LBB15_3:                               ; =>This Inner Loop Header: Depth=1
	v_add_co_u32_e32 v12, vcc, s16, v4
	v_addc_co_u32_e32 v13, vcc, v7, v1, vcc
	v_add_co_u32_e32 v14, vcc, s14, v4
	v_addc_co_u32_e32 v15, vcc, v8, v1, vcc
	global_load_dwordx2 v[16:17], v[14:15], off
	global_load_dwordx2 v[18:19], v[12:13], off
	v_add_co_u32_e32 v12, vcc, s12, v4
	v_addc_co_u32_e32 v13, vcc, v9, v1, vcc
	v_cmp_le_i64_e32 vcc, s[8:9], v[2:3]
	v_cmp_lt_u64_e64 s[0:1], s[20:21], v[2:3]
	v_add_co_u32_e64 v4, s[2:3], s23, v4
	v_addc_co_u32_e64 v1, s[2:3], v1, v10, s[2:3]
	s_or_b64 s[0:1], vcc, s[0:1]
	v_add_co_u32_e64 v2, s[2:3], s24, v2
	s_and_b64 s[0:1], exec, s[0:1]
	v_addc_co_u32_e64 v3, s[2:3], v3, v11, s[2:3]
	s_or_b64 s[18:19], s[0:1], s[18:19]
	s_waitcnt vmcnt(1)
	v_mul_lo_u16_e32 v14, v6, v16
	s_waitcnt vmcnt(0)
	v_lshrrev_b32_e32 v15, 16, v18
	v_lshrrev_b32_e32 v16, 16, v16
	v_mad_legacy_u16 v20, v6, v17, v19
	v_lshrrev_b32_e32 v19, 16, v19
	v_lshrrev_b32_e32 v17, 16, v17
	v_mad_legacy_u16 v15, v6, v16, v15
	v_add_u16_e32 v14, v14, v18
	v_mad_legacy_u16 v16, v6, v17, v19
	v_lshlrev_b32_e32 v15, 16, v15
	v_lshlrev_b32_e32 v16, 16, v16
	v_or_b32_e32 v14, v15, v14
	v_or3_b32 v15, 0, v20, v16
	v_or3_b32 v14, v14, 0, 0
	global_store_dwordx2 v[12:13], v[14:15], off
	s_andn2_b64 exec, exec, s[18:19]
	s_cbranch_execnz .LBB15_3
.LBB15_4:
	s_or_b64 exec, exec, s[10:11]
	s_mov_b64 s[2:3], 0
.LBB15_5:
	s_andn2_b64 vcc, exec, s[2:3]
	s_cbranch_vccnz .LBB15_25
; %bb.6:
	v_cmp_lt_i64_e64 s[0:1], s[8:9], 1
	s_and_b64 vcc, exec, s[0:1]
	s_cbranch_vccnz .LBB15_25
; %bb.7:
	s_load_dword s0, s[4:5], 0xbfc
	v_mov_b32_e32 v2, 0x10000
	v_mov_b32_e32 v3, 0
	v_cmp_lt_u64_e32 vcc, s[8:9], v[2:3]
	v_lshlrev_b32_e32 v14, 1, v0
	s_waitcnt lgkmcnt(0)
	s_and_b32 s19, s0, 0xffff
	s_and_b64 s[0:1], vcc, exec
	v_mov_b32_e32 v21, s17
	v_add_co_u32_e32 v2, vcc, s16, v14
	v_addc_co_u32_e32 v3, vcc, 0, v21, vcc
	v_mov_b32_e32 v23, s15
	v_add_co_u32_e32 v4, vcc, s14, v14
	v_mov_b32_e32 v1, 0
	s_waitcnt vmcnt(0)
	v_mul_lo_u32 v36, v5, s22
	v_addc_co_u32_e32 v5, vcc, 0, v23, vcc
	v_mov_b32_e32 v15, v1
	v_mov_b32_e32 v25, s13
	v_add_co_u32_e32 v6, vcc, s12, v14
	v_addc_co_u32_e32 v7, vcc, 0, v25, vcc
	v_mad_u64_u32 v[12:13], s[0:1], s19, 6, v[14:15]
	v_add_co_u32_e32 v8, vcc, s16, v12
	v_addc_co_u32_e32 v9, vcc, v21, v13, vcc
	v_add_co_u32_e32 v10, vcc, s14, v12
	v_addc_co_u32_e32 v11, vcc, v23, v13, vcc
	v_add_co_u32_e32 v12, vcc, s12, v12
	s_cselect_b32 s5, s9, 0
	s_cselect_b32 s4, s8, 0x10000
	s_lshl_b32 s10, s19, 2
	v_addc_co_u32_e32 v13, vcc, v25, v13, vcc
	v_add_co_u32_e32 v18, vcc, s10, v14
	v_addc_co_u32_e64 v19, s[0:1], 0, 0, vcc
	v_add_co_u32_e32 v14, vcc, s16, v18
	v_addc_co_u32_e32 v15, vcc, v21, v19, vcc
	v_add_co_u32_e32 v16, vcc, s14, v18
	v_addc_co_u32_e32 v17, vcc, v23, v19, vcc
	;; [unrolled: 2-line block ×3, first 2 shown]
	v_add_lshl_u32 v24, v0, s19, 1
	v_add_co_u32_e32 v20, vcc, s16, v24
	v_addc_co_u32_e32 v21, vcc, 0, v21, vcc
	v_add_co_u32_e32 v22, vcc, s14, v24
	s_mov_b32 s18, 0
	v_addc_co_u32_e32 v23, vcc, 0, v23, vcc
	s_mov_b32 s11, s18
	v_add_co_u32_e32 v24, vcc, s12, v24
	s_mov_b64 s[2:3], 0x10000
	s_lshl_b32 s20, s19, 1
	s_mov_b32 s21, s18
	s_mul_i32 s22, s19, 3
	s_mov_b32 s23, s18
	s_lshl_b32 s17, s19, 3
	s_mov_b32 s24, s18
	v_addc_co_u32_e32 v25, vcc, 0, v25, vcc
	s_mov_b64 s[12:13], s[10:11]
	s_branch .LBB15_9
.LBB15_8:                               ;   in Loop: Header=BB15_9 Depth=1
	s_or_b64 exec, exec, s[0:1]
	v_pk_mov_b32 v[26:27], s[8:9], s[8:9] op_sel:[0,1]
	v_cmp_ge_i64_e32 vcc, s[12:13], v[26:27]
	v_mov_b32_e32 v26, 0xffff
	v_mov_b32_e32 v27, 0
	v_cmp_gt_u64_e64 s[0:1], s[12:13], v[26:27]
	s_or_b64 s[0:1], vcc, s[0:1]
	v_mov_b32_e32 v26, s24
	v_add_co_u32_e32 v2, vcc, s17, v2
	v_addc_co_u32_e32 v3, vcc, v3, v26, vcc
	v_add_co_u32_e32 v4, vcc, s17, v4
	v_addc_co_u32_e32 v5, vcc, v5, v26, vcc
	v_add_co_u32_e32 v6, vcc, s17, v6
	v_addc_co_u32_e32 v7, vcc, v7, v26, vcc
	v_mov_b32_e32 v27, s11
	v_add_co_u32_e32 v0, vcc, s10, v0
	v_addc_co_u32_e32 v1, vcc, v1, v27, vcc
	v_add_co_u32_e32 v8, vcc, s17, v8
	v_addc_co_u32_e32 v9, vcc, v9, v26, vcc
	;; [unrolled: 2-line block ×9, first 2 shown]
	v_add_co_u32_e32 v24, vcc, s17, v24
	s_add_u32 s12, s12, s10
	v_addc_co_u32_e32 v25, vcc, v25, v26, vcc
	s_addc_u32 s13, s13, 0
	s_and_b64 vcc, exec, s[0:1]
	s_cbranch_vccnz .LBB15_25
.LBB15_9:                               ; =>This Inner Loop Header: Depth=1
	v_cmp_gt_i64_e32 vcc, s[8:9], v[0:1]
	v_cmp_gt_u64_e64 s[0:1], s[2:3], v[0:1]
	v_pk_mov_b32 v[26:27], 0, 0
	s_and_b64 s[14:15], vcc, s[0:1]
	v_pk_mov_b32 v[28:29], v[26:27], v[26:27] op_sel:[0,1]
	s_and_saveexec_b64 s[0:1], s[14:15]
	s_cbranch_execz .LBB15_11
; %bb.10:                               ;   in Loop: Header=BB15_9 Depth=1
	v_mov_b32_e32 v29, s7
	v_add_co_u32_e32 v26, vcc, s6, v2
	v_addc_co_u32_e32 v27, vcc, v3, v29, vcc
	v_add_co_u32_e32 v28, vcc, s6, v4
	v_addc_co_u32_e32 v29, vcc, v5, v29, vcc
	global_load_ushort v30, v[26:27], off
	global_load_ushort v31, v[28:29], off
	v_mov_b32_e32 v29, s18
	v_mov_b32_e32 v27, s18
	s_waitcnt vmcnt(1)
	v_and_b32_e32 v28, 0xffff, v30
	s_waitcnt vmcnt(0)
	v_and_b32_e32 v26, 0xffff, v31
.LBB15_11:                              ;   in Loop: Header=BB15_9 Depth=1
	s_or_b64 exec, exec, s[0:1]
	v_mov_b32_e32 v31, s18
	v_add_co_u32_e32 v30, vcc, s19, v0
	v_addc_co_u32_e32 v31, vcc, v31, v1, vcc
	v_cmp_gt_i64_e32 vcc, s[8:9], v[30:31]
	v_cmp_gt_u64_e64 s[0:1], s[2:3], v[30:31]
	s_and_b64 s[14:15], vcc, s[0:1]
	s_and_saveexec_b64 s[0:1], s[14:15]
	s_cbranch_execz .LBB15_13
; %bb.12:                               ;   in Loop: Header=BB15_9 Depth=1
	v_mov_b32_e32 v35, s7
	v_add_co_u32_e32 v32, vcc, s6, v22
	v_addc_co_u32_e32 v33, vcc, v23, v35, vcc
	v_add_co_u32_e32 v34, vcc, s6, v20
	v_addc_co_u32_e32 v35, vcc, v21, v35, vcc
	global_load_ushort v37, v[34:35], off
	global_load_ushort v38, v[32:33], off
	s_waitcnt vmcnt(1)
	v_lshl_or_b32 v28, v37, 16, v28
	s_waitcnt vmcnt(0)
	v_lshl_or_b32 v26, v38, 16, v26
.LBB15_13:                              ;   in Loop: Header=BB15_9 Depth=1
	s_or_b64 exec, exec, s[0:1]
	v_mov_b32_e32 v33, s21
	v_add_co_u32_e32 v32, vcc, s20, v0
	v_addc_co_u32_e32 v33, vcc, v33, v1, vcc
	v_cmp_gt_i64_e32 vcc, s[8:9], v[32:33]
	v_cmp_gt_u64_e64 s[0:1], s[2:3], v[32:33]
	s_and_b64 s[14:15], vcc, s[0:1]
	s_and_saveexec_b64 s[0:1], s[14:15]
	s_cbranch_execz .LBB15_15
; %bb.14:                               ;   in Loop: Header=BB15_9 Depth=1
	v_mov_b32_e32 v37, s7
	v_add_co_u32_e32 v34, vcc, s6, v16
	v_addc_co_u32_e32 v35, vcc, v17, v37, vcc
	v_add_co_u32_e32 v38, vcc, s6, v14
	v_addc_co_u32_e32 v39, vcc, v15, v37, vcc
	global_load_ushort v37, v[38:39], off
	global_load_ushort v40, v[34:35], off
	s_waitcnt vmcnt(1)
	v_or_b32_e32 v29, v37, v29
	s_waitcnt vmcnt(0)
	v_or_b32_e32 v27, v40, v27
.LBB15_15:                              ;   in Loop: Header=BB15_9 Depth=1
	s_or_b64 exec, exec, s[0:1]
	v_mov_b32_e32 v35, s23
	v_add_co_u32_e32 v34, vcc, s22, v0
	v_addc_co_u32_e32 v35, vcc, v35, v1, vcc
	v_cmp_gt_i64_e32 vcc, s[8:9], v[34:35]
	v_cmp_gt_u64_e64 s[0:1], s[2:3], v[34:35]
	s_and_b64 s[14:15], vcc, s[0:1]
	s_and_saveexec_b64 s[0:1], s[14:15]
	s_cbranch_execnz .LBB15_20
; %bb.16:                               ;   in Loop: Header=BB15_9 Depth=1
	s_or_b64 exec, exec, s[0:1]
	v_cmp_gt_u64_e32 vcc, s[4:5], v[0:1]
	s_and_saveexec_b64 s[0:1], vcc
	s_cbranch_execnz .LBB15_21
.LBB15_17:                              ;   in Loop: Header=BB15_9 Depth=1
	s_or_b64 exec, exec, s[0:1]
	v_cmp_gt_u64_e32 vcc, s[4:5], v[30:31]
	s_and_saveexec_b64 s[0:1], vcc
	s_cbranch_execnz .LBB15_22
.LBB15_18:                              ;   in Loop: Header=BB15_9 Depth=1
	s_or_b64 exec, exec, s[0:1]
	v_cmp_gt_u64_e32 vcc, s[4:5], v[32:33]
	s_and_saveexec_b64 s[0:1], vcc
	s_cbranch_execnz .LBB15_23
.LBB15_19:                              ;   in Loop: Header=BB15_9 Depth=1
	s_or_b64 exec, exec, s[0:1]
	v_cmp_gt_u64_e32 vcc, s[4:5], v[34:35]
	s_and_saveexec_b64 s[0:1], vcc
	s_cbranch_execz .LBB15_8
	s_branch .LBB15_24
.LBB15_20:                              ;   in Loop: Header=BB15_9 Depth=1
	v_mov_b32_e32 v37, s7
	v_add_co_u32_e32 v38, vcc, s6, v10
	v_addc_co_u32_e32 v39, vcc, v11, v37, vcc
	v_add_co_u32_e32 v40, vcc, s6, v8
	v_addc_co_u32_e32 v41, vcc, v9, v37, vcc
	global_load_ushort v37, v[40:41], off
	global_load_ushort v42, v[38:39], off
	s_waitcnt vmcnt(1)
	v_lshlrev_b32_e32 v37, 16, v37
	s_waitcnt vmcnt(0)
	v_lshlrev_b32_e32 v38, 16, v42
	v_or_b32_e32 v29, v37, v29
	v_or_b32_e32 v27, v38, v27
	s_or_b64 exec, exec, s[0:1]
	v_cmp_gt_u64_e32 vcc, s[4:5], v[0:1]
	s_and_saveexec_b64 s[0:1], vcc
	s_cbranch_execz .LBB15_17
.LBB15_21:                              ;   in Loop: Header=BB15_9 Depth=1
	v_mov_b32_e32 v39, s7
	v_add_co_u32_e32 v38, vcc, s6, v6
	v_mad_legacy_u16 v37, v36, v26, v28
	v_addc_co_u32_e32 v39, vcc, v7, v39, vcc
	global_store_short v[38:39], v37, off
	s_or_b64 exec, exec, s[0:1]
	v_cmp_gt_u64_e32 vcc, s[4:5], v[30:31]
	s_and_saveexec_b64 s[0:1], vcc
	s_cbranch_execz .LBB15_18
.LBB15_22:                              ;   in Loop: Header=BB15_9 Depth=1
	v_lshrrev_b32_e32 v28, 16, v28
	v_lshrrev_b32_e32 v26, 16, v26
	v_mad_legacy_u16 v26, v36, v26, v28
	v_mov_b32_e32 v28, s7
	v_add_co_u32_e32 v30, vcc, s6, v24
	v_addc_co_u32_e32 v31, vcc, v25, v28, vcc
	global_store_short v[30:31], v26, off
	s_or_b64 exec, exec, s[0:1]
	v_cmp_gt_u64_e32 vcc, s[4:5], v[32:33]
	s_and_saveexec_b64 s[0:1], vcc
	s_cbranch_execz .LBB15_19
.LBB15_23:                              ;   in Loop: Header=BB15_9 Depth=1
	v_mov_b32_e32 v28, s7
	v_add_co_u32_e32 v30, vcc, s6, v18
	v_mad_legacy_u16 v26, v36, v27, v29
	v_addc_co_u32_e32 v31, vcc, v19, v28, vcc
	global_store_short v[30:31], v26, off
	s_or_b64 exec, exec, s[0:1]
	v_cmp_gt_u64_e32 vcc, s[4:5], v[34:35]
	s_and_saveexec_b64 s[0:1], vcc
	s_cbranch_execz .LBB15_8
.LBB15_24:                              ;   in Loop: Header=BB15_9 Depth=1
	v_lshrrev_b32_e32 v26, 16, v29
	v_lshrrev_b32_e32 v27, 16, v27
	v_mad_legacy_u16 v28, v36, v27, v26
	v_mov_b32_e32 v27, s7
	v_add_co_u32_e32 v26, vcc, s6, v12
	v_addc_co_u32_e32 v27, vcc, v13, v27, vcc
	global_store_short v[26:27], v28, off
	s_branch .LBB15_8
.LBB15_25:
	s_endpgm
	.section	.rodata,"a",@progbits
	.p2align	6, 0x0
	.amdhsa_kernel _ZN2at6native12_GLOBAL__N_125multi_tensor_apply_kernelINS1_18TensorListMetadataILi4EEENS1_32PointwiseOpScalar0dTensorFunctorIsLi4ELi2ELi3EEEJSt10multipliesIsEsEEEvT_T0_DpT1_
		.amdhsa_group_segment_fixed_size 0
		.amdhsa_private_segment_fixed_size 0
		.amdhsa_kernarg_size 3312
		.amdhsa_user_sgpr_count 6
		.amdhsa_user_sgpr_private_segment_buffer 1
		.amdhsa_user_sgpr_dispatch_ptr 0
		.amdhsa_user_sgpr_queue_ptr 0
		.amdhsa_user_sgpr_kernarg_segment_ptr 1
		.amdhsa_user_sgpr_dispatch_id 0
		.amdhsa_user_sgpr_flat_scratch_init 0
		.amdhsa_user_sgpr_kernarg_preload_length 0
		.amdhsa_user_sgpr_kernarg_preload_offset 0
		.amdhsa_user_sgpr_private_segment_size 0
		.amdhsa_uses_dynamic_stack 0
		.amdhsa_system_sgpr_private_segment_wavefront_offset 0
		.amdhsa_system_sgpr_workgroup_id_x 1
		.amdhsa_system_sgpr_workgroup_id_y 0
		.amdhsa_system_sgpr_workgroup_id_z 0
		.amdhsa_system_sgpr_workgroup_info 0
		.amdhsa_system_vgpr_workitem_id 0
		.amdhsa_next_free_vgpr 43
		.amdhsa_next_free_sgpr 25
		.amdhsa_accum_offset 44
		.amdhsa_reserve_vcc 1
		.amdhsa_reserve_flat_scratch 0
		.amdhsa_float_round_mode_32 0
		.amdhsa_float_round_mode_16_64 0
		.amdhsa_float_denorm_mode_32 3
		.amdhsa_float_denorm_mode_16_64 3
		.amdhsa_dx10_clamp 1
		.amdhsa_ieee_mode 1
		.amdhsa_fp16_overflow 0
		.amdhsa_tg_split 0
		.amdhsa_exception_fp_ieee_invalid_op 0
		.amdhsa_exception_fp_denorm_src 0
		.amdhsa_exception_fp_ieee_div_zero 0
		.amdhsa_exception_fp_ieee_overflow 0
		.amdhsa_exception_fp_ieee_underflow 0
		.amdhsa_exception_fp_ieee_inexact 0
		.amdhsa_exception_int_div_zero 0
	.end_amdhsa_kernel
	.section	.text._ZN2at6native12_GLOBAL__N_125multi_tensor_apply_kernelINS1_18TensorListMetadataILi4EEENS1_32PointwiseOpScalar0dTensorFunctorIsLi4ELi2ELi3EEEJSt10multipliesIsEsEEEvT_T0_DpT1_,"axG",@progbits,_ZN2at6native12_GLOBAL__N_125multi_tensor_apply_kernelINS1_18TensorListMetadataILi4EEENS1_32PointwiseOpScalar0dTensorFunctorIsLi4ELi2ELi3EEEJSt10multipliesIsEsEEEvT_T0_DpT1_,comdat
.Lfunc_end15:
	.size	_ZN2at6native12_GLOBAL__N_125multi_tensor_apply_kernelINS1_18TensorListMetadataILi4EEENS1_32PointwiseOpScalar0dTensorFunctorIsLi4ELi2ELi3EEEJSt10multipliesIsEsEEEvT_T0_DpT1_, .Lfunc_end15-_ZN2at6native12_GLOBAL__N_125multi_tensor_apply_kernelINS1_18TensorListMetadataILi4EEENS1_32PointwiseOpScalar0dTensorFunctorIsLi4ELi2ELi3EEEJSt10multipliesIsEsEEEvT_T0_DpT1_
                                        ; -- End function
	.section	.AMDGPU.csdata,"",@progbits
; Kernel info:
; codeLenInByte = 1684
; NumSgprs: 29
; NumVgprs: 43
; NumAgprs: 0
; TotalNumVgprs: 43
; ScratchSize: 0
; MemoryBound: 0
; FloatMode: 240
; IeeeMode: 1
; LDSByteSize: 0 bytes/workgroup (compile time only)
; SGPRBlocks: 3
; VGPRBlocks: 5
; NumSGPRsForWavesPerEU: 29
; NumVGPRsForWavesPerEU: 43
; AccumOffset: 44
; Occupancy: 8
; WaveLimiterHint : 0
; COMPUTE_PGM_RSRC2:SCRATCH_EN: 0
; COMPUTE_PGM_RSRC2:USER_SGPR: 6
; COMPUTE_PGM_RSRC2:TRAP_HANDLER: 0
; COMPUTE_PGM_RSRC2:TGID_X_EN: 1
; COMPUTE_PGM_RSRC2:TGID_Y_EN: 0
; COMPUTE_PGM_RSRC2:TGID_Z_EN: 0
; COMPUTE_PGM_RSRC2:TIDIG_COMP_CNT: 0
; COMPUTE_PGM_RSRC3_GFX90A:ACCUM_OFFSET: 10
; COMPUTE_PGM_RSRC3_GFX90A:TG_SPLIT: 0
	.section	.text._ZN2at6native12_GLOBAL__N_125multi_tensor_apply_kernelINS1_18TensorListMetadataILi4EEENS1_32PointwiseOpScalar0dTensorFunctorIdLi4ELi2ELi3EEEJSt10multipliesIdEdEEEvT_T0_DpT1_,"axG",@progbits,_ZN2at6native12_GLOBAL__N_125multi_tensor_apply_kernelINS1_18TensorListMetadataILi4EEENS1_32PointwiseOpScalar0dTensorFunctorIdLi4ELi2ELi3EEEJSt10multipliesIdEdEEEvT_T0_DpT1_,comdat
	.globl	_ZN2at6native12_GLOBAL__N_125multi_tensor_apply_kernelINS1_18TensorListMetadataILi4EEENS1_32PointwiseOpScalar0dTensorFunctorIdLi4ELi2ELi3EEEJSt10multipliesIdEdEEEvT_T0_DpT1_ ; -- Begin function _ZN2at6native12_GLOBAL__N_125multi_tensor_apply_kernelINS1_18TensorListMetadataILi4EEENS1_32PointwiseOpScalar0dTensorFunctorIdLi4ELi2ELi3EEEJSt10multipliesIdEdEEEvT_T0_DpT1_
	.p2align	8
	.type	_ZN2at6native12_GLOBAL__N_125multi_tensor_apply_kernelINS1_18TensorListMetadataILi4EEENS1_32PointwiseOpScalar0dTensorFunctorIdLi4ELi2ELi3EEEJSt10multipliesIdEdEEEvT_T0_DpT1_,@function
_ZN2at6native12_GLOBAL__N_125multi_tensor_apply_kernelINS1_18TensorListMetadataILi4EEENS1_32PointwiseOpScalar0dTensorFunctorIdLi4ELi2ELi3EEEJSt10multipliesIdEdEEEvT_T0_DpT1_: ; @_ZN2at6native12_GLOBAL__N_125multi_tensor_apply_kernelINS1_18TensorListMetadataILi4EEENS1_32PointwiseOpScalar0dTensorFunctorIdLi4ELi2ELi3EEEJSt10multipliesIdEdEEEvT_T0_DpT1_
; %bb.0:
	v_mov_b32_e32 v1, s6
	global_load_ubyte v1, v1, s[4:5] offset:1440
	s_add_u32 s0, s4, s6
	s_mul_hi_u32 s1, s6, 3
	s_mul_i32 s6, s6, 3
	s_addc_u32 s2, s5, 0
	s_add_u32 s0, s0, s6
	s_addc_u32 s1, s2, s1
	s_load_dword s2, s[0:1], 0x6e0
	s_mov_b32 s1, 0
	s_mov_b32 s7, s1
	;; [unrolled: 1-line block ×3, first 2 shown]
	s_waitcnt lgkmcnt(0)
	s_ashr_i32 s3, s2, 31
	s_lshl_b64 s[8:9], s[2:3], 19
	s_waitcnt vmcnt(0)
	v_readfirstlane_b32 s0, v1
	s_lshl_b32 s0, s0, 3
	s_load_dwordx2 s[20:21], s[4:5], s0 offset:0x0
	s_load_dwordx2 s[14:15], s[4:5], s0 offset:0x120
	s_load_dwordx2 s[10:11], s[4:5], 0xbf0
	s_load_dwordx2 s[24:25], s[4:5], s0 offset:0x480
	s_load_dwordx2 s[22:23], s[4:5], s0 offset:0x240
	;; [unrolled: 1-line block ×3, first 2 shown]
	s_waitcnt lgkmcnt(0)
	s_add_u32 s28, s20, s8
	s_addc_u32 s29, s21, s9
	s_add_u32 s6, s14, s8
	s_and_b32 s0, s28, 31
	s_and_b32 s6, s6, 31
	s_cmp_lg_u64 s[6:7], 0
	s_cselect_b64 s[6:7], -1, 0
	s_add_u32 s30, s22, s8
	s_addc_u32 s31, s23, s9
	s_add_u32 s33, s18, s8
	s_load_dwordx2 s[12:13], s[14:15], 0x0
	s_addc_u32 s34, s19, s9
	s_or_b32 s14, s33, s30
	s_and_b32 s14, s14, 31
	s_cmp_lg_u32 s14, 0
	s_cselect_b64 s[14:15], -1, 0
	s_lshl_b64 s[2:3], s[2:3], 16
	s_or_b64 s[6:7], s[14:15], s[6:7]
	s_sub_u32 s14, s24, s2
	s_subb_u32 s15, s25, s3
	s_and_b32 s16, s24, 3
	s_or_b64 s[2:3], s[0:1], s[16:17]
	s_cmp_lg_u64 s[2:3], 0
	s_cselect_b64 s[2:3], -1, 0
	s_or_b64 s[2:3], s[6:7], s[2:3]
	s_andn2_b64 vcc, exec, s[2:3]
	s_mov_b64 s[2:3], -1
	s_cbranch_vccz .LBB16_5
; %bb.1:
	v_mov_b32_e32 v3, 0
	v_lshlrev_b32_e32 v2, 2, v0
	v_cmp_gt_i64_e32 vcc, s[14:15], v[2:3]
	s_and_saveexec_b64 s[16:17], vcc
	s_cbranch_execz .LBB16_4
; %bb.2:
	s_load_dword s0, s[4:5], 0xc04
	v_cmp_eq_f64_e64 vcc, s[10:11], 1.0
	v_lshlrev_b32_e32 v4, 5, v0
	s_mov_b64 s[24:25], 0
	s_mov_b64 s[26:27], 0xffff
	s_waitcnt lgkmcnt(0)
	s_and_b32 s0, s0, 0xffff
	v_add_lshl_u32 v2, v0, s0, 2
	s_lshl_b32 s35, s0, 2
	s_lshl_b32 s36, s0, 5
	v_mov_b32_e32 v1, s1
.LBB16_3:                               ; =>This Inner Loop Header: Depth=1
	v_mov_b32_e32 v5, s29
	v_add_co_u32_e64 v24, s[2:3], s28, v4
	v_mov_b32_e32 v6, s31
	v_add_co_u32_e64 v22, s[0:1], s30, v4
	v_addc_co_u32_e64 v25, s[2:3], 0, v5, s[2:3]
	v_addc_co_u32_e64 v23, s[0:1], 0, v6, s[0:1]
	global_load_dwordx4 v[6:9], v[24:25], off
	global_load_dwordx4 v[10:13], v[22:23], off
	global_load_dwordx4 v[14:17], v[22:23], off offset:16
	global_load_dwordx4 v[18:21], v[24:25], off offset:16
	v_cmp_le_i64_e64 s[0:1], s[14:15], v[2:3]
	v_cmp_lt_u64_e64 s[2:3], s[26:27], v[2:3]
	s_or_b64 s[0:1], s[0:1], s[2:3]
	v_add_co_u32_e64 v2, s[6:7], s35, v2
	s_add_u32 s28, s28, s36
	v_addc_co_u32_e64 v3, s[6:7], v3, v1, s[6:7]
	s_addc_u32 s29, s29, 0
	v_add_co_u32_e64 v22, s[6:7], s33, v4
	s_add_u32 s33, s33, s36
	v_mov_b32_e32 v5, s34
	s_addc_u32 s34, s34, 0
	s_add_u32 s30, s30, s36
	s_addc_u32 s31, s31, 0
	s_and_b64 s[0:1], exec, s[0:1]
	v_addc_co_u32_e64 v23, s[6:7], 0, v5, s[6:7]
	s_or_b64 s[24:25], s[0:1], s[24:25]
	s_waitcnt vmcnt(2)
	v_fma_f64 v[24:25], s[12:13], v[10:11], v[6:7]
	v_mul_f64 v[10:11], s[12:13], v[10:11]
	v_fma_f64 v[26:27], s[12:13], v[12:13], v[8:9]
	v_mul_f64 v[12:13], s[12:13], v[12:13]
	s_waitcnt vmcnt(0)
	v_fma_f64 v[28:29], s[12:13], v[14:15], v[18:19]
	v_mul_f64 v[14:15], s[12:13], v[14:15]
	v_fma_f64 v[30:31], s[12:13], v[16:17], v[20:21]
	v_mul_f64 v[16:17], s[12:13], v[16:17]
	v_fmac_f64_e32 v[6:7], s[10:11], v[10:11]
	v_fmac_f64_e32 v[8:9], s[10:11], v[12:13]
	;; [unrolled: 1-line block ×4, first 2 shown]
	v_cndmask_b32_e32 v7, v7, v25, vcc
	v_cndmask_b32_e32 v6, v6, v24, vcc
	;; [unrolled: 1-line block ×8, first 2 shown]
	global_store_dwordx4 v[22:23], v[6:9], off
	global_store_dwordx4 v[22:23], v[10:13], off offset:16
	s_andn2_b64 exec, exec, s[24:25]
	s_cbranch_execnz .LBB16_3
.LBB16_4:
	s_or_b64 exec, exec, s[16:17]
	s_mov_b64 s[2:3], 0
.LBB16_5:
	s_andn2_b64 vcc, exec, s[2:3]
	s_cbranch_vccnz .LBB16_25
; %bb.6:
	v_cmp_lt_i64_e64 s[0:1], s[14:15], 1
	s_and_b64 vcc, exec, s[0:1]
	s_cbranch_vccnz .LBB16_25
; %bb.7:
	s_load_dword s2, s[4:5], 0xc04
	v_mov_b32_e32 v2, 0x10000
	v_mov_b32_e32 v3, 0
	v_cmp_lt_u64_e32 vcc, s[14:15], v[2:3]
	v_lshlrev_b32_e32 v14, 3, v0
	s_waitcnt lgkmcnt(0)
	s_and_b32 s25, s2, 0xffff
	s_and_b64 s[2:3], vcc, exec
	v_mov_b32_e32 v21, s21
	v_add_co_u32_e32 v2, vcc, s20, v14
	v_addc_co_u32_e32 v3, vcc, 0, v21, vcc
	v_mov_b32_e32 v23, s23
	v_add_co_u32_e32 v4, vcc, s22, v14
	v_mov_b32_e32 v1, 0
	v_addc_co_u32_e32 v5, vcc, 0, v23, vcc
	v_mov_b32_e32 v15, v1
	v_mov_b32_e32 v25, s19
	v_add_co_u32_e32 v6, vcc, s18, v14
	v_addc_co_u32_e32 v7, vcc, 0, v25, vcc
	v_mad_u64_u32 v[12:13], s[2:3], s25, 24, v[14:15]
	v_add_co_u32_e32 v8, vcc, s20, v12
	v_addc_co_u32_e32 v9, vcc, v21, v13, vcc
	v_add_co_u32_e32 v10, vcc, s22, v12
	v_addc_co_u32_e32 v11, vcc, v23, v13, vcc
	v_add_co_u32_e32 v12, vcc, s18, v12
	s_cselect_b32 s7, s15, 0
	s_cselect_b32 s6, s14, 0x10000
	v_addc_co_u32_e32 v13, vcc, v25, v13, vcc
	s_lshl_b32 s2, s25, 4
	v_add_co_u32_e32 v18, vcc, s2, v14
	v_addc_co_u32_e64 v19, s[2:3], 0, 0, vcc
	v_add_co_u32_e32 v14, vcc, s20, v18
	v_addc_co_u32_e32 v15, vcc, v21, v19, vcc
	v_add_co_u32_e32 v16, vcc, s22, v18
	v_addc_co_u32_e32 v17, vcc, v23, v19, vcc
	v_add_co_u32_e32 v18, vcc, s18, v18
	v_addc_co_u32_e32 v19, vcc, v25, v19, vcc
	v_add_lshl_u32 v24, v0, s25, 3
	v_add_co_u32_e32 v20, vcc, s20, v24
	v_addc_co_u32_e32 v21, vcc, 0, v21, vcc
	v_add_co_u32_e32 v22, vcc, s22, v24
	s_mov_b32 s24, 0
	v_addc_co_u32_e32 v23, vcc, 0, v23, vcc
	s_lshl_b32 s16, s25, 2
	s_mov_b32 s17, s24
	v_add_co_u32_e32 v24, vcc, s18, v24
	v_cmp_eq_f64_e64 s[0:1], s[10:11], 1.0
	s_mov_b64 s[4:5], 0x10000
	s_lshl_b32 s26, s25, 1
	s_mov_b32 s27, s24
	s_mul_i32 s28, s25, 3
	s_mov_b32 s29, s24
	s_lshl_b32 s21, s25, 5
	s_mov_b32 s30, s24
	v_addc_co_u32_e32 v25, vcc, 0, v25, vcc
	s_mov_b64 s[18:19], s[16:17]
	s_branch .LBB16_9
.LBB16_8:                               ;   in Loop: Header=BB16_9 Depth=1
	s_or_b64 exec, exec, s[2:3]
	s_waitcnt vmcnt(0)
	v_pk_mov_b32 v[26:27], s[14:15], s[14:15] op_sel:[0,1]
	v_cmp_ge_i64_e32 vcc, s[18:19], v[26:27]
	v_mov_b32_e32 v26, 0xffff
	v_mov_b32_e32 v27, 0
	v_cmp_gt_u64_e64 s[2:3], s[18:19], v[26:27]
	s_or_b64 s[2:3], vcc, s[2:3]
	v_mov_b32_e32 v26, s30
	v_add_co_u32_e32 v2, vcc, s21, v2
	v_addc_co_u32_e32 v3, vcc, v3, v26, vcc
	v_add_co_u32_e32 v4, vcc, s21, v4
	v_addc_co_u32_e32 v5, vcc, v5, v26, vcc
	;; [unrolled: 2-line block ×3, first 2 shown]
	v_mov_b32_e32 v27, s17
	v_add_co_u32_e32 v0, vcc, s16, v0
	v_addc_co_u32_e32 v1, vcc, v1, v27, vcc
	v_add_co_u32_e32 v8, vcc, s21, v8
	v_addc_co_u32_e32 v9, vcc, v9, v26, vcc
	;; [unrolled: 2-line block ×9, first 2 shown]
	v_add_co_u32_e32 v24, vcc, s21, v24
	s_add_u32 s18, s18, s16
	v_addc_co_u32_e32 v25, vcc, v25, v26, vcc
	s_addc_u32 s19, s19, 0
	s_and_b64 vcc, exec, s[2:3]
	s_cbranch_vccnz .LBB16_25
.LBB16_9:                               ; =>This Inner Loop Header: Depth=1
	v_cmp_gt_i64_e32 vcc, s[14:15], v[0:1]
	v_cmp_gt_u64_e64 s[2:3], s[4:5], v[0:1]
	v_pk_mov_b32 v[26:27], 0, 0
	s_and_b64 s[22:23], vcc, s[2:3]
	v_pk_mov_b32 v[30:31], v[26:27], v[26:27] op_sel:[0,1]
	v_pk_mov_b32 v[28:29], v[26:27], v[26:27] op_sel:[0,1]
	s_and_saveexec_b64 s[2:3], s[22:23]
	s_cbranch_execz .LBB16_11
; %bb.10:                               ;   in Loop: Header=BB16_9 Depth=1
	v_mov_b32_e32 v28, s9
	v_add_co_u32_e32 v32, vcc, s8, v2
	v_addc_co_u32_e32 v33, vcc, v3, v28, vcc
	v_add_co_u32_e32 v34, vcc, s8, v4
	v_addc_co_u32_e32 v35, vcc, v5, v28, vcc
	global_load_dwordx2 v[28:29], v[32:33], off
	global_load_dwordx2 v[30:31], v[34:35], off
.LBB16_11:                              ;   in Loop: Header=BB16_9 Depth=1
	s_or_b64 exec, exec, s[2:3]
	v_mov_b32_e32 v33, s24
	v_add_co_u32_e32 v32, vcc, s25, v0
	v_addc_co_u32_e32 v33, vcc, v33, v1, vcc
	v_cmp_gt_i64_e32 vcc, s[14:15], v[32:33]
	v_cmp_gt_u64_e64 s[2:3], s[4:5], v[32:33]
	s_and_b64 s[22:23], vcc, s[2:3]
	v_pk_mov_b32 v[36:37], v[26:27], v[26:27] op_sel:[0,1]
	s_and_saveexec_b64 s[2:3], s[22:23]
	s_cbranch_execz .LBB16_13
; %bb.12:                               ;   in Loop: Header=BB16_9 Depth=1
	v_mov_b32_e32 v26, s9
	v_add_co_u32_e32 v34, vcc, s8, v20
	v_addc_co_u32_e32 v35, vcc, v21, v26, vcc
	v_add_co_u32_e32 v38, vcc, s8, v22
	v_addc_co_u32_e32 v39, vcc, v23, v26, vcc
	global_load_dwordx2 v[36:37], v[34:35], off
	global_load_dwordx2 v[26:27], v[38:39], off
.LBB16_13:                              ;   in Loop: Header=BB16_9 Depth=1
	s_or_b64 exec, exec, s[2:3]
	v_mov_b32_e32 v34, s27
	v_add_co_u32_e32 v38, vcc, s26, v0
	v_addc_co_u32_e32 v39, vcc, v34, v1, vcc
	v_cmp_gt_i64_e32 vcc, s[14:15], v[38:39]
	v_cmp_gt_u64_e64 s[2:3], s[4:5], v[38:39]
	v_pk_mov_b32 v[34:35], 0, 0
	s_and_b64 s[22:23], vcc, s[2:3]
	v_pk_mov_b32 v[42:43], v[34:35], v[34:35] op_sel:[0,1]
	v_pk_mov_b32 v[40:41], v[34:35], v[34:35] op_sel:[0,1]
	s_and_saveexec_b64 s[2:3], s[22:23]
	s_cbranch_execz .LBB16_15
; %bb.14:                               ;   in Loop: Header=BB16_9 Depth=1
	v_mov_b32_e32 v40, s9
	v_add_co_u32_e32 v44, vcc, s8, v14
	v_addc_co_u32_e32 v45, vcc, v15, v40, vcc
	v_add_co_u32_e32 v46, vcc, s8, v16
	v_addc_co_u32_e32 v47, vcc, v17, v40, vcc
	global_load_dwordx2 v[40:41], v[44:45], off
	global_load_dwordx2 v[42:43], v[46:47], off
.LBB16_15:                              ;   in Loop: Header=BB16_9 Depth=1
	s_or_b64 exec, exec, s[2:3]
	v_mov_b32_e32 v45, s29
	v_add_co_u32_e32 v44, vcc, s28, v0
	v_addc_co_u32_e32 v45, vcc, v45, v1, vcc
	v_cmp_gt_i64_e32 vcc, s[14:15], v[44:45]
	v_cmp_gt_u64_e64 s[2:3], s[4:5], v[44:45]
	s_and_b64 s[22:23], vcc, s[2:3]
	v_pk_mov_b32 v[46:47], v[34:35], v[34:35] op_sel:[0,1]
	s_and_saveexec_b64 s[2:3], s[22:23]
	s_cbranch_execnz .LBB16_20
; %bb.16:                               ;   in Loop: Header=BB16_9 Depth=1
	s_or_b64 exec, exec, s[2:3]
	v_cmp_gt_u64_e32 vcc, s[6:7], v[0:1]
	s_and_saveexec_b64 s[2:3], vcc
	s_cbranch_execnz .LBB16_21
.LBB16_17:                              ;   in Loop: Header=BB16_9 Depth=1
	s_or_b64 exec, exec, s[2:3]
	v_cmp_gt_u64_e32 vcc, s[6:7], v[32:33]
	s_and_saveexec_b64 s[2:3], vcc
	s_cbranch_execnz .LBB16_22
.LBB16_18:                              ;   in Loop: Header=BB16_9 Depth=1
	s_or_b64 exec, exec, s[2:3]
	v_cmp_gt_u64_e32 vcc, s[6:7], v[38:39]
	s_and_saveexec_b64 s[2:3], vcc
	s_cbranch_execnz .LBB16_23
.LBB16_19:                              ;   in Loop: Header=BB16_9 Depth=1
	s_or_b64 exec, exec, s[2:3]
	v_cmp_gt_u64_e32 vcc, s[6:7], v[44:45]
	s_and_saveexec_b64 s[2:3], vcc
	s_cbranch_execz .LBB16_8
	s_branch .LBB16_24
.LBB16_20:                              ;   in Loop: Header=BB16_9 Depth=1
	v_mov_b32_e32 v34, s9
	v_add_co_u32_e32 v48, vcc, s8, v8
	v_addc_co_u32_e32 v49, vcc, v9, v34, vcc
	v_add_co_u32_e32 v50, vcc, s8, v10
	v_addc_co_u32_e32 v51, vcc, v11, v34, vcc
	global_load_dwordx2 v[46:47], v[48:49], off
	global_load_dwordx2 v[34:35], v[50:51], off
	s_or_b64 exec, exec, s[2:3]
	v_cmp_gt_u64_e32 vcc, s[6:7], v[0:1]
	s_and_saveexec_b64 s[2:3], vcc
	s_cbranch_execz .LBB16_17
.LBB16_21:                              ;   in Loop: Header=BB16_9 Depth=1
	s_waitcnt vmcnt(0)
	v_fma_f64 v[50:51], s[12:13], v[30:31], v[28:29]
	v_mul_f64 v[30:31], s[12:13], v[30:31]
	v_mov_b32_e32 v49, s9
	v_add_co_u32_e32 v48, vcc, s8, v6
	v_fmac_f64_e32 v[28:29], s[10:11], v[30:31]
	v_addc_co_u32_e32 v49, vcc, v7, v49, vcc
	v_cndmask_b32_e64 v29, v29, v51, s[0:1]
	v_cndmask_b32_e64 v28, v28, v50, s[0:1]
	global_store_dwordx2 v[48:49], v[28:29], off
	s_or_b64 exec, exec, s[2:3]
	v_cmp_gt_u64_e32 vcc, s[6:7], v[32:33]
	s_and_saveexec_b64 s[2:3], vcc
	s_cbranch_execz .LBB16_18
.LBB16_22:                              ;   in Loop: Header=BB16_9 Depth=1
	s_waitcnt vmcnt(0)
	v_fma_f64 v[28:29], s[12:13], v[26:27], v[36:37]
	v_mul_f64 v[26:27], s[12:13], v[26:27]
	v_fmac_f64_e32 v[36:37], s[10:11], v[26:27]
	v_cndmask_b32_e64 v27, v37, v29, s[0:1]
	v_cndmask_b32_e64 v26, v36, v28, s[0:1]
	v_mov_b32_e32 v29, s9
	v_add_co_u32_e32 v28, vcc, s8, v24
	v_addc_co_u32_e32 v29, vcc, v25, v29, vcc
	global_store_dwordx2 v[28:29], v[26:27], off
	s_or_b64 exec, exec, s[2:3]
	v_cmp_gt_u64_e32 vcc, s[6:7], v[38:39]
	s_and_saveexec_b64 s[2:3], vcc
	s_cbranch_execz .LBB16_19
.LBB16_23:                              ;   in Loop: Header=BB16_9 Depth=1
	s_waitcnt vmcnt(0)
	v_mul_f64 v[28:29], s[12:13], v[42:43]
	v_fma_f64 v[26:27], s[12:13], v[42:43], v[40:41]
	v_fmac_f64_e32 v[40:41], s[10:11], v[28:29]
	v_mov_b32_e32 v29, s9
	v_add_co_u32_e32 v28, vcc, s8, v18
	v_cndmask_b32_e64 v27, v41, v27, s[0:1]
	v_cndmask_b32_e64 v26, v40, v26, s[0:1]
	v_addc_co_u32_e32 v29, vcc, v19, v29, vcc
	global_store_dwordx2 v[28:29], v[26:27], off
	s_or_b64 exec, exec, s[2:3]
	v_cmp_gt_u64_e32 vcc, s[6:7], v[44:45]
	s_and_saveexec_b64 s[2:3], vcc
	s_cbranch_execz .LBB16_8
.LBB16_24:                              ;   in Loop: Header=BB16_9 Depth=1
	s_waitcnt vmcnt(0)
	v_mul_f64 v[28:29], s[12:13], v[34:35]
	v_fma_f64 v[26:27], s[12:13], v[34:35], v[46:47]
	v_fmac_f64_e32 v[46:47], s[10:11], v[28:29]
	v_mov_b32_e32 v29, s9
	v_add_co_u32_e32 v28, vcc, s8, v12
	v_cndmask_b32_e64 v27, v47, v27, s[0:1]
	v_cndmask_b32_e64 v26, v46, v26, s[0:1]
	v_addc_co_u32_e32 v29, vcc, v13, v29, vcc
	global_store_dwordx2 v[28:29], v[26:27], off
	s_branch .LBB16_8
.LBB16_25:
	s_endpgm
	.section	.rodata,"a",@progbits
	.p2align	6, 0x0
	.amdhsa_kernel _ZN2at6native12_GLOBAL__N_125multi_tensor_apply_kernelINS1_18TensorListMetadataILi4EEENS1_32PointwiseOpScalar0dTensorFunctorIdLi4ELi2ELi3EEEJSt10multipliesIdEdEEEvT_T0_DpT1_
		.amdhsa_group_segment_fixed_size 0
		.amdhsa_private_segment_fixed_size 0
		.amdhsa_kernarg_size 3320
		.amdhsa_user_sgpr_count 6
		.amdhsa_user_sgpr_private_segment_buffer 1
		.amdhsa_user_sgpr_dispatch_ptr 0
		.amdhsa_user_sgpr_queue_ptr 0
		.amdhsa_user_sgpr_kernarg_segment_ptr 1
		.amdhsa_user_sgpr_dispatch_id 0
		.amdhsa_user_sgpr_flat_scratch_init 0
		.amdhsa_user_sgpr_kernarg_preload_length 0
		.amdhsa_user_sgpr_kernarg_preload_offset 0
		.amdhsa_user_sgpr_private_segment_size 0
		.amdhsa_uses_dynamic_stack 0
		.amdhsa_system_sgpr_private_segment_wavefront_offset 0
		.amdhsa_system_sgpr_workgroup_id_x 1
		.amdhsa_system_sgpr_workgroup_id_y 0
		.amdhsa_system_sgpr_workgroup_id_z 0
		.amdhsa_system_sgpr_workgroup_info 0
		.amdhsa_system_vgpr_workitem_id 0
		.amdhsa_next_free_vgpr 52
		.amdhsa_next_free_sgpr 37
		.amdhsa_accum_offset 52
		.amdhsa_reserve_vcc 1
		.amdhsa_reserve_flat_scratch 0
		.amdhsa_float_round_mode_32 0
		.amdhsa_float_round_mode_16_64 0
		.amdhsa_float_denorm_mode_32 3
		.amdhsa_float_denorm_mode_16_64 3
		.amdhsa_dx10_clamp 1
		.amdhsa_ieee_mode 1
		.amdhsa_fp16_overflow 0
		.amdhsa_tg_split 0
		.amdhsa_exception_fp_ieee_invalid_op 0
		.amdhsa_exception_fp_denorm_src 0
		.amdhsa_exception_fp_ieee_div_zero 0
		.amdhsa_exception_fp_ieee_overflow 0
		.amdhsa_exception_fp_ieee_underflow 0
		.amdhsa_exception_fp_ieee_inexact 0
		.amdhsa_exception_int_div_zero 0
	.end_amdhsa_kernel
	.section	.text._ZN2at6native12_GLOBAL__N_125multi_tensor_apply_kernelINS1_18TensorListMetadataILi4EEENS1_32PointwiseOpScalar0dTensorFunctorIdLi4ELi2ELi3EEEJSt10multipliesIdEdEEEvT_T0_DpT1_,"axG",@progbits,_ZN2at6native12_GLOBAL__N_125multi_tensor_apply_kernelINS1_18TensorListMetadataILi4EEENS1_32PointwiseOpScalar0dTensorFunctorIdLi4ELi2ELi3EEEJSt10multipliesIdEdEEEvT_T0_DpT1_,comdat
.Lfunc_end16:
	.size	_ZN2at6native12_GLOBAL__N_125multi_tensor_apply_kernelINS1_18TensorListMetadataILi4EEENS1_32PointwiseOpScalar0dTensorFunctorIdLi4ELi2ELi3EEEJSt10multipliesIdEdEEEvT_T0_DpT1_, .Lfunc_end16-_ZN2at6native12_GLOBAL__N_125multi_tensor_apply_kernelINS1_18TensorListMetadataILi4EEENS1_32PointwiseOpScalar0dTensorFunctorIdLi4ELi2ELi3EEEJSt10multipliesIdEdEEEvT_T0_DpT1_
                                        ; -- End function
	.section	.AMDGPU.csdata,"",@progbits
; Kernel info:
; codeLenInByte = 1836
; NumSgprs: 41
; NumVgprs: 52
; NumAgprs: 0
; TotalNumVgprs: 52
; ScratchSize: 0
; MemoryBound: 0
; FloatMode: 240
; IeeeMode: 1
; LDSByteSize: 0 bytes/workgroup (compile time only)
; SGPRBlocks: 5
; VGPRBlocks: 6
; NumSGPRsForWavesPerEU: 41
; NumVGPRsForWavesPerEU: 52
; AccumOffset: 52
; Occupancy: 8
; WaveLimiterHint : 0
; COMPUTE_PGM_RSRC2:SCRATCH_EN: 0
; COMPUTE_PGM_RSRC2:USER_SGPR: 6
; COMPUTE_PGM_RSRC2:TRAP_HANDLER: 0
; COMPUTE_PGM_RSRC2:TGID_X_EN: 1
; COMPUTE_PGM_RSRC2:TGID_Y_EN: 0
; COMPUTE_PGM_RSRC2:TGID_Z_EN: 0
; COMPUTE_PGM_RSRC2:TIDIG_COMP_CNT: 0
; COMPUTE_PGM_RSRC3_GFX90A:ACCUM_OFFSET: 12
; COMPUTE_PGM_RSRC3_GFX90A:TG_SPLIT: 0
	.section	.text._ZN2at6native12_GLOBAL__N_125multi_tensor_apply_kernelINS1_18TensorListMetadataILi4EEENS1_32PointwiseOpScalar0dTensorFunctorIfLi4ELi2ELi3EEEJSt10multipliesIfEfEEEvT_T0_DpT1_,"axG",@progbits,_ZN2at6native12_GLOBAL__N_125multi_tensor_apply_kernelINS1_18TensorListMetadataILi4EEENS1_32PointwiseOpScalar0dTensorFunctorIfLi4ELi2ELi3EEEJSt10multipliesIfEfEEEvT_T0_DpT1_,comdat
	.globl	_ZN2at6native12_GLOBAL__N_125multi_tensor_apply_kernelINS1_18TensorListMetadataILi4EEENS1_32PointwiseOpScalar0dTensorFunctorIfLi4ELi2ELi3EEEJSt10multipliesIfEfEEEvT_T0_DpT1_ ; -- Begin function _ZN2at6native12_GLOBAL__N_125multi_tensor_apply_kernelINS1_18TensorListMetadataILi4EEENS1_32PointwiseOpScalar0dTensorFunctorIfLi4ELi2ELi3EEEJSt10multipliesIfEfEEEvT_T0_DpT1_
	.p2align	8
	.type	_ZN2at6native12_GLOBAL__N_125multi_tensor_apply_kernelINS1_18TensorListMetadataILi4EEENS1_32PointwiseOpScalar0dTensorFunctorIfLi4ELi2ELi3EEEJSt10multipliesIfEfEEEvT_T0_DpT1_,@function
_ZN2at6native12_GLOBAL__N_125multi_tensor_apply_kernelINS1_18TensorListMetadataILi4EEENS1_32PointwiseOpScalar0dTensorFunctorIfLi4ELi2ELi3EEEJSt10multipliesIfEfEEEvT_T0_DpT1_: ; @_ZN2at6native12_GLOBAL__N_125multi_tensor_apply_kernelINS1_18TensorListMetadataILi4EEENS1_32PointwiseOpScalar0dTensorFunctorIfLi4ELi2ELi3EEEJSt10multipliesIfEfEEEvT_T0_DpT1_
; %bb.0:
	v_mov_b32_e32 v1, s6
	global_load_ubyte v1, v1, s[4:5] offset:1440
	s_add_u32 s0, s4, s6
	s_mul_hi_u32 s1, s6, 3
	s_mul_i32 s6, s6, 3
	s_addc_u32 s2, s5, 0
	s_add_u32 s0, s0, s6
	s_addc_u32 s1, s2, s1
	s_load_dword s0, s[0:1], 0x6e0
	s_mov_b32 s3, 0
	s_mov_b32 s9, s3
	;; [unrolled: 1-line block ×3, first 2 shown]
	s_waitcnt lgkmcnt(0)
	s_ashr_i32 s1, s0, 31
	s_lshl_b64 s[6:7], s[0:1], 18
	s_waitcnt vmcnt(0)
	v_readfirstlane_b32 s2, v1
	s_lshl_b32 s2, s2, 3
	s_load_dwordx2 s[16:17], s[4:5], s2 offset:0x0
	s_load_dwordx2 s[12:13], s[4:5], s2 offset:0x120
	s_load_dword s24, s[4:5], 0xbec
	s_load_dwordx2 s[20:21], s[4:5], s2 offset:0x480
	s_load_dwordx2 s[18:19], s[4:5], s2 offset:0x240
	;; [unrolled: 1-line block ×3, first 2 shown]
	s_waitcnt lgkmcnt(0)
	s_add_u32 s26, s16, s6
	s_addc_u32 s27, s17, s7
	s_add_u32 s8, s12, s6
	s_and_b32 s2, s26, 15
	s_and_b32 s8, s8, 15
	s_cmp_lg_u64 s[8:9], 0
	s_cselect_b64 s[8:9], -1, 0
	s_add_u32 s28, s18, s6
	s_addc_u32 s29, s19, s7
	s_add_u32 s30, s14, s6
	s_addc_u32 s31, s15, s7
	s_or_b32 s10, s30, s28
	s_and_b32 s10, s10, 15
	s_cmp_lg_u32 s10, 0
	s_load_dword s25, s[12:13], 0x0
	s_cselect_b64 s[12:13], -1, 0
	s_lshl_b64 s[0:1], s[0:1], 16
	s_or_b64 s[12:13], s[12:13], s[8:9]
	s_sub_u32 s8, s20, s0
	s_subb_u32 s9, s21, s1
	s_and_b32 s10, s20, 3
	s_or_b64 s[0:1], s[2:3], s[10:11]
	s_cmp_lg_u64 s[0:1], 0
	s_cselect_b64 s[0:1], -1, 0
	s_or_b64 s[0:1], s[12:13], s[0:1]
	s_andn2_b64 vcc, exec, s[0:1]
	s_mov_b64 s[0:1], -1
	s_cbranch_vccz .LBB17_21
; %bb.1:
	v_mov_b32_e32 v13, 0
	v_lshlrev_b32_e32 v12, 2, v0
	v_cmp_gt_i64_e32 vcc, s[8:9], v[12:13]
	s_and_saveexec_b64 s[10:11], vcc
	s_cbranch_execz .LBB17_20
; %bb.2:
	s_load_dword s0, s[4:5], 0xbfc
	v_cmp_neq_f32_e64 s[20:21], s24, 1.0
	v_cndmask_b32_e64 v1, 0, 1, s[20:21]
	v_lshlrev_b32_e32 v14, 4, v0
	s_mov_b64 s[12:13], 0
	s_waitcnt lgkmcnt(0)
	s_and_b32 s0, s0, 0xffff
	v_add_lshl_u32 v12, v0, s0, 2
	s_lshl_b32 s33, s0, 2
	s_lshl_b32 s34, s0, 4
	v_cmp_ne_u32_e64 s[0:1], 1, v1
	s_mov_b64 s[22:23], 0xffff
	v_mov_b32_e32 v1, s3
	s_branch .LBB17_4
.LBB17_3:                               ;   in Loop: Header=BB17_4 Depth=1
	s_waitcnt vmcnt(1)
	v_mov_b32_e32 v3, s31
	v_add_co_u32_e32 v2, vcc, s30, v14
	v_addc_co_u32_e32 v3, vcc, 0, v3, vcc
	v_cmp_le_i64_e32 vcc, s[8:9], v[12:13]
	v_cmp_lt_u64_e64 s[2:3], s[22:23], v[12:13]
	s_or_b64 s[2:3], vcc, s[2:3]
	s_add_u32 s26, s26, s34
	s_addc_u32 s27, s27, 0
	s_add_u32 s30, s30, s34
	s_addc_u32 s31, s31, 0
	;; [unrolled: 2-line block ×3, first 2 shown]
	s_and_b64 s[2:3], exec, s[2:3]
	v_add_co_u32_e32 v12, vcc, s33, v12
	s_or_b64 s[12:13], s[2:3], s[12:13]
	v_addc_co_u32_e32 v13, vcc, v13, v1, vcc
	s_waitcnt vmcnt(0)
	global_store_dwordx4 v[2:3], v[6:9], off
	s_andn2_b64 exec, exec, s[12:13]
	s_cbranch_execz .LBB17_20
.LBB17_4:                               ; =>This Inner Loop Header: Depth=1
	v_mov_b32_e32 v3, s27
	v_add_co_u32_e32 v2, vcc, s26, v14
	v_addc_co_u32_e32 v3, vcc, 0, v3, vcc
	v_mov_b32_e32 v7, s29
	v_add_co_u32_e32 v6, vcc, s28, v14
	v_addc_co_u32_e32 v7, vcc, 0, v7, vcc
	global_load_dwordx4 v[2:5], v[2:3], off
	s_and_b64 vcc, exec, s[20:21]
	global_load_dwordx4 v[8:11], v[6:7], off
	s_cbranch_vccz .LBB17_15
; %bb.5:                                ;   in Loop: Header=BB17_4 Depth=1
	s_waitcnt vmcnt(0)
	v_mul_f32_e32 v6, s25, v8
	v_fma_f32 v6, s24, v6, v2
	s_cbranch_execnz .LBB17_7
.LBB17_6:                               ;   in Loop: Header=BB17_4 Depth=1
	s_waitcnt vmcnt(0)
	v_fma_f32 v6, s25, v8, v2
.LBB17_7:                               ;   in Loop: Header=BB17_4 Depth=1
	s_and_b64 vcc, exec, s[0:1]
	s_cbranch_vccnz .LBB17_16
; %bb.8:                                ;   in Loop: Header=BB17_4 Depth=1
	s_waitcnt vmcnt(0)
	v_mul_f32_e32 v2, s25, v9
	v_fma_f32 v7, s24, v2, v3
	s_cbranch_execnz .LBB17_10
.LBB17_9:                               ;   in Loop: Header=BB17_4 Depth=1
	s_waitcnt vmcnt(0)
	v_fma_f32 v7, s25, v9, v3
.LBB17_10:                              ;   in Loop: Header=BB17_4 Depth=1
	s_and_b64 vcc, exec, s[0:1]
	s_cbranch_vccnz .LBB17_17
; %bb.11:                               ;   in Loop: Header=BB17_4 Depth=1
	s_waitcnt vmcnt(0)
	v_mul_f32_e32 v2, s25, v10
	v_fma_f32 v8, s24, v2, v4
	s_cbranch_execnz .LBB17_13
.LBB17_12:                              ;   in Loop: Header=BB17_4 Depth=1
	s_waitcnt vmcnt(0)
	v_fma_f32 v8, s25, v10, v4
.LBB17_13:                              ;   in Loop: Header=BB17_4 Depth=1
	s_and_b64 vcc, exec, s[0:1]
	s_cbranch_vccnz .LBB17_18
; %bb.14:                               ;   in Loop: Header=BB17_4 Depth=1
	s_waitcnt vmcnt(0)
	v_mul_f32_e32 v2, s25, v11
	v_fma_f32 v9, s24, v2, v5
	s_cbranch_execnz .LBB17_3
	s_branch .LBB17_19
.LBB17_15:                              ;   in Loop: Header=BB17_4 Depth=1
                                        ; implicit-def: $vgpr6
	s_branch .LBB17_6
.LBB17_16:                              ;   in Loop: Header=BB17_4 Depth=1
	s_branch .LBB17_9
.LBB17_17:                              ;   in Loop: Header=BB17_4 Depth=1
	s_branch .LBB17_12
.LBB17_18:                              ;   in Loop: Header=BB17_4 Depth=1
.LBB17_19:                              ;   in Loop: Header=BB17_4 Depth=1
	s_waitcnt vmcnt(0)
	v_fmac_f32_e32 v5, s25, v11
	v_mov_b32_e32 v9, v5
	s_branch .LBB17_3
.LBB17_20:
	s_or_b64 exec, exec, s[10:11]
	s_mov_b64 s[0:1], 0
.LBB17_21:
	s_andn2_b64 vcc, exec, s[0:1]
	s_cbranch_vccnz .LBB17_57
; %bb.22:
	v_cmp_lt_i64_e64 s[0:1], s[8:9], 1
	s_and_b64 vcc, exec, s[0:1]
	s_cbranch_vccnz .LBB17_57
; %bb.23:
	s_load_dword s0, s[4:5], 0xbfc
	v_mov_b32_e32 v2, 0x10000
	v_mov_b32_e32 v3, 0
	v_cmp_lt_u64_e32 vcc, s[8:9], v[2:3]
	v_lshlrev_b32_e32 v14, 2, v0
	s_waitcnt lgkmcnt(0)
	s_and_b32 s21, s0, 0xffff
	s_and_b64 s[0:1], vcc, exec
	v_mov_b32_e32 v21, s17
	v_add_co_u32_e32 v2, vcc, s16, v14
	v_addc_co_u32_e32 v3, vcc, 0, v21, vcc
	v_mov_b32_e32 v23, s19
	v_add_co_u32_e32 v4, vcc, s18, v14
	v_mov_b32_e32 v1, 0
	v_addc_co_u32_e32 v5, vcc, 0, v23, vcc
	v_mov_b32_e32 v15, v1
	v_mov_b32_e32 v25, s15
	v_add_co_u32_e32 v6, vcc, s14, v14
	v_addc_co_u32_e32 v7, vcc, 0, v25, vcc
	v_mad_u64_u32 v[12:13], s[0:1], s21, 12, v[14:15]
	v_add_co_u32_e32 v8, vcc, s16, v12
	v_addc_co_u32_e32 v9, vcc, v21, v13, vcc
	v_add_co_u32_e32 v10, vcc, s18, v12
	v_addc_co_u32_e32 v11, vcc, v23, v13, vcc
	v_add_co_u32_e32 v12, vcc, s14, v12
	s_cselect_b32 s11, s9, 0
	s_cselect_b32 s10, s8, 0x10000
	v_addc_co_u32_e32 v13, vcc, v25, v13, vcc
	s_lshl_b32 s0, s21, 3
	v_add_co_u32_e32 v18, vcc, s0, v14
	v_addc_co_u32_e64 v19, s[0:1], 0, 0, vcc
	v_add_co_u32_e32 v14, vcc, s16, v18
	v_addc_co_u32_e32 v15, vcc, v21, v19, vcc
	v_add_co_u32_e32 v16, vcc, s18, v18
	v_addc_co_u32_e32 v17, vcc, v23, v19, vcc
	;; [unrolled: 2-line block ×3, first 2 shown]
	v_add_lshl_u32 v24, v0, s21, 2
	v_add_co_u32_e32 v20, vcc, s16, v24
	v_addc_co_u32_e32 v21, vcc, 0, v21, vcc
	v_add_co_u32_e32 v22, vcc, s18, v24
	s_mov_b32 s20, 0
	v_addc_co_u32_e32 v23, vcc, 0, v23, vcc
	s_lshl_b32 s12, s21, 2
	s_mov_b32 s13, s20
	v_add_co_u32_e32 v24, vcc, s14, v24
	v_cmp_neq_f32_e64 s[2:3], s24, 1.0
	s_mov_b64 s[4:5], 0x10000
	s_lshl_b32 s22, s21, 1
	s_mov_b32 s23, s20
	s_mul_i32 s26, s21, 3
	s_mov_b32 s27, s20
	s_lshl_b32 s28, s21, 4
	s_mov_b32 s29, s20
	v_addc_co_u32_e32 v25, vcc, 0, v25, vcc
	s_mov_b64 s[14:15], s[12:13]
	s_branch .LBB17_25
.LBB17_24:                              ;   in Loop: Header=BB17_25 Depth=1
	s_or_b64 exec, exec, s[0:1]
	v_pk_mov_b32 v[26:27], s[8:9], s[8:9] op_sel:[0,1]
	v_cmp_ge_i64_e32 vcc, s[14:15], v[26:27]
	v_mov_b32_e32 v26, 0xffff
	v_mov_b32_e32 v27, 0
	v_cmp_gt_u64_e64 s[0:1], s[14:15], v[26:27]
	s_or_b64 s[0:1], vcc, s[0:1]
	v_mov_b32_e32 v26, s29
	v_add_co_u32_e32 v2, vcc, s28, v2
	v_addc_co_u32_e32 v3, vcc, v3, v26, vcc
	v_add_co_u32_e32 v4, vcc, s28, v4
	v_addc_co_u32_e32 v5, vcc, v5, v26, vcc
	;; [unrolled: 2-line block ×3, first 2 shown]
	v_mov_b32_e32 v27, s13
	v_add_co_u32_e32 v0, vcc, s12, v0
	v_addc_co_u32_e32 v1, vcc, v1, v27, vcc
	v_add_co_u32_e32 v8, vcc, s28, v8
	v_addc_co_u32_e32 v9, vcc, v9, v26, vcc
	;; [unrolled: 2-line block ×9, first 2 shown]
	v_add_co_u32_e32 v24, vcc, s28, v24
	s_add_u32 s14, s14, s12
	v_addc_co_u32_e32 v25, vcc, v25, v26, vcc
	s_addc_u32 s15, s15, 0
	s_and_b64 vcc, exec, s[0:1]
	s_cbranch_vccnz .LBB17_57
.LBB17_25:                              ; =>This Inner Loop Header: Depth=1
	v_cmp_gt_i64_e32 vcc, s[8:9], v[0:1]
	v_cmp_gt_u64_e64 s[0:1], s[4:5], v[0:1]
	s_and_b64 s[16:17], vcc, s[0:1]
	s_waitcnt vmcnt(0)
	v_mov_b32_e32 v34, 0
	v_mov_b32_e32 v33, 0
	s_and_saveexec_b64 s[0:1], s[16:17]
	s_cbranch_execz .LBB17_27
; %bb.26:                               ;   in Loop: Header=BB17_25 Depth=1
	v_mov_b32_e32 v29, s7
	v_add_co_u32_e32 v26, vcc, s6, v2
	v_addc_co_u32_e32 v27, vcc, v3, v29, vcc
	v_add_co_u32_e32 v28, vcc, s6, v4
	v_addc_co_u32_e32 v29, vcc, v5, v29, vcc
	global_load_dword v33, v[26:27], off
	global_load_dword v34, v[28:29], off
.LBB17_27:                              ;   in Loop: Header=BB17_25 Depth=1
	s_or_b64 exec, exec, s[0:1]
	v_mov_b32_e32 v27, s20
	v_add_co_u32_e32 v26, vcc, s21, v0
	v_addc_co_u32_e32 v27, vcc, v27, v1, vcc
	v_cmp_gt_i64_e32 vcc, s[8:9], v[26:27]
	v_cmp_gt_u64_e64 s[0:1], s[4:5], v[26:27]
	s_and_b64 s[16:17], vcc, s[0:1]
	v_mov_b32_e32 v32, 0
	v_mov_b32_e32 v36, 0
	;; [unrolled: 1-line block ×3, first 2 shown]
	s_and_saveexec_b64 s[0:1], s[16:17]
	s_cbranch_execz .LBB17_29
; %bb.28:                               ;   in Loop: Header=BB17_25 Depth=1
	v_mov_b32_e32 v31, s7
	v_add_co_u32_e32 v28, vcc, s6, v20
	v_addc_co_u32_e32 v29, vcc, v21, v31, vcc
	v_add_co_u32_e32 v30, vcc, s6, v22
	v_addc_co_u32_e32 v31, vcc, v23, v31, vcc
	global_load_dword v35, v[28:29], off
	global_load_dword v36, v[30:31], off
.LBB17_29:                              ;   in Loop: Header=BB17_25 Depth=1
	s_or_b64 exec, exec, s[0:1]
	v_mov_b32_e32 v29, s23
	v_add_co_u32_e32 v28, vcc, s22, v0
	v_addc_co_u32_e32 v29, vcc, v29, v1, vcc
	v_cmp_gt_i64_e32 vcc, s[8:9], v[28:29]
	v_cmp_gt_u64_e64 s[0:1], s[4:5], v[28:29]
	s_and_b64 s[16:17], vcc, s[0:1]
	v_mov_b32_e32 v37, 0
	s_and_saveexec_b64 s[0:1], s[16:17]
	s_cbranch_execz .LBB17_31
; %bb.30:                               ;   in Loop: Header=BB17_25 Depth=1
	v_mov_b32_e32 v32, s7
	v_add_co_u32_e32 v30, vcc, s6, v14
	v_addc_co_u32_e32 v31, vcc, v15, v32, vcc
	v_add_co_u32_e32 v38, vcc, s6, v16
	v_addc_co_u32_e32 v39, vcc, v17, v32, vcc
	global_load_dword v37, v[30:31], off
	global_load_dword v32, v[38:39], off
.LBB17_31:                              ;   in Loop: Header=BB17_25 Depth=1
	s_or_b64 exec, exec, s[0:1]
	v_mov_b32_e32 v31, s27
	v_add_co_u32_e32 v30, vcc, s26, v0
	v_addc_co_u32_e32 v31, vcc, v31, v1, vcc
	v_cmp_gt_i64_e32 vcc, s[8:9], v[30:31]
	v_cmp_gt_u64_e64 s[0:1], s[4:5], v[30:31]
	s_and_b64 s[16:17], vcc, s[0:1]
	v_mov_b32_e32 v38, 0
	v_mov_b32_e32 v39, 0
	s_and_saveexec_b64 s[0:1], s[16:17]
	s_cbranch_execz .LBB17_33
; %bb.32:                               ;   in Loop: Header=BB17_25 Depth=1
	v_mov_b32_e32 v38, s7
	v_add_co_u32_e32 v40, vcc, s6, v8
	v_addc_co_u32_e32 v41, vcc, v9, v38, vcc
	v_add_co_u32_e32 v42, vcc, s6, v10
	v_addc_co_u32_e32 v43, vcc, v11, v38, vcc
	global_load_dword v39, v[40:41], off
	global_load_dword v38, v[42:43], off
.LBB17_33:                              ;   in Loop: Header=BB17_25 Depth=1
	s_or_b64 exec, exec, s[0:1]
	s_and_b64 vcc, exec, s[2:3]
	s_cbranch_vccz .LBB17_53
; %bb.34:                               ;   in Loop: Header=BB17_25 Depth=1
	s_waitcnt vmcnt(0)
	v_mul_f32_e32 v40, s25, v34
	v_fma_f32 v40, s24, v40, v33
	s_cbranch_execnz .LBB17_36
.LBB17_35:                              ;   in Loop: Header=BB17_25 Depth=1
	s_waitcnt vmcnt(0)
	v_fmac_f32_e32 v33, s25, v34
	v_mov_b32_e32 v40, v33
.LBB17_36:                              ;   in Loop: Header=BB17_25 Depth=1
	s_waitcnt vmcnt(1)
	v_cndmask_b32_e64 v33, 0, 1, s[2:3]
	v_cmp_ne_u32_e64 s[0:1], 1, v33
	s_andn2_b64 vcc, exec, s[2:3]
	s_cbranch_vccnz .LBB17_54
; %bb.37:                               ;   in Loop: Header=BB17_25 Depth=1
	s_waitcnt vmcnt(0)
	v_mul_f32_e32 v33, s25, v36
	v_fma_f32 v33, s24, v33, v35
	s_cbranch_execnz .LBB17_39
.LBB17_38:                              ;   in Loop: Header=BB17_25 Depth=1
	s_waitcnt vmcnt(0)
	v_fmac_f32_e32 v35, s25, v36
	v_mov_b32_e32 v33, v35
.LBB17_39:                              ;   in Loop: Header=BB17_25 Depth=1
	s_and_b64 vcc, exec, s[0:1]
	s_cbranch_vccnz .LBB17_55
; %bb.40:                               ;   in Loop: Header=BB17_25 Depth=1
	s_waitcnt vmcnt(0)
	v_mul_f32_e32 v34, s25, v32
	v_fma_f32 v34, s24, v34, v37
	s_cbranch_execnz .LBB17_42
.LBB17_41:                              ;   in Loop: Header=BB17_25 Depth=1
	s_waitcnt vmcnt(0)
	v_fmac_f32_e32 v37, s25, v32
	v_mov_b32_e32 v34, v37
.LBB17_42:                              ;   in Loop: Header=BB17_25 Depth=1
	s_and_b64 vcc, exec, s[0:1]
	s_cbranch_vccnz .LBB17_56
; %bb.43:                               ;   in Loop: Header=BB17_25 Depth=1
	s_waitcnt vmcnt(0)
	v_mul_f32_e32 v32, s25, v38
	v_fma_f32 v32, s24, v32, v39
	s_cbranch_execnz .LBB17_45
.LBB17_44:                              ;   in Loop: Header=BB17_25 Depth=1
	s_waitcnt vmcnt(0)
	v_fmac_f32_e32 v39, s25, v38
	v_mov_b32_e32 v32, v39
.LBB17_45:                              ;   in Loop: Header=BB17_25 Depth=1
	v_cmp_gt_u64_e32 vcc, s[10:11], v[0:1]
	s_and_saveexec_b64 s[0:1], vcc
	s_xor_b64 s[0:1], exec, s[0:1]
	s_cbranch_execz .LBB17_47
; %bb.46:                               ;   in Loop: Header=BB17_25 Depth=1
	v_mov_b32_e32 v35, s7
	s_waitcnt vmcnt(0)
	v_add_co_u32_e32 v36, vcc, s6, v6
	v_addc_co_u32_e32 v37, vcc, v7, v35, vcc
	global_store_dword v[36:37], v40, off
.LBB17_47:                              ;   in Loop: Header=BB17_25 Depth=1
	s_or_b64 exec, exec, s[0:1]
	v_cmp_gt_u64_e32 vcc, s[10:11], v[26:27]
	s_and_saveexec_b64 s[0:1], vcc
	s_cbranch_execnz .LBB17_50
; %bb.48:                               ;   in Loop: Header=BB17_25 Depth=1
	s_or_b64 exec, exec, s[0:1]
	v_cmp_gt_u64_e32 vcc, s[10:11], v[28:29]
	s_and_saveexec_b64 s[0:1], vcc
	s_cbranch_execnz .LBB17_51
.LBB17_49:                              ;   in Loop: Header=BB17_25 Depth=1
	s_or_b64 exec, exec, s[0:1]
	v_cmp_gt_u64_e32 vcc, s[10:11], v[30:31]
	s_and_saveexec_b64 s[0:1], vcc
	s_cbranch_execz .LBB17_24
	s_branch .LBB17_52
.LBB17_50:                              ;   in Loop: Header=BB17_25 Depth=1
	v_mov_b32_e32 v27, s7
	v_add_co_u32_e32 v26, vcc, s6, v24
	v_addc_co_u32_e32 v27, vcc, v25, v27, vcc
	global_store_dword v[26:27], v33, off
	s_or_b64 exec, exec, s[0:1]
	v_cmp_gt_u64_e32 vcc, s[10:11], v[28:29]
	s_and_saveexec_b64 s[0:1], vcc
	s_cbranch_execz .LBB17_49
.LBB17_51:                              ;   in Loop: Header=BB17_25 Depth=1
	v_mov_b32_e32 v27, s7
	v_add_co_u32_e32 v26, vcc, s6, v18
	v_addc_co_u32_e32 v27, vcc, v19, v27, vcc
	s_waitcnt vmcnt(0)
	global_store_dword v[26:27], v34, off
	s_or_b64 exec, exec, s[0:1]
	v_cmp_gt_u64_e32 vcc, s[10:11], v[30:31]
	s_and_saveexec_b64 s[0:1], vcc
	s_cbranch_execz .LBB17_24
.LBB17_52:                              ;   in Loop: Header=BB17_25 Depth=1
	v_mov_b32_e32 v27, s7
	v_add_co_u32_e32 v26, vcc, s6, v12
	v_addc_co_u32_e32 v27, vcc, v13, v27, vcc
	s_waitcnt vmcnt(0)
	global_store_dword v[26:27], v32, off
	s_branch .LBB17_24
.LBB17_53:                              ;   in Loop: Header=BB17_25 Depth=1
                                        ; implicit-def: $vgpr40
	s_branch .LBB17_35
.LBB17_54:                              ;   in Loop: Header=BB17_25 Depth=1
                                        ; implicit-def: $vgpr33
	s_branch .LBB17_38
.LBB17_55:                              ;   in Loop: Header=BB17_25 Depth=1
                                        ; implicit-def: $vgpr34
	s_branch .LBB17_41
.LBB17_56:                              ;   in Loop: Header=BB17_25 Depth=1
                                        ; implicit-def: $vgpr32
	s_branch .LBB17_44
.LBB17_57:
	s_endpgm
	.section	.rodata,"a",@progbits
	.p2align	6, 0x0
	.amdhsa_kernel _ZN2at6native12_GLOBAL__N_125multi_tensor_apply_kernelINS1_18TensorListMetadataILi4EEENS1_32PointwiseOpScalar0dTensorFunctorIfLi4ELi2ELi3EEEJSt10multipliesIfEfEEEvT_T0_DpT1_
		.amdhsa_group_segment_fixed_size 0
		.amdhsa_private_segment_fixed_size 0
		.amdhsa_kernarg_size 3312
		.amdhsa_user_sgpr_count 6
		.amdhsa_user_sgpr_private_segment_buffer 1
		.amdhsa_user_sgpr_dispatch_ptr 0
		.amdhsa_user_sgpr_queue_ptr 0
		.amdhsa_user_sgpr_kernarg_segment_ptr 1
		.amdhsa_user_sgpr_dispatch_id 0
		.amdhsa_user_sgpr_flat_scratch_init 0
		.amdhsa_user_sgpr_kernarg_preload_length 0
		.amdhsa_user_sgpr_kernarg_preload_offset 0
		.amdhsa_user_sgpr_private_segment_size 0
		.amdhsa_uses_dynamic_stack 0
		.amdhsa_system_sgpr_private_segment_wavefront_offset 0
		.amdhsa_system_sgpr_workgroup_id_x 1
		.amdhsa_system_sgpr_workgroup_id_y 0
		.amdhsa_system_sgpr_workgroup_id_z 0
		.amdhsa_system_sgpr_workgroup_info 0
		.amdhsa_system_vgpr_workitem_id 0
		.amdhsa_next_free_vgpr 44
		.amdhsa_next_free_sgpr 35
		.amdhsa_accum_offset 44
		.amdhsa_reserve_vcc 1
		.amdhsa_reserve_flat_scratch 0
		.amdhsa_float_round_mode_32 0
		.amdhsa_float_round_mode_16_64 0
		.amdhsa_float_denorm_mode_32 3
		.amdhsa_float_denorm_mode_16_64 3
		.amdhsa_dx10_clamp 1
		.amdhsa_ieee_mode 1
		.amdhsa_fp16_overflow 0
		.amdhsa_tg_split 0
		.amdhsa_exception_fp_ieee_invalid_op 0
		.amdhsa_exception_fp_denorm_src 0
		.amdhsa_exception_fp_ieee_div_zero 0
		.amdhsa_exception_fp_ieee_overflow 0
		.amdhsa_exception_fp_ieee_underflow 0
		.amdhsa_exception_fp_ieee_inexact 0
		.amdhsa_exception_int_div_zero 0
	.end_amdhsa_kernel
	.section	.text._ZN2at6native12_GLOBAL__N_125multi_tensor_apply_kernelINS1_18TensorListMetadataILi4EEENS1_32PointwiseOpScalar0dTensorFunctorIfLi4ELi2ELi3EEEJSt10multipliesIfEfEEEvT_T0_DpT1_,"axG",@progbits,_ZN2at6native12_GLOBAL__N_125multi_tensor_apply_kernelINS1_18TensorListMetadataILi4EEENS1_32PointwiseOpScalar0dTensorFunctorIfLi4ELi2ELi3EEEJSt10multipliesIfEfEEEvT_T0_DpT1_,comdat
.Lfunc_end17:
	.size	_ZN2at6native12_GLOBAL__N_125multi_tensor_apply_kernelINS1_18TensorListMetadataILi4EEENS1_32PointwiseOpScalar0dTensorFunctorIfLi4ELi2ELi3EEEJSt10multipliesIfEfEEEvT_T0_DpT1_, .Lfunc_end17-_ZN2at6native12_GLOBAL__N_125multi_tensor_apply_kernelINS1_18TensorListMetadataILi4EEENS1_32PointwiseOpScalar0dTensorFunctorIfLi4ELi2ELi3EEEJSt10multipliesIfEfEEEvT_T0_DpT1_
                                        ; -- End function
	.section	.AMDGPU.csdata,"",@progbits
; Kernel info:
; codeLenInByte = 1852
; NumSgprs: 39
; NumVgprs: 44
; NumAgprs: 0
; TotalNumVgprs: 44
; ScratchSize: 0
; MemoryBound: 1
; FloatMode: 240
; IeeeMode: 1
; LDSByteSize: 0 bytes/workgroup (compile time only)
; SGPRBlocks: 4
; VGPRBlocks: 5
; NumSGPRsForWavesPerEU: 39
; NumVGPRsForWavesPerEU: 44
; AccumOffset: 44
; Occupancy: 8
; WaveLimiterHint : 0
; COMPUTE_PGM_RSRC2:SCRATCH_EN: 0
; COMPUTE_PGM_RSRC2:USER_SGPR: 6
; COMPUTE_PGM_RSRC2:TRAP_HANDLER: 0
; COMPUTE_PGM_RSRC2:TGID_X_EN: 1
; COMPUTE_PGM_RSRC2:TGID_Y_EN: 0
; COMPUTE_PGM_RSRC2:TGID_Z_EN: 0
; COMPUTE_PGM_RSRC2:TIDIG_COMP_CNT: 0
; COMPUTE_PGM_RSRC3_GFX90A:ACCUM_OFFSET: 10
; COMPUTE_PGM_RSRC3_GFX90A:TG_SPLIT: 0
	.section	.text._ZN2at6native12_GLOBAL__N_125multi_tensor_apply_kernelINS1_18TensorListMetadataILi4EEENS1_32PointwiseOpScalar0dTensorFunctorIN3c107complexIdEELi4ELi2ELi3EEEJSt10multipliesIS8_ES8_EEEvT_T0_DpT1_,"axG",@progbits,_ZN2at6native12_GLOBAL__N_125multi_tensor_apply_kernelINS1_18TensorListMetadataILi4EEENS1_32PointwiseOpScalar0dTensorFunctorIN3c107complexIdEELi4ELi2ELi3EEEJSt10multipliesIS8_ES8_EEEvT_T0_DpT1_,comdat
	.globl	_ZN2at6native12_GLOBAL__N_125multi_tensor_apply_kernelINS1_18TensorListMetadataILi4EEENS1_32PointwiseOpScalar0dTensorFunctorIN3c107complexIdEELi4ELi2ELi3EEEJSt10multipliesIS8_ES8_EEEvT_T0_DpT1_ ; -- Begin function _ZN2at6native12_GLOBAL__N_125multi_tensor_apply_kernelINS1_18TensorListMetadataILi4EEENS1_32PointwiseOpScalar0dTensorFunctorIN3c107complexIdEELi4ELi2ELi3EEEJSt10multipliesIS8_ES8_EEEvT_T0_DpT1_
	.p2align	8
	.type	_ZN2at6native12_GLOBAL__N_125multi_tensor_apply_kernelINS1_18TensorListMetadataILi4EEENS1_32PointwiseOpScalar0dTensorFunctorIN3c107complexIdEELi4ELi2ELi3EEEJSt10multipliesIS8_ES8_EEEvT_T0_DpT1_,@function
_ZN2at6native12_GLOBAL__N_125multi_tensor_apply_kernelINS1_18TensorListMetadataILi4EEENS1_32PointwiseOpScalar0dTensorFunctorIN3c107complexIdEELi4ELi2ELi3EEEJSt10multipliesIS8_ES8_EEEvT_T0_DpT1_: ; @_ZN2at6native12_GLOBAL__N_125multi_tensor_apply_kernelINS1_18TensorListMetadataILi4EEENS1_32PointwiseOpScalar0dTensorFunctorIN3c107complexIdEELi4ELi2ELi3EEEJSt10multipliesIS8_ES8_EEEvT_T0_DpT1_
; %bb.0:
	v_mov_b32_e32 v1, s6
	global_load_ubyte v1, v1, s[4:5] offset:1440
	s_add_u32 s0, s4, s6
	s_mul_hi_u32 s1, s6, 3
	s_mul_i32 s6, s6, 3
	s_addc_u32 s2, s5, 0
	s_add_u32 s0, s0, s6
	s_addc_u32 s1, s2, s1
	s_load_dword s2, s[0:1], 0x6e0
	s_mov_b32 s1, 0
	s_mov_b32 s7, s1
	s_waitcnt lgkmcnt(0)
	s_ashr_i32 s3, s2, 31
	s_lshl_b64 s[16:17], s[2:3], 20
	s_waitcnt vmcnt(0)
	v_readfirstlane_b32 s0, v1
	s_lshl_b32 s0, s0, 3
	s_load_dwordx2 s[24:25], s[4:5], s0 offset:0x0
	s_load_dwordx2 s[18:19], s[4:5], s0 offset:0x120
	s_load_dwordx4 s[8:11], s[4:5], 0xbf0
	s_load_dwordx2 s[20:21], s[4:5], s0 offset:0x480
	s_load_dwordx2 s[22:23], s[4:5], s0 offset:0x240
	s_load_dwordx2 s[26:27], s[4:5], s0 offset:0x360
	s_waitcnt lgkmcnt(0)
	s_add_u32 s33, s24, s16
	s_addc_u32 s34, s25, s17
	s_add_u32 s0, s18, s16
	s_and_b32 s0, s0, 63
	s_add_u32 s35, s22, s16
	s_addc_u32 s36, s23, s17
	s_add_u32 s37, s26, s16
	s_addc_u32 s38, s27, s17
	s_or_b32 s6, s37, s35
	s_and_b32 s6, s6, 63
	s_cmp_lg_u32 s6, 0
	s_load_dwordx4 s[12:15], s[18:19], 0x0
	s_cselect_b64 s[18:19], -1, 0
	s_lshl_b64 s[2:3], s[2:3], 16
	s_and_b32 s6, s33, 63
	s_cmp_lg_u64 s[0:1], 0
	s_cselect_b64 s[28:29], -1, 0
	s_or_b64 s[28:29], s[18:19], s[28:29]
	s_sub_u32 s18, s20, s2
	s_subb_u32 s19, s21, s3
	s_and_b32 s0, s20, 3
	s_or_b64 s[2:3], s[6:7], s[0:1]
	s_cmp_lg_u64 s[2:3], 0
	s_cselect_b64 s[2:3], -1, 0
	s_or_b64 s[2:3], s[28:29], s[2:3]
	s_andn2_b64 vcc, exec, s[2:3]
	s_mov_b64 s[2:3], -1
	s_cbranch_vccz .LBB18_5
; %bb.1:
	v_mov_b32_e32 v3, 0
	v_lshlrev_b32_e32 v2, 2, v0
	v_cmp_gt_i64_e32 vcc, s[18:19], v[2:3]
	s_and_saveexec_b64 s[20:21], vcc
	s_cbranch_execz .LBB18_4
; %bb.2:
	s_load_dword s0, s[4:5], 0xc0c
	v_cmp_eq_f64_e64 s[2:3], s[8:9], 1.0
	v_cmp_eq_f64_e64 s[6:7], s[10:11], 0
	s_mov_b64 s[28:29], 0
	s_and_b64 vcc, s[2:3], s[6:7]
	s_waitcnt lgkmcnt(0)
	s_and_b32 s0, s0, 0xffff
	v_add_lshl_u32 v2, v0, s0, 2
	s_lshl_b32 s39, s0, 2
	v_lshlrev_b32_e32 v4, 6, v0
	s_lshl_b32 s40, s0, 6
	s_mov_b64 s[30:31], 0xffff
	v_mov_b32_e32 v1, s1
.LBB18_3:                               ; =>This Inner Loop Header: Depth=1
	v_mov_b32_e32 v6, s36
	v_add_co_u32_e64 v38, s[0:1], s35, v4
	v_mov_b32_e32 v5, s34
	v_add_co_u32_e64 v40, s[2:3], s33, v4
	v_addc_co_u32_e64 v39, s[0:1], 0, v6, s[0:1]
	v_addc_co_u32_e64 v41, s[2:3], 0, v5, s[2:3]
	global_load_dwordx4 v[6:9], v[38:39], off
	global_load_dwordx4 v[10:13], v[38:39], off offset:16
	global_load_dwordx4 v[14:17], v[38:39], off offset:32
	;; [unrolled: 1-line block ×3, first 2 shown]
	global_load_dwordx4 v[22:25], v[40:41], off
	global_load_dwordx4 v[26:29], v[40:41], off offset:16
	global_load_dwordx4 v[30:33], v[40:41], off offset:32
	;; [unrolled: 1-line block ×3, first 2 shown]
	v_cmp_le_i64_e64 s[0:1], s[18:19], v[2:3]
	v_cmp_lt_u64_e64 s[2:3], s[30:31], v[2:3]
	s_or_b64 s[0:1], s[0:1], s[2:3]
	v_add_co_u32_e64 v2, s[6:7], s39, v2
	s_add_u32 s33, s33, s40
	v_addc_co_u32_e64 v3, s[6:7], v3, v1, s[6:7]
	s_addc_u32 s34, s34, 0
	v_add_co_u32_e64 v38, s[6:7], s37, v4
	s_add_u32 s37, s37, s40
	v_mov_b32_e32 v5, s38
	s_addc_u32 s38, s38, 0
	s_add_u32 s35, s35, s40
	s_addc_u32 s36, s36, 0
	s_and_b64 s[0:1], exec, s[0:1]
	v_addc_co_u32_e64 v39, s[6:7], 0, v5, s[6:7]
	s_or_b64 s[28:29], s[0:1], s[28:29]
	s_waitcnt vmcnt(7)
	v_mul_f64 v[40:41], s[14:15], v[8:9]
	v_mul_f64 v[8:9], s[12:13], v[8:9]
	s_waitcnt vmcnt(6)
	v_mul_f64 v[42:43], s[14:15], v[12:13]
	v_mul_f64 v[12:13], s[12:13], v[12:13]
	;; [unrolled: 3-line block ×4, first 2 shown]
	v_fma_f64 v[40:41], s[12:13], v[6:7], -v[40:41]
	v_fmac_f64_e32 v[8:9], s[14:15], v[6:7]
	v_fma_f64 v[6:7], s[12:13], v[10:11], -v[42:43]
	v_fmac_f64_e32 v[12:13], s[14:15], v[10:11]
	;; [unrolled: 2-line block ×4, first 2 shown]
	v_mul_f64 v[18:19], s[10:11], v[8:9]
	v_mul_f64 v[42:43], s[10:11], v[40:41]
	;; [unrolled: 1-line block ×8, first 2 shown]
	v_fma_f64 v[18:19], s[8:9], v[40:41], -v[18:19]
	v_fmac_f64_e32 v[42:43], s[8:9], v[8:9]
	v_fma_f64 v[44:45], s[8:9], v[6:7], -v[44:45]
	v_fmac_f64_e32 v[46:47], s[8:9], v[12:13]
	;; [unrolled: 2-line block ×4, first 2 shown]
	v_cndmask_b32_e32 v19, v19, v41, vcc
	v_cndmask_b32_e32 v18, v18, v40, vcc
	;; [unrolled: 1-line block ×16, first 2 shown]
	s_waitcnt vmcnt(3)
	v_add_f64 v[8:9], v[24:25], v[8:9]
	v_add_f64 v[6:7], v[22:23], v[18:19]
	s_waitcnt vmcnt(2)
	v_add_f64 v[12:13], v[28:29], v[12:13]
	v_add_f64 v[10:11], v[26:27], v[40:41]
	;; [unrolled: 3-line block ×4, first 2 shown]
	global_store_dwordx4 v[38:39], v[6:9], off
	global_store_dwordx4 v[38:39], v[10:13], off offset:16
	global_store_dwordx4 v[38:39], v[14:17], off offset:32
	;; [unrolled: 1-line block ×3, first 2 shown]
	s_andn2_b64 exec, exec, s[28:29]
	s_cbranch_execnz .LBB18_3
.LBB18_4:
	s_or_b64 exec, exec, s[20:21]
	s_mov_b64 s[2:3], 0
.LBB18_5:
	s_andn2_b64 vcc, exec, s[2:3]
	s_cbranch_vccnz .LBB18_25
; %bb.6:
	v_cmp_lt_i64_e64 s[0:1], s[18:19], 1
	s_and_b64 vcc, exec, s[0:1]
	s_cbranch_vccnz .LBB18_25
; %bb.7:
	s_load_dword s4, s[4:5], 0xc0c
	v_mov_b32_e32 v2, 0x10000
	v_cmp_eq_f64_e64 s[0:1], s[8:9], 1.0
	v_cmp_eq_f64_e64 s[2:3], s[10:11], 0
	v_mov_b32_e32 v3, 0
	v_lshlrev_b32_e32 v4, 4, v0
	s_waitcnt lgkmcnt(0)
	s_and_b32 s29, s4, 0xffff
	s_and_b64 s[0:1], s[0:1], s[2:3]
	v_cmp_lt_u64_e32 vcc, s[18:19], v[2:3]
	v_or_b32_e32 v2, 8, v4
	s_and_b64 s[2:3], vcc, exec
	v_mov_b32_e32 v5, s23
	v_add_co_u32_e32 v34, vcc, s22, v2
	v_addc_co_u32_e32 v35, vcc, 0, v5, vcc
	v_add_lshl_u32 v6, v0, s29, 4
	v_mov_b32_e32 v7, s27
	v_add_co_u32_e32 v36, vcc, s26, v6
	v_addc_co_u32_e32 v37, vcc, 0, v7, vcc
	v_mov_b32_e32 v8, s25
	v_add_co_u32_e32 v38, vcc, s24, v2
	v_addc_co_u32_e32 v39, vcc, 0, v8, vcc
	v_add_co_u32_e32 v40, vcc, s24, v6
	v_addc_co_u32_e32 v41, vcc, 0, v8, vcc
	v_add_co_u32_e32 v42, vcc, s26, v2
	v_mov_b32_e32 v1, 0
	v_addc_co_u32_e32 v43, vcc, 0, v7, vcc
	v_mov_b32_e32 v3, v1
	v_add_co_u32_e32 v44, vcc, s22, v6
	v_addc_co_u32_e32 v45, vcc, 0, v5, vcc
	v_mad_u64_u32 v[2:3], s[2:3], s29, 48, v[2:3]
	v_add_co_u32_e32 v46, vcc, s22, v2
	v_addc_co_u32_e32 v47, vcc, v5, v3, vcc
	v_add_co_u32_e32 v48, vcc, s24, v2
	s_cselect_b32 s7, s19, 0
	s_cselect_b32 s6, s18, 0x10000
	v_addc_co_u32_e32 v49, vcc, v8, v3, vcc
	s_lshl_b32 s2, s29, 5
	v_add_co_u32_e32 v4, vcc, s2, v4
	v_addc_co_u32_e64 v5, s[2:3], 0, 0, vcc
	v_add_co_u32_e32 v50, vcc, s26, v4
	v_addc_co_u32_e32 v51, vcc, v7, v5, vcc
	v_add_co_u32_e32 v52, vcc, s26, v2
	v_addc_co_u32_e32 v53, vcc, v7, v3, vcc
	;; [unrolled: 2-line block ×3, first 2 shown]
	v_mov_b32_e32 v2, s23
	v_add_co_u32_e32 v3, vcc, s22, v4
	s_mov_b32 s28, 0
	v_addc_co_u32_e32 v2, vcc, v5, v2, vcc
	s_lshl_b32 s20, s29, 2
	s_mov_b32 s21, s28
	v_add_co_u32_e32 v56, vcc, 8, v3
	s_mov_b64 s[4:5], 0x10000
	s_lshl_b32 s30, s29, 1
	s_mov_b32 s31, s28
	s_mul_i32 s33, s29, 3
	s_mov_b32 s34, s28
	s_lshl_b32 s35, s29, 6
	s_mov_b32 s36, s28
	v_addc_co_u32_e32 v57, vcc, 0, v2, vcc
	s_mov_b64 s[22:23], s[20:21]
	s_branch .LBB18_9
.LBB18_8:                               ;   in Loop: Header=BB18_9 Depth=1
	s_or_b64 exec, exec, s[2:3]
	s_waitcnt vmcnt(0)
	v_pk_mov_b32 v[2:3], s[18:19], s[18:19] op_sel:[0,1]
	v_cmp_ge_i64_e32 vcc, s[22:23], v[2:3]
	v_mov_b32_e32 v2, 0xffff
	v_mov_b32_e32 v3, 0
	v_cmp_gt_u64_e64 s[2:3], s[22:23], v[2:3]
	s_or_b64 s[2:3], vcc, s[2:3]
	v_mov_b32_e32 v2, s21
	v_add_co_u32_e32 v0, vcc, s20, v0
	v_addc_co_u32_e32 v1, vcc, v1, v2, vcc
	v_mov_b32_e32 v2, s36
	v_add_co_u32_e32 v34, vcc, s35, v34
	v_addc_co_u32_e32 v35, vcc, v35, v2, vcc
	v_add_co_u32_e32 v36, vcc, s35, v36
	v_addc_co_u32_e32 v37, vcc, v37, v2, vcc
	;; [unrolled: 2-line block ×11, first 2 shown]
	v_add_co_u32_e32 v56, vcc, s35, v56
	s_add_u32 s22, s22, s20
	v_addc_co_u32_e32 v57, vcc, v57, v2, vcc
	s_addc_u32 s23, s23, 0
	s_and_b64 vcc, exec, s[2:3]
	s_cbranch_vccnz .LBB18_25
.LBB18_9:                               ; =>This Inner Loop Header: Depth=1
	v_cmp_gt_i64_e32 vcc, s[18:19], v[0:1]
	v_cmp_gt_u64_e64 s[2:3], s[4:5], v[0:1]
	v_pk_mov_b32 v[4:5], 0, 0
	s_and_b64 s[24:25], vcc, s[2:3]
	v_pk_mov_b32 v[20:21], v[4:5], v[4:5] op_sel:[0,1]
	v_pk_mov_b32 v[18:19], v[4:5], v[4:5] op_sel:[0,1]
	;; [unrolled: 1-line block ×4, first 2 shown]
	s_and_saveexec_b64 s[2:3], s[24:25]
	s_cbranch_execz .LBB18_11
; %bb.10:                               ;   in Loop: Header=BB18_9 Depth=1
	v_mov_b32_e32 v6, s17
	v_add_co_u32_e32 v2, vcc, s16, v34
	v_addc_co_u32_e32 v3, vcc, v35, v6, vcc
	v_add_co_u32_e32 v10, vcc, s16, v38
	v_addc_co_u32_e32 v11, vcc, v39, v6, vcc
	global_load_dwordx4 v[6:9], v[10:11], off offset:-8
	global_load_dwordx4 v[18:21], v[2:3], off offset:-8
.LBB18_11:                              ;   in Loop: Header=BB18_9 Depth=1
	s_or_b64 exec, exec, s[2:3]
	v_mov_b32_e32 v2, s28
	v_add_co_u32_e32 v58, vcc, s29, v0
	v_addc_co_u32_e32 v59, vcc, v2, v1, vcc
	v_cmp_gt_i64_e32 vcc, s[18:19], v[58:59]
	v_cmp_gt_u64_e64 s[2:3], s[4:5], v[58:59]
	s_and_b64 s[24:25], vcc, s[2:3]
	v_pk_mov_b32 v[2:3], v[4:5], v[4:5] op_sel:[0,1]
	v_pk_mov_b32 v[12:13], v[4:5], v[4:5] op_sel:[0,1]
	;; [unrolled: 1-line block ×3, first 2 shown]
	s_and_saveexec_b64 s[2:3], s[24:25]
	s_cbranch_execz .LBB18_13
; %bb.12:                               ;   in Loop: Header=BB18_9 Depth=1
	v_mov_b32_e32 v2, s17
	v_add_co_u32_e32 v14, vcc, s16, v44
	v_addc_co_u32_e32 v15, vcc, v45, v2, vcc
	v_add_co_u32_e32 v16, vcc, s16, v40
	v_addc_co_u32_e32 v17, vcc, v41, v2, vcc
	global_load_dwordx4 v[10:13], v[16:17], off
	global_load_dwordx4 v[2:5], v[14:15], off
.LBB18_13:                              ;   in Loop: Header=BB18_9 Depth=1
	s_or_b64 exec, exec, s[2:3]
	v_mov_b32_e32 v14, s31
	v_add_co_u32_e32 v60, vcc, s30, v0
	v_addc_co_u32_e32 v61, vcc, v14, v1, vcc
	v_cmp_gt_i64_e32 vcc, s[18:19], v[60:61]
	v_cmp_gt_u64_e64 s[2:3], s[4:5], v[60:61]
	v_pk_mov_b32 v[16:17], 0, 0
	s_and_b64 s[24:25], vcc, s[2:3]
	v_pk_mov_b32 v[32:33], v[16:17], v[16:17] op_sel:[0,1]
	v_pk_mov_b32 v[30:31], v[16:17], v[16:17] op_sel:[0,1]
	;; [unrolled: 1-line block ×4, first 2 shown]
	s_and_saveexec_b64 s[2:3], s[24:25]
	s_cbranch_execz .LBB18_15
; %bb.14:                               ;   in Loop: Header=BB18_9 Depth=1
	v_mov_b32_e32 v22, s17
	v_add_co_u32_e32 v14, vcc, s16, v56
	v_addc_co_u32_e32 v15, vcc, v57, v22, vcc
	v_add_co_u32_e32 v26, vcc, s16, v54
	v_addc_co_u32_e32 v27, vcc, v55, v22, vcc
	global_load_dwordx4 v[22:25], v[26:27], off
	global_load_dwordx4 v[30:33], v[14:15], off offset:-8
.LBB18_15:                              ;   in Loop: Header=BB18_9 Depth=1
	s_or_b64 exec, exec, s[2:3]
	v_mov_b32_e32 v14, s34
	v_add_co_u32_e32 v62, vcc, s33, v0
	v_addc_co_u32_e32 v63, vcc, v14, v1, vcc
	v_cmp_gt_i64_e32 vcc, s[18:19], v[62:63]
	v_cmp_gt_u64_e64 s[2:3], s[4:5], v[62:63]
	s_and_b64 s[24:25], vcc, s[2:3]
	v_pk_mov_b32 v[14:15], v[16:17], v[16:17] op_sel:[0,1]
	v_pk_mov_b32 v[28:29], v[16:17], v[16:17] op_sel:[0,1]
	v_pk_mov_b32 v[26:27], v[16:17], v[16:17] op_sel:[0,1]
	s_and_saveexec_b64 s[2:3], s[24:25]
	s_cbranch_execnz .LBB18_20
; %bb.16:                               ;   in Loop: Header=BB18_9 Depth=1
	s_or_b64 exec, exec, s[2:3]
	v_cmp_gt_u64_e32 vcc, s[6:7], v[0:1]
	s_and_saveexec_b64 s[2:3], vcc
	s_cbranch_execnz .LBB18_21
.LBB18_17:                              ;   in Loop: Header=BB18_9 Depth=1
	s_or_b64 exec, exec, s[2:3]
	v_cmp_gt_u64_e32 vcc, s[6:7], v[58:59]
	s_and_saveexec_b64 s[2:3], vcc
	s_cbranch_execnz .LBB18_22
.LBB18_18:                              ;   in Loop: Header=BB18_9 Depth=1
	s_or_b64 exec, exec, s[2:3]
	v_cmp_gt_u64_e32 vcc, s[6:7], v[60:61]
	s_and_saveexec_b64 s[2:3], vcc
	s_cbranch_execnz .LBB18_23
.LBB18_19:                              ;   in Loop: Header=BB18_9 Depth=1
	s_or_b64 exec, exec, s[2:3]
	v_cmp_gt_u64_e32 vcc, s[6:7], v[62:63]
	s_and_saveexec_b64 s[2:3], vcc
	s_cbranch_execz .LBB18_8
	s_branch .LBB18_24
.LBB18_20:                              ;   in Loop: Header=BB18_9 Depth=1
	v_mov_b32_e32 v14, s17
	v_add_co_u32_e32 v64, vcc, s16, v46
	v_addc_co_u32_e32 v65, vcc, v47, v14, vcc
	v_add_co_u32_e32 v66, vcc, s16, v48
	v_addc_co_u32_e32 v67, vcc, v49, v14, vcc
	global_load_dwordx4 v[26:29], v[66:67], off offset:-8
	global_load_dwordx4 v[14:17], v[64:65], off offset:-8
	s_or_b64 exec, exec, s[2:3]
	v_cmp_gt_u64_e32 vcc, s[6:7], v[0:1]
	s_and_saveexec_b64 s[2:3], vcc
	s_cbranch_execz .LBB18_17
.LBB18_21:                              ;   in Loop: Header=BB18_9 Depth=1
	s_waitcnt vmcnt(0)
	v_mul_f64 v[64:65], s[14:15], v[20:21]
	v_fma_f64 v[64:65], s[12:13], v[18:19], -v[64:65]
	v_mul_f64 v[18:19], s[14:15], v[18:19]
	v_fmac_f64_e32 v[18:19], s[12:13], v[20:21]
	v_mul_f64 v[20:21], s[10:11], v[18:19]
	v_fma_f64 v[20:21], s[8:9], v[64:65], -v[20:21]
	v_cndmask_b32_e64 v21, v21, v65, s[0:1]
	v_cndmask_b32_e64 v20, v20, v64, s[0:1]
	v_add_f64 v[6:7], v[6:7], v[20:21]
	v_mul_f64 v[20:21], s[10:11], v[64:65]
	v_fmac_f64_e32 v[20:21], s[8:9], v[18:19]
	v_cndmask_b32_e64 v19, v21, v19, s[0:1]
	v_cndmask_b32_e64 v18, v20, v18, s[0:1]
	v_add_f64 v[8:9], v[8:9], v[18:19]
	v_mov_b32_e32 v19, s17
	v_add_co_u32_e32 v18, vcc, s16, v42
	v_addc_co_u32_e32 v19, vcc, v43, v19, vcc
	global_store_dwordx4 v[18:19], v[6:9], off offset:-8
	s_or_b64 exec, exec, s[2:3]
	v_cmp_gt_u64_e32 vcc, s[6:7], v[58:59]
	s_and_saveexec_b64 s[2:3], vcc
	s_cbranch_execz .LBB18_18
.LBB18_22:                              ;   in Loop: Header=BB18_9 Depth=1
	s_waitcnt vmcnt(0)
	v_mul_f64 v[6:7], s[14:15], v[4:5]
	v_fma_f64 v[6:7], s[12:13], v[2:3], -v[6:7]
	v_mul_f64 v[2:3], s[14:15], v[2:3]
	v_fmac_f64_e32 v[2:3], s[12:13], v[4:5]
	v_mul_f64 v[4:5], s[10:11], v[2:3]
	v_mul_f64 v[8:9], s[10:11], v[6:7]
	v_fma_f64 v[4:5], s[8:9], v[6:7], -v[4:5]
	v_fmac_f64_e32 v[8:9], s[8:9], v[2:3]
	v_cndmask_b32_e64 v7, v5, v7, s[0:1]
	v_cndmask_b32_e64 v6, v4, v6, s[0:1]
	;; [unrolled: 1-line block ×4, first 2 shown]
	v_add_f64 v[4:5], v[12:13], v[2:3]
	v_add_f64 v[2:3], v[10:11], v[6:7]
	v_mov_b32_e32 v7, s17
	v_add_co_u32_e32 v6, vcc, s16, v36
	v_addc_co_u32_e32 v7, vcc, v37, v7, vcc
	global_store_dwordx4 v[6:7], v[2:5], off
	s_or_b64 exec, exec, s[2:3]
	v_cmp_gt_u64_e32 vcc, s[6:7], v[60:61]
	s_and_saveexec_b64 s[2:3], vcc
	s_cbranch_execz .LBB18_19
.LBB18_23:                              ;   in Loop: Header=BB18_9 Depth=1
	s_waitcnt vmcnt(0)
	v_mul_f64 v[2:3], s[14:15], v[32:33]
	v_mul_f64 v[4:5], s[14:15], v[30:31]
	v_fma_f64 v[2:3], s[12:13], v[30:31], -v[2:3]
	v_fmac_f64_e32 v[4:5], s[12:13], v[32:33]
	v_mul_f64 v[6:7], s[10:11], v[4:5]
	v_mul_f64 v[8:9], s[10:11], v[2:3]
	v_fma_f64 v[6:7], s[8:9], v[2:3], -v[6:7]
	v_fmac_f64_e32 v[8:9], s[8:9], v[4:5]
	v_cndmask_b32_e64 v3, v7, v3, s[0:1]
	v_cndmask_b32_e64 v2, v6, v2, s[0:1]
	;; [unrolled: 1-line block ×4, first 2 shown]
	v_mov_b32_e32 v7, s17
	v_add_co_u32_e32 v6, vcc, s16, v50
	v_add_f64 v[4:5], v[24:25], v[4:5]
	v_add_f64 v[2:3], v[22:23], v[2:3]
	v_addc_co_u32_e32 v7, vcc, v51, v7, vcc
	global_store_dwordx4 v[6:7], v[2:5], off
	s_or_b64 exec, exec, s[2:3]
	v_cmp_gt_u64_e32 vcc, s[6:7], v[62:63]
	s_and_saveexec_b64 s[2:3], vcc
	s_cbranch_execz .LBB18_8
.LBB18_24:                              ;   in Loop: Header=BB18_9 Depth=1
	s_waitcnt vmcnt(0)
	v_mul_f64 v[2:3], s[14:15], v[16:17]
	v_mul_f64 v[4:5], s[14:15], v[14:15]
	v_fma_f64 v[2:3], s[12:13], v[14:15], -v[2:3]
	v_fmac_f64_e32 v[4:5], s[12:13], v[16:17]
	v_mul_f64 v[6:7], s[10:11], v[4:5]
	v_mul_f64 v[8:9], s[10:11], v[2:3]
	v_fma_f64 v[6:7], s[8:9], v[2:3], -v[6:7]
	v_fmac_f64_e32 v[8:9], s[8:9], v[4:5]
	v_cndmask_b32_e64 v3, v7, v3, s[0:1]
	v_cndmask_b32_e64 v2, v6, v2, s[0:1]
	;; [unrolled: 1-line block ×4, first 2 shown]
	v_mov_b32_e32 v7, s17
	v_add_co_u32_e32 v6, vcc, s16, v52
	v_add_f64 v[4:5], v[28:29], v[4:5]
	v_add_f64 v[2:3], v[26:27], v[2:3]
	v_addc_co_u32_e32 v7, vcc, v53, v7, vcc
	global_store_dwordx4 v[6:7], v[2:5], off offset:-8
	s_branch .LBB18_8
.LBB18_25:
	s_endpgm
	.section	.rodata,"a",@progbits
	.p2align	6, 0x0
	.amdhsa_kernel _ZN2at6native12_GLOBAL__N_125multi_tensor_apply_kernelINS1_18TensorListMetadataILi4EEENS1_32PointwiseOpScalar0dTensorFunctorIN3c107complexIdEELi4ELi2ELi3EEEJSt10multipliesIS8_ES8_EEEvT_T0_DpT1_
		.amdhsa_group_segment_fixed_size 0
		.amdhsa_private_segment_fixed_size 0
		.amdhsa_kernarg_size 3328
		.amdhsa_user_sgpr_count 6
		.amdhsa_user_sgpr_private_segment_buffer 1
		.amdhsa_user_sgpr_dispatch_ptr 0
		.amdhsa_user_sgpr_queue_ptr 0
		.amdhsa_user_sgpr_kernarg_segment_ptr 1
		.amdhsa_user_sgpr_dispatch_id 0
		.amdhsa_user_sgpr_flat_scratch_init 0
		.amdhsa_user_sgpr_kernarg_preload_length 0
		.amdhsa_user_sgpr_kernarg_preload_offset 0
		.amdhsa_user_sgpr_private_segment_size 0
		.amdhsa_uses_dynamic_stack 0
		.amdhsa_system_sgpr_private_segment_wavefront_offset 0
		.amdhsa_system_sgpr_workgroup_id_x 1
		.amdhsa_system_sgpr_workgroup_id_y 0
		.amdhsa_system_sgpr_workgroup_id_z 0
		.amdhsa_system_sgpr_workgroup_info 0
		.amdhsa_system_vgpr_workitem_id 0
		.amdhsa_next_free_vgpr 68
		.amdhsa_next_free_sgpr 41
		.amdhsa_accum_offset 68
		.amdhsa_reserve_vcc 1
		.amdhsa_reserve_flat_scratch 0
		.amdhsa_float_round_mode_32 0
		.amdhsa_float_round_mode_16_64 0
		.amdhsa_float_denorm_mode_32 3
		.amdhsa_float_denorm_mode_16_64 3
		.amdhsa_dx10_clamp 1
		.amdhsa_ieee_mode 1
		.amdhsa_fp16_overflow 0
		.amdhsa_tg_split 0
		.amdhsa_exception_fp_ieee_invalid_op 0
		.amdhsa_exception_fp_denorm_src 0
		.amdhsa_exception_fp_ieee_div_zero 0
		.amdhsa_exception_fp_ieee_overflow 0
		.amdhsa_exception_fp_ieee_underflow 0
		.amdhsa_exception_fp_ieee_inexact 0
		.amdhsa_exception_int_div_zero 0
	.end_amdhsa_kernel
	.section	.text._ZN2at6native12_GLOBAL__N_125multi_tensor_apply_kernelINS1_18TensorListMetadataILi4EEENS1_32PointwiseOpScalar0dTensorFunctorIN3c107complexIdEELi4ELi2ELi3EEEJSt10multipliesIS8_ES8_EEEvT_T0_DpT1_,"axG",@progbits,_ZN2at6native12_GLOBAL__N_125multi_tensor_apply_kernelINS1_18TensorListMetadataILi4EEENS1_32PointwiseOpScalar0dTensorFunctorIN3c107complexIdEELi4ELi2ELi3EEEJSt10multipliesIS8_ES8_EEEvT_T0_DpT1_,comdat
.Lfunc_end18:
	.size	_ZN2at6native12_GLOBAL__N_125multi_tensor_apply_kernelINS1_18TensorListMetadataILi4EEENS1_32PointwiseOpScalar0dTensorFunctorIN3c107complexIdEELi4ELi2ELi3EEEJSt10multipliesIS8_ES8_EEEvT_T0_DpT1_, .Lfunc_end18-_ZN2at6native12_GLOBAL__N_125multi_tensor_apply_kernelINS1_18TensorListMetadataILi4EEENS1_32PointwiseOpScalar0dTensorFunctorIN3c107complexIdEELi4ELi2ELi3EEEJSt10multipliesIS8_ES8_EEEvT_T0_DpT1_
                                        ; -- End function
	.section	.AMDGPU.csdata,"",@progbits
; Kernel info:
; codeLenInByte = 2520
; NumSgprs: 45
; NumVgprs: 68
; NumAgprs: 0
; TotalNumVgprs: 68
; ScratchSize: 0
; MemoryBound: 1
; FloatMode: 240
; IeeeMode: 1
; LDSByteSize: 0 bytes/workgroup (compile time only)
; SGPRBlocks: 5
; VGPRBlocks: 8
; NumSGPRsForWavesPerEU: 45
; NumVGPRsForWavesPerEU: 68
; AccumOffset: 68
; Occupancy: 7
; WaveLimiterHint : 0
; COMPUTE_PGM_RSRC2:SCRATCH_EN: 0
; COMPUTE_PGM_RSRC2:USER_SGPR: 6
; COMPUTE_PGM_RSRC2:TRAP_HANDLER: 0
; COMPUTE_PGM_RSRC2:TGID_X_EN: 1
; COMPUTE_PGM_RSRC2:TGID_Y_EN: 0
; COMPUTE_PGM_RSRC2:TGID_Z_EN: 0
; COMPUTE_PGM_RSRC2:TIDIG_COMP_CNT: 0
; COMPUTE_PGM_RSRC3_GFX90A:ACCUM_OFFSET: 16
; COMPUTE_PGM_RSRC3_GFX90A:TG_SPLIT: 0
	.section	.text._ZN2at6native12_GLOBAL__N_125multi_tensor_apply_kernelINS1_18TensorListMetadataILi4EEENS1_32PointwiseOpScalar0dTensorFunctorIN3c107complexIfEELi4ELi2ELi3EEEJSt10multipliesIS8_ES8_EEEvT_T0_DpT1_,"axG",@progbits,_ZN2at6native12_GLOBAL__N_125multi_tensor_apply_kernelINS1_18TensorListMetadataILi4EEENS1_32PointwiseOpScalar0dTensorFunctorIN3c107complexIfEELi4ELi2ELi3EEEJSt10multipliesIS8_ES8_EEEvT_T0_DpT1_,comdat
	.globl	_ZN2at6native12_GLOBAL__N_125multi_tensor_apply_kernelINS1_18TensorListMetadataILi4EEENS1_32PointwiseOpScalar0dTensorFunctorIN3c107complexIfEELi4ELi2ELi3EEEJSt10multipliesIS8_ES8_EEEvT_T0_DpT1_ ; -- Begin function _ZN2at6native12_GLOBAL__N_125multi_tensor_apply_kernelINS1_18TensorListMetadataILi4EEENS1_32PointwiseOpScalar0dTensorFunctorIN3c107complexIfEELi4ELi2ELi3EEEJSt10multipliesIS8_ES8_EEEvT_T0_DpT1_
	.p2align	8
	.type	_ZN2at6native12_GLOBAL__N_125multi_tensor_apply_kernelINS1_18TensorListMetadataILi4EEENS1_32PointwiseOpScalar0dTensorFunctorIN3c107complexIfEELi4ELi2ELi3EEEJSt10multipliesIS8_ES8_EEEvT_T0_DpT1_,@function
_ZN2at6native12_GLOBAL__N_125multi_tensor_apply_kernelINS1_18TensorListMetadataILi4EEENS1_32PointwiseOpScalar0dTensorFunctorIN3c107complexIfEELi4ELi2ELi3EEEJSt10multipliesIS8_ES8_EEEvT_T0_DpT1_: ; @_ZN2at6native12_GLOBAL__N_125multi_tensor_apply_kernelINS1_18TensorListMetadataILi4EEENS1_32PointwiseOpScalar0dTensorFunctorIN3c107complexIfEELi4ELi2ELi3EEEJSt10multipliesIS8_ES8_EEEvT_T0_DpT1_
; %bb.0:
	v_mov_b32_e32 v1, s6
	global_load_ubyte v1, v1, s[4:5] offset:1440
	s_add_u32 s0, s4, s6
	s_mul_hi_u32 s2, s6, 3
	s_mul_i32 s6, s6, 3
	s_addc_u32 s7, s5, 0
	s_add_u32 s6, s0, s6
	s_addc_u32 s7, s7, s2
	s_load_dword s6, s[6:7], 0x6e0
	s_mov_b32 s1, 0
	s_mov_b32 s3, s1
	s_waitcnt lgkmcnt(0)
	s_ashr_i32 s7, s6, 31
	s_lshl_b64 s[10:11], s[6:7], 19
	s_waitcnt vmcnt(0)
	v_readfirstlane_b32 s0, v1
	s_lshl_b32 s0, s0, 3
	s_load_dwordx2 s[16:17], s[4:5], s0 offset:0x480
	s_load_dwordx2 s[8:9], s[4:5], 0xbf0
	s_load_dwordx2 s[18:19], s[4:5], s0 offset:0x0
	s_load_dwordx2 s[14:15], s[4:5], s0 offset:0x120
	;; [unrolled: 1-line block ×4, first 2 shown]
	s_waitcnt lgkmcnt(0)
	s_add_u32 s33, s18, s10
	s_addc_u32 s42, s19, s11
	s_add_u32 s0, s14, s10
	s_and_b32 s0, s0, 31
	s_add_u32 s43, s22, s10
	s_addc_u32 s44, s23, s11
	s_add_u32 s45, s20, s10
	s_addc_u32 s46, s21, s11
	s_or_b32 s2, s45, s43
	s_and_b32 s2, s2, 31
	s_cmp_lg_u32 s2, 0
	s_load_dwordx2 s[12:13], s[14:15], 0x0
	s_cselect_b64 s[14:15], -1, 0
	s_lshl_b64 s[6:7], s[6:7], 16
	s_and_b32 s2, s33, 31
	s_cmp_lg_u64 s[0:1], 0
	s_cselect_b64 s[24:25], -1, 0
	s_or_b64 s[24:25], s[14:15], s[24:25]
	s_sub_u32 s14, s16, s6
	s_subb_u32 s15, s17, s7
	s_and_b32 s0, s16, 3
	s_or_b64 s[2:3], s[2:3], s[0:1]
	s_cmp_lg_u64 s[2:3], 0
	s_cselect_b64 s[2:3], -1, 0
	s_or_b64 s[2:3], s[24:25], s[2:3]
	s_andn2_b64 vcc, exec, s[2:3]
	s_mov_b64 s[2:3], -1
	s_cbranch_vccz .LBB19_5
; %bb.1:
	v_mov_b32_e32 v3, 0
	v_lshlrev_b32_e32 v2, 2, v0
	v_cmp_gt_i64_e32 vcc, s[14:15], v[2:3]
	s_and_saveexec_b64 s[16:17], vcc
	s_cbranch_execz .LBB19_4
; %bb.2:
	s_and_b32 s0, s9, 0x7fffffff
	s_cmp_eq_u32 s0, 0
	s_load_dword s0, s[4:5], 0xc04
	v_cmp_eq_f32_e64 s[2:3], s8, 1.0
	s_cselect_b64 s[6:7], -1, 0
	s_mov_b32 s24, s8
	s_mov_b32 s25, s9
	s_waitcnt lgkmcnt(0)
	s_and_b32 s0, s0, 0xffff
	s_and_b64 vcc, s[2:3], s[6:7]
	s_mov_b32 s26, s12
	s_mov_b32 s27, s12
	;; [unrolled: 1-line block ×10, first 2 shown]
	v_lshlrev_b32_e32 v4, 5, v0
	s_lshl_b32 s47, s0, 5
	v_add_lshl_u32 v2, v0, s0, 2
	s_lshl_b32 s48, s0, 2
	s_mov_b64 s[38:39], 0
	s_mov_b64 s[40:41], 0xffff
	v_mov_b32_e32 v1, s1
.LBB19_3:                               ; =>This Inner Loop Header: Depth=1
	v_mov_b32_e32 v6, s44
	v_add_co_u32_e64 v22, s[0:1], s43, v4
	v_mov_b32_e32 v5, s42
	v_add_co_u32_e64 v24, s[2:3], s33, v4
	v_addc_co_u32_e64 v23, s[0:1], 0, v6, s[0:1]
	v_addc_co_u32_e64 v25, s[2:3], 0, v5, s[2:3]
	global_load_dwordx4 v[6:9], v[22:23], off offset:16
	global_load_dwordx4 v[10:13], v[22:23], off
	global_load_dwordx4 v[14:17], v[24:25], off offset:16
	global_load_dwordx4 v[18:21], v[24:25], off
	v_cmp_le_i64_e64 s[0:1], s[14:15], v[2:3]
	v_cmp_lt_u64_e64 s[2:3], s[40:41], v[2:3]
	v_add_co_u32_e64 v2, s[6:7], s48, v2
	s_or_b64 s[0:1], s[0:1], s[2:3]
	v_addc_co_u32_e64 v3, s[6:7], v3, v1, s[6:7]
	s_add_u32 s33, s33, s47
	v_mov_b32_e32 v5, s46
	v_add_co_u32_e64 v22, s[6:7], s45, v4
	s_addc_u32 s42, s42, 0
	v_addc_co_u32_e64 v23, s[6:7], 0, v5, s[6:7]
	s_add_u32 s43, s43, s47
	s_addc_u32 s44, s44, 0
	s_add_u32 s45, s45, s47
	s_addc_u32 s46, s46, 0
	s_and_b64 s[0:1], exec, s[0:1]
	s_or_b64 s[38:39], s[0:1], s[38:39]
	s_waitcnt vmcnt(3)
	v_mul_f32_e32 v5, s13, v7
	v_mul_f32_e32 v30, s12, v7
	;; [unrolled: 1-line block ×4, first 2 shown]
	s_waitcnt vmcnt(2)
	v_mov_b32_e32 v24, v13
	v_mov_b32_e32 v25, v12
	v_pk_mul_f32 v[26:27], v[10:11], s[28:29] op_sel:[1,0]
	v_fma_f32 v5, v6, s12, -v5
	v_fmac_f32_e32 v30, s13, v6
	v_fma_f32 v32, v8, s12, -v7
	v_fmac_f32_e32 v31, s13, v8
	v_pk_mul_f32 v[6:7], v[24:25], s[30:31]
	v_pk_fma_f32 v[8:9], v[10:11], s[12:13], v[26:27] neg_lo:[0,0,1] neg_hi:[0,0,1]
	v_pk_fma_f32 v[10:11], v[10:11], s[12:13], v[26:27] op_sel_hi:[0,1,1]
	v_mul_f32_e32 v26, s9, v30
	v_mul_f32_e32 v33, s9, v5
	;; [unrolled: 1-line block ×4, first 2 shown]
	v_pk_fma_f32 v[24:25], v[12:13], s[26:27], v[6:7] neg_lo:[0,0,1] neg_hi:[0,0,1]
	v_pk_fma_f32 v[12:13], v[12:13], s[26:27], v[6:7]
	v_pk_mul_f32 v[6:7], v[10:11], s[34:35] op_sel:[1,0]
	v_fma_f32 v10, v5, s8, -v26
	v_fmac_f32_e32 v33, s8, v30
	v_fma_f32 v35, v32, s8, -v27
	v_fmac_f32_e32 v34, s8, v31
	v_pk_mul_f32 v[26:27], v[12:13], s[36:37] op_sel:[1,0]
	v_pk_fma_f32 v[28:29], v[8:9], s[8:9], v[6:7] op_sel_hi:[0,1,1] neg_lo:[0,0,1] neg_hi:[0,0,1]
	v_pk_fma_f32 v[6:7], v[8:9], s[8:9], v[6:7] op_sel_hi:[0,1,1]
	v_cndmask_b32_e32 v5, v10, v5, vcc
	v_cndmask_b32_e32 v9, v33, v30, vcc
	;; [unrolled: 1-line block ×4, first 2 shown]
	v_pk_fma_f32 v[30:31], v[24:25], s[24:25], v[26:27] op_sel_hi:[0,1,1] neg_lo:[0,0,1] neg_hi:[0,0,1]
	v_pk_fma_f32 v[26:27], v[24:25], s[24:25], v[26:27] op_sel_hi:[0,1,1]
	v_cndmask_b32_e32 v11, v7, v11, vcc
	v_cndmask_b32_e32 v10, v28, v8, vcc
	s_waitcnt vmcnt(1)
	v_add_f32_e32 v6, v14, v5
	v_add_f32_e32 v7, v15, v9
	v_add_f32_e32 v8, v16, v12
	v_add_f32_e32 v9, v17, v29
	v_cndmask_b32_e32 v13, v27, v13, vcc
	v_cndmask_b32_e32 v12, v30, v24, vcc
	s_waitcnt vmcnt(0)
	v_pk_add_f32 v[10:11], v[18:19], v[10:11]
	v_pk_add_f32 v[12:13], v[20:21], v[12:13]
	global_store_dwordx4 v[22:23], v[6:9], off offset:16
	global_store_dwordx4 v[22:23], v[10:13], off
	s_andn2_b64 exec, exec, s[38:39]
	s_cbranch_execnz .LBB19_3
.LBB19_4:
	s_or_b64 exec, exec, s[16:17]
	s_mov_b64 s[2:3], 0
.LBB19_5:
	s_andn2_b64 vcc, exec, s[2:3]
	s_cbranch_vccnz .LBB19_25
; %bb.6:
	v_cmp_lt_i64_e64 s[0:1], s[14:15], 1
	s_and_b64 vcc, exec, s[0:1]
	s_cbranch_vccnz .LBB19_25
; %bb.7:
	s_load_dword s2, s[4:5], 0xc04
	s_and_b32 s3, s9, 0x7fffffff
	v_mov_b32_e32 v2, 0x10000
	v_cmp_eq_f32_e64 s[0:1], s8, 1.0
	v_mov_b32_e32 v3, 0
	s_waitcnt lgkmcnt(0)
	s_and_b32 s25, s2, 0xffff
	s_cmp_eq_u32 s3, 0
	s_cselect_b64 s[2:3], -1, 0
	s_and_b64 s[0:1], s[0:1], s[2:3]
	v_cmp_lt_u64_e32 vcc, s[14:15], v[2:3]
	v_lshlrev_b32_e32 v16, 3, v0
	s_and_b64 s[2:3], vcc, exec
	v_mov_b32_e32 v25, s19
	v_add_co_u32_e32 v2, vcc, s18, v16
	v_addc_co_u32_e32 v3, vcc, 0, v25, vcc
	v_mov_b32_e32 v21, s23
	v_add_co_u32_e32 v4, vcc, s22, v16
	v_addc_co_u32_e32 v5, vcc, 0, v21, vcc
	v_mov_b32_e32 v22, s21
	v_add_co_u32_e32 v6, vcc, s20, v16
	v_mov_b32_e32 v1, 0
	v_addc_co_u32_e32 v7, vcc, 0, v22, vcc
	v_mov_b32_e32 v17, v1
	v_add_co_u32_e32 v6, vcc, 4, v6
	v_addc_co_u32_e32 v7, vcc, 0, v7, vcc
	v_mad_u64_u32 v[14:15], s[2:3], s25, 24, v[16:17]
	v_add_co_u32_e32 v8, vcc, s18, v14
	v_addc_co_u32_e32 v9, vcc, v25, v15, vcc
	v_add_co_u32_e32 v10, vcc, s22, v14
	v_addc_co_u32_e32 v11, vcc, v21, v15, vcc
	v_add_lshl_u32 v24, v0, s25, 3
	v_mov_b32_e32 v13, s21
	v_add_co_u32_e32 v12, vcc, s20, v24
	v_addc_co_u32_e32 v13, vcc, 0, v13, vcc
	v_add_co_u32_e32 v14, vcc, s20, v14
	v_addc_co_u32_e32 v15, vcc, v15, v22, vcc
	v_add_co_u32_e32 v14, vcc, 4, v14
	s_cselect_b32 s7, s15, 0
	s_cselect_b32 s6, s14, 0x10000
	v_addc_co_u32_e32 v15, vcc, 0, v15, vcc
	s_lshl_b32 s2, s25, 4
	v_add_co_u32_e32 v23, vcc, s2, v16
	v_addc_co_u32_e64 v26, s[2:3], 0, 0, vcc
	v_add_co_u32_e32 v16, vcc, s18, v23
	v_addc_co_u32_e32 v17, vcc, v25, v26, vcc
	v_add_co_u32_e32 v18, vcc, s22, v23
	v_addc_co_u32_e32 v19, vcc, v21, v26, vcc
	;; [unrolled: 2-line block ×4, first 2 shown]
	v_add_co_u32_e32 v22, vcc, 4, v23
	s_mov_b32 s24, 0
	v_addc_co_u32_e32 v23, vcc, 0, v26, vcc
	s_lshl_b32 s16, s25, 2
	s_mov_b32 s17, s24
	v_add_co_u32_e32 v24, vcc, s18, v24
	s_mov_b64 s[4:5], 0x10000
	s_lshl_b32 s26, s25, 1
	s_mov_b32 s27, s24
	s_mul_i32 s28, s25, 3
	s_mov_b32 s29, s24
	s_lshl_b32 s30, s25, 5
	s_mov_b32 s31, s24
	v_addc_co_u32_e32 v25, vcc, 0, v25, vcc
	s_mov_b64 s[18:19], s[16:17]
	s_branch .LBB19_9
.LBB19_8:                               ;   in Loop: Header=BB19_9 Depth=1
	s_or_b64 exec, exec, s[2:3]
	s_waitcnt vmcnt(0)
	v_pk_mov_b32 v[26:27], s[14:15], s[14:15] op_sel:[0,1]
	v_cmp_ge_i64_e32 vcc, s[18:19], v[26:27]
	v_mov_b32_e32 v26, 0xffff
	v_mov_b32_e32 v27, 0
	v_cmp_gt_u64_e64 s[2:3], s[18:19], v[26:27]
	s_or_b64 s[2:3], vcc, s[2:3]
	v_mov_b32_e32 v26, s31
	v_add_co_u32_e32 v2, vcc, s30, v2
	v_addc_co_u32_e32 v3, vcc, v3, v26, vcc
	v_add_co_u32_e32 v4, vcc, s30, v4
	v_addc_co_u32_e32 v5, vcc, v5, v26, vcc
	v_mov_b32_e32 v27, s17
	v_add_co_u32_e32 v0, vcc, s16, v0
	v_addc_co_u32_e32 v1, vcc, v1, v27, vcc
	v_add_co_u32_e32 v6, vcc, s30, v6
	v_addc_co_u32_e32 v7, vcc, v7, v26, vcc
	;; [unrolled: 2-line block ×10, first 2 shown]
	v_add_co_u32_e32 v24, vcc, s30, v24
	s_add_u32 s18, s18, s16
	v_addc_co_u32_e32 v25, vcc, v25, v26, vcc
	s_addc_u32 s19, s19, 0
	s_and_b64 vcc, exec, s[2:3]
	s_cbranch_vccnz .LBB19_25
.LBB19_9:                               ; =>This Inner Loop Header: Depth=1
	v_cmp_gt_i64_e32 vcc, s[14:15], v[0:1]
	v_cmp_gt_u64_e64 s[2:3], s[4:5], v[0:1]
	s_and_b64 s[20:21], vcc, s[2:3]
	v_mov_b32_e32 v30, 0
	v_mov_b32_e32 v31, 0
	;; [unrolled: 1-line block ×4, first 2 shown]
	s_and_saveexec_b64 s[2:3], s[20:21]
	s_cbranch_execz .LBB19_11
; %bb.10:                               ;   in Loop: Header=BB19_9 Depth=1
	v_mov_b32_e32 v28, s11
	v_add_co_u32_e32 v26, vcc, s10, v4
	v_addc_co_u32_e32 v27, vcc, v5, v28, vcc
	v_add_co_u32_e32 v32, vcc, s10, v2
	v_addc_co_u32_e32 v33, vcc, v3, v28, vcc
	global_load_dwordx2 v[28:29], v[32:33], off
	global_load_dwordx2 v[30:31], v[26:27], off
.LBB19_11:                              ;   in Loop: Header=BB19_9 Depth=1
	s_or_b64 exec, exec, s[2:3]
	v_mov_b32_e32 v26, s24
	v_add_co_u32_e32 v32, vcc, s25, v0
	v_addc_co_u32_e32 v33, vcc, v26, v1, vcc
	v_cmp_gt_i64_e32 vcc, s[14:15], v[32:33]
	v_cmp_gt_u64_e64 s[2:3], s[4:5], v[32:33]
	s_and_b64 s[20:21], vcc, s[2:3]
	v_mov_b32_e32 v26, 0
	v_mov_b32_e32 v36, 0
	;; [unrolled: 1-line block ×5, first 2 shown]
	s_and_saveexec_b64 s[2:3], s[20:21]
	s_cbranch_execz .LBB19_13
; %bb.12:                               ;   in Loop: Header=BB19_9 Depth=1
	v_mov_b32_e32 v27, s11
	v_add_co_u32_e32 v38, vcc, s10, v20
	v_addc_co_u32_e32 v39, vcc, v21, v27, vcc
	v_add_co_u32_e32 v40, vcc, s10, v24
	v_addc_co_u32_e32 v41, vcc, v25, v27, vcc
	global_load_dwordx2 v[34:35], v[40:41], off
	global_load_dwordx2 v[36:37], v[38:39], off
.LBB19_13:                              ;   in Loop: Header=BB19_9 Depth=1
	s_or_b64 exec, exec, s[2:3]
	v_mov_b32_e32 v27, s27
	v_add_co_u32_e32 v38, vcc, s26, v0
	v_addc_co_u32_e32 v39, vcc, v27, v1, vcc
	v_cmp_gt_i64_e32 vcc, s[14:15], v[38:39]
	v_cmp_gt_u64_e64 s[2:3], s[4:5], v[38:39]
	s_and_b64 s[20:21], vcc, s[2:3]
	v_mov_b32_e32 v27, 0
	v_mov_b32_e32 v40, 0
	;; [unrolled: 1-line block ×3, first 2 shown]
	s_and_saveexec_b64 s[2:3], s[20:21]
	s_cbranch_execz .LBB19_15
; %bb.14:                               ;   in Loop: Header=BB19_9 Depth=1
	v_mov_b32_e32 v26, s11
	v_add_co_u32_e32 v42, vcc, s10, v18
	v_addc_co_u32_e32 v43, vcc, v19, v26, vcc
	v_add_co_u32_e32 v44, vcc, s10, v16
	v_addc_co_u32_e32 v45, vcc, v17, v26, vcc
	global_load_dwordx2 v[40:41], v[44:45], off
	global_load_dwordx2 v[26:27], v[42:43], off
.LBB19_15:                              ;   in Loop: Header=BB19_9 Depth=1
	s_or_b64 exec, exec, s[2:3]
	v_mov_b32_e32 v43, s29
	v_add_co_u32_e32 v42, vcc, s28, v0
	v_addc_co_u32_e32 v43, vcc, v43, v1, vcc
	v_cmp_gt_i64_e32 vcc, s[14:15], v[42:43]
	v_cmp_gt_u64_e64 s[2:3], s[4:5], v[42:43]
	s_and_b64 s[20:21], vcc, s[2:3]
	v_mov_b32_e32 v46, 0
	v_mov_b32_e32 v47, 0
	;; [unrolled: 1-line block ×4, first 2 shown]
	s_and_saveexec_b64 s[2:3], s[20:21]
	s_cbranch_execnz .LBB19_20
; %bb.16:                               ;   in Loop: Header=BB19_9 Depth=1
	s_or_b64 exec, exec, s[2:3]
	v_cmp_gt_u64_e32 vcc, s[6:7], v[0:1]
	s_and_saveexec_b64 s[2:3], vcc
	s_cbranch_execnz .LBB19_21
.LBB19_17:                              ;   in Loop: Header=BB19_9 Depth=1
	s_or_b64 exec, exec, s[2:3]
	v_cmp_gt_u64_e32 vcc, s[6:7], v[32:33]
	s_and_saveexec_b64 s[2:3], vcc
	s_cbranch_execnz .LBB19_22
.LBB19_18:                              ;   in Loop: Header=BB19_9 Depth=1
	s_or_b64 exec, exec, s[2:3]
	v_cmp_gt_u64_e32 vcc, s[6:7], v[38:39]
	s_and_saveexec_b64 s[2:3], vcc
	s_cbranch_execnz .LBB19_23
.LBB19_19:                              ;   in Loop: Header=BB19_9 Depth=1
	s_or_b64 exec, exec, s[2:3]
	v_cmp_gt_u64_e32 vcc, s[6:7], v[42:43]
	s_and_saveexec_b64 s[2:3], vcc
	s_cbranch_execz .LBB19_8
	s_branch .LBB19_24
.LBB19_20:                              ;   in Loop: Header=BB19_9 Depth=1
	v_mov_b32_e32 v44, s11
	v_add_co_u32_e32 v48, vcc, s10, v10
	v_addc_co_u32_e32 v49, vcc, v11, v44, vcc
	v_add_co_u32_e32 v50, vcc, s10, v8
	v_addc_co_u32_e32 v51, vcc, v9, v44, vcc
	global_load_dwordx2 v[44:45], v[50:51], off
	global_load_dwordx2 v[46:47], v[48:49], off
	s_or_b64 exec, exec, s[2:3]
	v_cmp_gt_u64_e32 vcc, s[6:7], v[0:1]
	s_and_saveexec_b64 s[2:3], vcc
	s_cbranch_execz .LBB19_17
.LBB19_21:                              ;   in Loop: Header=BB19_9 Depth=1
	s_waitcnt vmcnt(0)
	v_mul_f32_e32 v48, s13, v30
	v_fmac_f32_e32 v48, s12, v31
	v_mul_f32_e32 v31, s13, v31
	v_fma_f32 v30, v30, s12, -v31
	v_mul_f32_e32 v31, s9, v30
	v_fmac_f32_e32 v31, s8, v48
	v_cndmask_b32_e64 v31, v31, v48, s[0:1]
	v_add_f32_e32 v29, v29, v31
	v_mul_f32_e32 v31, s9, v48
	v_fma_f32 v31, v30, s8, -v31
	v_cndmask_b32_e64 v30, v31, v30, s[0:1]
	v_add_f32_e32 v28, v28, v30
	v_mov_b32_e32 v31, s11
	v_add_co_u32_e32 v30, vcc, s10, v6
	v_addc_co_u32_e32 v31, vcc, v7, v31, vcc
	global_store_dwordx2 v[30:31], v[28:29], off offset:-4
	s_or_b64 exec, exec, s[2:3]
	v_cmp_gt_u64_e32 vcc, s[6:7], v[32:33]
	s_and_saveexec_b64 s[2:3], vcc
	s_cbranch_execz .LBB19_18
.LBB19_22:                              ;   in Loop: Header=BB19_9 Depth=1
	s_waitcnt vmcnt(0)
	v_mul_f32_e32 v28, s13, v37
	v_mul_f32_e32 v29, s13, v36
	v_fma_f32 v28, v36, s12, -v28
	v_fmac_f32_e32 v29, s12, v37
	v_mul_f32_e32 v30, s9, v29
	v_mul_f32_e32 v31, s9, v28
	v_fma_f32 v30, v28, s8, -v30
	v_fmac_f32_e32 v31, s8, v29
	v_cndmask_b32_e64 v28, v30, v28, s[0:1]
	v_cndmask_b32_e64 v29, v31, v29, s[0:1]
	v_mov_b32_e32 v31, s11
	v_add_co_u32_e32 v30, vcc, s10, v12
	v_add_f32_e32 v28, v34, v28
	v_add_f32_e32 v29, v35, v29
	v_addc_co_u32_e32 v31, vcc, v13, v31, vcc
	global_store_dwordx2 v[30:31], v[28:29], off
	s_or_b64 exec, exec, s[2:3]
	v_cmp_gt_u64_e32 vcc, s[6:7], v[38:39]
	s_and_saveexec_b64 s[2:3], vcc
	s_cbranch_execz .LBB19_19
.LBB19_23:                              ;   in Loop: Header=BB19_9 Depth=1
	s_waitcnt vmcnt(0)
	v_mul_f32_e32 v28, s13, v27
	v_fma_f32 v28, v26, s12, -v28
	v_mul_f32_e32 v26, s13, v26
	v_fmac_f32_e32 v26, s12, v27
	v_mul_f32_e32 v27, s9, v26
	v_mul_f32_e32 v29, s9, v28
	v_fma_f32 v27, v28, s8, -v27
	v_fmac_f32_e32 v29, s8, v26
	v_cndmask_b32_e64 v27, v27, v28, s[0:1]
	v_cndmask_b32_e64 v28, v29, v26, s[0:1]
	v_add_f32_e32 v26, v40, v27
	v_add_f32_e32 v27, v41, v28
	v_mov_b32_e32 v29, s11
	v_add_co_u32_e32 v28, vcc, s10, v22
	v_addc_co_u32_e32 v29, vcc, v23, v29, vcc
	global_store_dwordx2 v[28:29], v[26:27], off offset:-4
	s_or_b64 exec, exec, s[2:3]
	v_cmp_gt_u64_e32 vcc, s[6:7], v[42:43]
	s_and_saveexec_b64 s[2:3], vcc
	s_cbranch_execz .LBB19_8
.LBB19_24:                              ;   in Loop: Header=BB19_9 Depth=1
	s_waitcnt vmcnt(0)
	v_mul_f32_e32 v26, s13, v47
	v_mul_f32_e32 v27, s13, v46
	v_fma_f32 v26, v46, s12, -v26
	v_fmac_f32_e32 v27, s12, v47
	v_mul_f32_e32 v28, s9, v27
	v_mul_f32_e32 v29, s9, v26
	v_fma_f32 v28, v26, s8, -v28
	v_fmac_f32_e32 v29, s8, v27
	v_cndmask_b32_e64 v26, v28, v26, s[0:1]
	v_cndmask_b32_e64 v27, v29, v27, s[0:1]
	v_mov_b32_e32 v29, s11
	v_add_co_u32_e32 v28, vcc, s10, v14
	v_add_f32_e32 v26, v44, v26
	v_add_f32_e32 v27, v45, v27
	v_addc_co_u32_e32 v29, vcc, v15, v29, vcc
	global_store_dwordx2 v[28:29], v[26:27], off offset:-4
	s_branch .LBB19_8
.LBB19_25:
	s_endpgm
	.section	.rodata,"a",@progbits
	.p2align	6, 0x0
	.amdhsa_kernel _ZN2at6native12_GLOBAL__N_125multi_tensor_apply_kernelINS1_18TensorListMetadataILi4EEENS1_32PointwiseOpScalar0dTensorFunctorIN3c107complexIfEELi4ELi2ELi3EEEJSt10multipliesIS8_ES8_EEEvT_T0_DpT1_
		.amdhsa_group_segment_fixed_size 0
		.amdhsa_private_segment_fixed_size 0
		.amdhsa_kernarg_size 3320
		.amdhsa_user_sgpr_count 6
		.amdhsa_user_sgpr_private_segment_buffer 1
		.amdhsa_user_sgpr_dispatch_ptr 0
		.amdhsa_user_sgpr_queue_ptr 0
		.amdhsa_user_sgpr_kernarg_segment_ptr 1
		.amdhsa_user_sgpr_dispatch_id 0
		.amdhsa_user_sgpr_flat_scratch_init 0
		.amdhsa_user_sgpr_kernarg_preload_length 0
		.amdhsa_user_sgpr_kernarg_preload_offset 0
		.amdhsa_user_sgpr_private_segment_size 0
		.amdhsa_uses_dynamic_stack 0
		.amdhsa_system_sgpr_private_segment_wavefront_offset 0
		.amdhsa_system_sgpr_workgroup_id_x 1
		.amdhsa_system_sgpr_workgroup_id_y 0
		.amdhsa_system_sgpr_workgroup_id_z 0
		.amdhsa_system_sgpr_workgroup_info 0
		.amdhsa_system_vgpr_workitem_id 0
		.amdhsa_next_free_vgpr 52
		.amdhsa_next_free_sgpr 49
		.amdhsa_accum_offset 52
		.amdhsa_reserve_vcc 1
		.amdhsa_reserve_flat_scratch 0
		.amdhsa_float_round_mode_32 0
		.amdhsa_float_round_mode_16_64 0
		.amdhsa_float_denorm_mode_32 3
		.amdhsa_float_denorm_mode_16_64 3
		.amdhsa_dx10_clamp 1
		.amdhsa_ieee_mode 1
		.amdhsa_fp16_overflow 0
		.amdhsa_tg_split 0
		.amdhsa_exception_fp_ieee_invalid_op 0
		.amdhsa_exception_fp_denorm_src 0
		.amdhsa_exception_fp_ieee_div_zero 0
		.amdhsa_exception_fp_ieee_overflow 0
		.amdhsa_exception_fp_ieee_underflow 0
		.amdhsa_exception_fp_ieee_inexact 0
		.amdhsa_exception_int_div_zero 0
	.end_amdhsa_kernel
	.section	.text._ZN2at6native12_GLOBAL__N_125multi_tensor_apply_kernelINS1_18TensorListMetadataILi4EEENS1_32PointwiseOpScalar0dTensorFunctorIN3c107complexIfEELi4ELi2ELi3EEEJSt10multipliesIS8_ES8_EEEvT_T0_DpT1_,"axG",@progbits,_ZN2at6native12_GLOBAL__N_125multi_tensor_apply_kernelINS1_18TensorListMetadataILi4EEENS1_32PointwiseOpScalar0dTensorFunctorIN3c107complexIfEELi4ELi2ELi3EEEJSt10multipliesIS8_ES8_EEEvT_T0_DpT1_,comdat
.Lfunc_end19:
	.size	_ZN2at6native12_GLOBAL__N_125multi_tensor_apply_kernelINS1_18TensorListMetadataILi4EEENS1_32PointwiseOpScalar0dTensorFunctorIN3c107complexIfEELi4ELi2ELi3EEEJSt10multipliesIS8_ES8_EEEvT_T0_DpT1_, .Lfunc_end19-_ZN2at6native12_GLOBAL__N_125multi_tensor_apply_kernelINS1_18TensorListMetadataILi4EEENS1_32PointwiseOpScalar0dTensorFunctorIN3c107complexIfEELi4ELi2ELi3EEEJSt10multipliesIS8_ES8_EEEvT_T0_DpT1_
                                        ; -- End function
	.section	.AMDGPU.csdata,"",@progbits
; Kernel info:
; codeLenInByte = 2204
; NumSgprs: 53
; NumVgprs: 52
; NumAgprs: 0
; TotalNumVgprs: 52
; ScratchSize: 0
; MemoryBound: 0
; FloatMode: 240
; IeeeMode: 1
; LDSByteSize: 0 bytes/workgroup (compile time only)
; SGPRBlocks: 6
; VGPRBlocks: 6
; NumSGPRsForWavesPerEU: 53
; NumVGPRsForWavesPerEU: 52
; AccumOffset: 52
; Occupancy: 8
; WaveLimiterHint : 0
; COMPUTE_PGM_RSRC2:SCRATCH_EN: 0
; COMPUTE_PGM_RSRC2:USER_SGPR: 6
; COMPUTE_PGM_RSRC2:TRAP_HANDLER: 0
; COMPUTE_PGM_RSRC2:TGID_X_EN: 1
; COMPUTE_PGM_RSRC2:TGID_Y_EN: 0
; COMPUTE_PGM_RSRC2:TGID_Z_EN: 0
; COMPUTE_PGM_RSRC2:TIDIG_COMP_CNT: 0
; COMPUTE_PGM_RSRC3_GFX90A:ACCUM_OFFSET: 12
; COMPUTE_PGM_RSRC3_GFX90A:TG_SPLIT: 0
	.section	.text._ZN2at6native12_GLOBAL__N_125multi_tensor_apply_kernelINS1_18TensorListMetadataILi4EEENS1_32PointwiseOpScalar0dTensorFunctorIN3c104HalfELi4ELi2ELi3EEEJSt10multipliesIfEfEEEvT_T0_DpT1_,"axG",@progbits,_ZN2at6native12_GLOBAL__N_125multi_tensor_apply_kernelINS1_18TensorListMetadataILi4EEENS1_32PointwiseOpScalar0dTensorFunctorIN3c104HalfELi4ELi2ELi3EEEJSt10multipliesIfEfEEEvT_T0_DpT1_,comdat
	.globl	_ZN2at6native12_GLOBAL__N_125multi_tensor_apply_kernelINS1_18TensorListMetadataILi4EEENS1_32PointwiseOpScalar0dTensorFunctorIN3c104HalfELi4ELi2ELi3EEEJSt10multipliesIfEfEEEvT_T0_DpT1_ ; -- Begin function _ZN2at6native12_GLOBAL__N_125multi_tensor_apply_kernelINS1_18TensorListMetadataILi4EEENS1_32PointwiseOpScalar0dTensorFunctorIN3c104HalfELi4ELi2ELi3EEEJSt10multipliesIfEfEEEvT_T0_DpT1_
	.p2align	8
	.type	_ZN2at6native12_GLOBAL__N_125multi_tensor_apply_kernelINS1_18TensorListMetadataILi4EEENS1_32PointwiseOpScalar0dTensorFunctorIN3c104HalfELi4ELi2ELi3EEEJSt10multipliesIfEfEEEvT_T0_DpT1_,@function
_ZN2at6native12_GLOBAL__N_125multi_tensor_apply_kernelINS1_18TensorListMetadataILi4EEENS1_32PointwiseOpScalar0dTensorFunctorIN3c104HalfELi4ELi2ELi3EEEJSt10multipliesIfEfEEEvT_T0_DpT1_: ; @_ZN2at6native12_GLOBAL__N_125multi_tensor_apply_kernelINS1_18TensorListMetadataILi4EEENS1_32PointwiseOpScalar0dTensorFunctorIN3c104HalfELi4ELi2ELi3EEEJSt10multipliesIfEfEEEvT_T0_DpT1_
; %bb.0:
	v_mov_b32_e32 v1, s6
	global_load_ubyte v1, v1, s[4:5] offset:1440
	s_add_u32 s0, s4, s6
	s_mul_hi_u32 s1, s6, 3
	s_mul_i32 s6, s6, 3
	s_addc_u32 s2, s5, 0
	s_add_u32 s0, s0, s6
	s_addc_u32 s1, s2, s1
	s_load_dword s0, s[0:1], 0x6e0
	v_mov_b32_e32 v3, 0
	s_mov_b32 s3, 0
	s_mov_b32 s11, s3
	s_waitcnt vmcnt(0)
	v_readfirstlane_b32 s1, v1
	s_lshl_b32 s2, s1, 3
	s_load_dwordx2 s[8:9], s[4:5], s2 offset:0x120
	s_load_dwordx2 s[14:15], s[4:5], s2 offset:0x240
	;; [unrolled: 1-line block ×4, first 2 shown]
	s_waitcnt lgkmcnt(0)
	s_ashr_i32 s1, s0, 31
	s_lshl_b64 s[6:7], s[0:1], 17
	global_load_ushort v1, v3, s[8:9]
	s_mov_b32 s9, s3
	s_add_u32 s25, s18, s6
	s_addc_u32 s26, s19, s7
	s_add_u32 s8, s8, s6
	s_load_dword s24, s[4:5], 0xbec
	s_load_dwordx2 s[12:13], s[4:5], s2 offset:0x480
	s_and_b32 s2, s25, 7
	s_and_b32 s8, s8, 7
	s_cmp_lg_u64 s[8:9], 0
	s_cselect_b64 s[8:9], -1, 0
	s_add_u32 s27, s14, s6
	s_addc_u32 s28, s15, s7
	s_add_u32 s29, s16, s6
	s_addc_u32 s30, s17, s7
	s_or_b32 s10, s29, s27
	s_and_b32 s10, s10, 7
	s_cmp_lg_u32 s10, 0
	s_cselect_b64 s[20:21], -1, 0
	s_lshl_b64 s[0:1], s[0:1], 16
	s_or_b64 s[20:21], s[20:21], s[8:9]
	s_waitcnt lgkmcnt(0)
	s_sub_u32 s8, s12, s0
	s_subb_u32 s9, s13, s1
	s_and_b32 s10, s12, 3
	s_or_b64 s[0:1], s[2:3], s[10:11]
	s_cmp_lg_u64 s[0:1], 0
	s_cselect_b64 s[0:1], -1, 0
	s_or_b64 s[0:1], s[20:21], s[0:1]
	s_andn2_b64 vcc, exec, s[0:1]
	s_mov_b64 s[0:1], -1
	s_waitcnt vmcnt(0)
	v_cvt_f32_f16_e32 v32, v1
	s_cbranch_vccz .LBB20_21
; %bb.1:
	v_lshlrev_b32_e32 v2, 2, v0
	v_cmp_gt_i64_e32 vcc, s[8:9], v[2:3]
	s_and_saveexec_b64 s[10:11], vcc
	s_cbranch_execz .LBB20_20
; %bb.2:
	s_load_dword s0, s[4:5], 0xbfc
	v_cmp_neq_f32_e64 s[20:21], s24, 1.0
	v_cndmask_b32_e64 v1, 0, 1, s[20:21]
	v_mov_b32_e32 v3, 0
	v_lshlrev_b32_e32 v4, 3, v0
	s_waitcnt lgkmcnt(0)
	s_and_b32 s0, s0, 0xffff
	v_add_lshl_u32 v2, v0, s0, 2
	s_lshl_b32 s31, s0, 2
	s_lshl_b32 s33, s0, 3
	s_mov_b64 s[12:13], 0
	v_cmp_ne_u32_e64 s[0:1], 1, v1
	s_mov_b64 s[22:23], 0xffff
	v_mov_b32_e32 v1, s3
	s_branch .LBB20_4
.LBB20_3:                               ;   in Loop: Header=BB20_4 Depth=1
	v_cvt_f16_f32_e32 v11, v6
	v_mov_b32_e32 v7, s30
	v_add_co_u32_e32 v6, vcc, s29, v4
	v_addc_co_u32_e32 v7, vcc, 0, v7, vcc
	v_cmp_le_i64_e32 vcc, s[8:9], v[2:3]
	v_cmp_lt_u64_e64 s[2:3], s[22:23], v[2:3]
	s_or_b64 s[2:3], vcc, s[2:3]
	s_add_u32 s25, s25, s33
	s_addc_u32 s26, s26, 0
	s_add_u32 s29, s29, s33
	v_cvt_f16_f32_e32 v8, v8
	v_cvt_f16_f32_e32 v5, v5
	;; [unrolled: 1-line block ×3, first 2 shown]
	s_addc_u32 s30, s30, 0
	s_add_u32 s27, s27, s33
	s_addc_u32 s28, s28, 0
	s_and_b64 s[2:3], exec, s[2:3]
	v_add_co_u32_e32 v2, vcc, s31, v2
	v_pack_b32_f16 v9, v8, v9
	v_pack_b32_f16 v8, v5, v11
	s_or_b64 s[12:13], s[2:3], s[12:13]
	v_addc_co_u32_e32 v3, vcc, v3, v1, vcc
	global_store_dwordx2 v[6:7], v[8:9], off
	s_andn2_b64 exec, exec, s[12:13]
	s_cbranch_execz .LBB20_20
.LBB20_4:                               ; =>This Inner Loop Header: Depth=1
	v_mov_b32_e32 v5, s26
	v_add_co_u32_e32 v6, vcc, s25, v4
	v_addc_co_u32_e32 v7, vcc, 0, v5, vcc
	v_mov_b32_e32 v5, s28
	v_add_co_u32_e32 v8, vcc, s27, v4
	v_addc_co_u32_e32 v9, vcc, 0, v5, vcc
	global_load_dwordx2 v[6:7], v[6:7], off
	s_and_b64 vcc, exec, s[20:21]
	global_load_dwordx2 v[8:9], v[8:9], off
	s_waitcnt vmcnt(1)
	v_cvt_f32_f16_e32 v10, v6
	s_waitcnt vmcnt(0)
	v_cvt_f32_f16_e32 v11, v8
	s_cbranch_vccz .LBB20_15
; %bb.5:                                ;   in Loop: Header=BB20_4 Depth=1
	v_mul_f32_e32 v5, v32, v11
	v_fma_f32 v5, s24, v5, v10
	s_cbranch_execnz .LBB20_7
.LBB20_6:                               ;   in Loop: Header=BB20_4 Depth=1
	v_fmac_f32_e32 v10, v32, v11
	v_mov_b32_e32 v5, v10
.LBB20_7:                               ;   in Loop: Header=BB20_4 Depth=1
	v_cvt_f32_f16_sdwa v10, v6 dst_sel:DWORD dst_unused:UNUSED_PAD src0_sel:WORD_1
	v_cvt_f32_f16_sdwa v8, v8 dst_sel:DWORD dst_unused:UNUSED_PAD src0_sel:WORD_1
	s_and_b64 vcc, exec, s[0:1]
	s_cbranch_vccnz .LBB20_16
; %bb.8:                                ;   in Loop: Header=BB20_4 Depth=1
	v_mul_f32_e32 v6, v32, v8
	v_fma_f32 v6, s24, v6, v10
	s_cbranch_execnz .LBB20_10
.LBB20_9:                               ;   in Loop: Header=BB20_4 Depth=1
	v_fmac_f32_e32 v10, v32, v8
	v_mov_b32_e32 v6, v10
.LBB20_10:                              ;   in Loop: Header=BB20_4 Depth=1
	v_cvt_f32_f16_e32 v10, v7
	v_cvt_f32_f16_e32 v11, v9
	s_and_b64 vcc, exec, s[0:1]
	s_cbranch_vccnz .LBB20_17
; %bb.11:                               ;   in Loop: Header=BB20_4 Depth=1
	v_mul_f32_e32 v8, v32, v11
	v_fma_f32 v8, s24, v8, v10
	s_cbranch_execnz .LBB20_13
.LBB20_12:                              ;   in Loop: Header=BB20_4 Depth=1
	v_fmac_f32_e32 v10, v32, v11
	v_mov_b32_e32 v8, v10
.LBB20_13:                              ;   in Loop: Header=BB20_4 Depth=1
	v_cvt_f32_f16_sdwa v7, v7 dst_sel:DWORD dst_unused:UNUSED_PAD src0_sel:WORD_1
	v_cvt_f32_f16_sdwa v9, v9 dst_sel:DWORD dst_unused:UNUSED_PAD src0_sel:WORD_1
	s_and_b64 vcc, exec, s[0:1]
	s_cbranch_vccnz .LBB20_18
; %bb.14:                               ;   in Loop: Header=BB20_4 Depth=1
	v_mul_f32_e32 v10, v32, v9
	v_fma_f32 v10, s24, v10, v7
	s_cbranch_execnz .LBB20_3
	s_branch .LBB20_19
.LBB20_15:                              ;   in Loop: Header=BB20_4 Depth=1
                                        ; implicit-def: $vgpr5
	s_branch .LBB20_6
.LBB20_16:                              ;   in Loop: Header=BB20_4 Depth=1
                                        ; implicit-def: $vgpr6
	s_branch .LBB20_9
.LBB20_17:                              ;   in Loop: Header=BB20_4 Depth=1
                                        ; implicit-def: $vgpr8
	s_branch .LBB20_12
.LBB20_18:                              ;   in Loop: Header=BB20_4 Depth=1
                                        ; implicit-def: $vgpr10
.LBB20_19:                              ;   in Loop: Header=BB20_4 Depth=1
	v_fmac_f32_e32 v7, v32, v9
	v_mov_b32_e32 v10, v7
	s_branch .LBB20_3
.LBB20_20:
	s_or_b64 exec, exec, s[10:11]
	s_mov_b64 s[0:1], 0
.LBB20_21:
	s_andn2_b64 vcc, exec, s[0:1]
	s_cbranch_vccnz .LBB20_57
; %bb.22:
	v_cmp_lt_i64_e64 s[0:1], s[8:9], 1
	s_and_b64 vcc, exec, s[0:1]
	s_cbranch_vccnz .LBB20_57
; %bb.23:
	s_load_dword s0, s[4:5], 0xbfc
	v_mov_b32_e32 v2, 0x10000
	v_mov_b32_e32 v3, 0
	v_cmp_lt_u64_e32 vcc, s[8:9], v[2:3]
	v_lshlrev_b32_e32 v14, 1, v0
	s_waitcnt lgkmcnt(0)
	s_and_b32 s21, s0, 0xffff
	s_and_b64 s[0:1], vcc, exec
	v_mov_b32_e32 v21, s19
	v_add_co_u32_e32 v2, vcc, s18, v14
	v_addc_co_u32_e32 v3, vcc, 0, v21, vcc
	v_mov_b32_e32 v23, s15
	v_add_co_u32_e32 v4, vcc, s14, v14
	v_mov_b32_e32 v1, 0
	v_addc_co_u32_e32 v5, vcc, 0, v23, vcc
	v_mov_b32_e32 v15, v1
	v_mov_b32_e32 v25, s17
	v_add_co_u32_e32 v6, vcc, s16, v14
	v_addc_co_u32_e32 v7, vcc, 0, v25, vcc
	v_mad_u64_u32 v[12:13], s[0:1], s21, 6, v[14:15]
	v_add_co_u32_e32 v8, vcc, s18, v12
	v_addc_co_u32_e32 v9, vcc, v21, v13, vcc
	v_add_co_u32_e32 v10, vcc, s14, v12
	v_addc_co_u32_e32 v11, vcc, v23, v13, vcc
	v_add_co_u32_e32 v12, vcc, s16, v12
	s_cselect_b32 s11, s9, 0
	s_cselect_b32 s10, s8, 0x10000
	s_lshl_b32 s12, s21, 2
	v_addc_co_u32_e32 v13, vcc, v25, v13, vcc
	v_add_co_u32_e32 v18, vcc, s12, v14
	v_addc_co_u32_e64 v19, s[0:1], 0, 0, vcc
	v_add_co_u32_e32 v14, vcc, s18, v18
	v_addc_co_u32_e32 v15, vcc, v21, v19, vcc
	v_add_co_u32_e32 v16, vcc, s14, v18
	v_addc_co_u32_e32 v17, vcc, v23, v19, vcc
	v_add_co_u32_e32 v18, vcc, s16, v18
	v_addc_co_u32_e32 v19, vcc, v25, v19, vcc
	v_add_lshl_u32 v24, v0, s21, 1
	v_add_co_u32_e32 v20, vcc, s18, v24
	v_addc_co_u32_e32 v21, vcc, 0, v21, vcc
	v_add_co_u32_e32 v22, vcc, s14, v24
	s_mov_b32 s20, 0
	v_addc_co_u32_e32 v23, vcc, 0, v23, vcc
	s_mov_b32 s13, s20
	v_add_co_u32_e32 v24, vcc, s16, v24
	v_cmp_neq_f32_e64 s[2:3], s24, 1.0
	s_mov_b64 s[4:5], 0x10000
	s_lshl_b32 s22, s21, 1
	s_mov_b32 s23, s20
	s_mul_i32 s25, s21, 3
	s_mov_b32 s26, s20
	s_lshl_b32 s19, s21, 3
	s_mov_b32 s27, s20
	v_addc_co_u32_e32 v25, vcc, 0, v25, vcc
	s_mov_b64 s[14:15], s[12:13]
	s_branch .LBB20_25
.LBB20_24:                              ;   in Loop: Header=BB20_25 Depth=1
	s_or_b64 exec, exec, s[0:1]
	v_pk_mov_b32 v[26:27], s[8:9], s[8:9] op_sel:[0,1]
	v_cmp_ge_i64_e32 vcc, s[14:15], v[26:27]
	v_mov_b32_e32 v26, 0xffff
	v_mov_b32_e32 v27, 0
	v_cmp_gt_u64_e64 s[0:1], s[14:15], v[26:27]
	s_or_b64 s[0:1], vcc, s[0:1]
	v_mov_b32_e32 v26, s27
	v_add_co_u32_e32 v2, vcc, s19, v2
	v_addc_co_u32_e32 v3, vcc, v3, v26, vcc
	v_add_co_u32_e32 v4, vcc, s19, v4
	v_addc_co_u32_e32 v5, vcc, v5, v26, vcc
	;; [unrolled: 2-line block ×3, first 2 shown]
	v_mov_b32_e32 v27, s13
	v_add_co_u32_e32 v0, vcc, s12, v0
	v_addc_co_u32_e32 v1, vcc, v1, v27, vcc
	v_add_co_u32_e32 v8, vcc, s19, v8
	v_addc_co_u32_e32 v9, vcc, v9, v26, vcc
	;; [unrolled: 2-line block ×9, first 2 shown]
	v_add_co_u32_e32 v24, vcc, s19, v24
	s_add_u32 s14, s14, s12
	v_addc_co_u32_e32 v25, vcc, v25, v26, vcc
	s_addc_u32 s15, s15, 0
	s_and_b64 vcc, exec, s[0:1]
	s_cbranch_vccnz .LBB20_57
.LBB20_25:                              ; =>This Inner Loop Header: Depth=1
	v_cmp_gt_i64_e32 vcc, s[8:9], v[0:1]
	v_cmp_gt_u64_e64 s[0:1], s[4:5], v[0:1]
	s_and_b64 s[16:17], vcc, s[0:1]
	v_mov_b32_e32 v34, 0
	v_mov_b32_e32 v35, 0
	s_and_saveexec_b64 s[0:1], s[16:17]
	s_cbranch_execz .LBB20_27
; %bb.26:                               ;   in Loop: Header=BB20_25 Depth=1
	v_mov_b32_e32 v29, s7
	v_add_co_u32_e32 v26, vcc, s6, v2
	v_addc_co_u32_e32 v27, vcc, v3, v29, vcc
	v_add_co_u32_e32 v28, vcc, s6, v4
	v_addc_co_u32_e32 v29, vcc, v5, v29, vcc
	global_load_ushort v35, v[26:27], off
	global_load_ushort v34, v[28:29], off
.LBB20_27:                              ;   in Loop: Header=BB20_25 Depth=1
	s_or_b64 exec, exec, s[0:1]
	v_mov_b32_e32 v27, s20
	v_add_co_u32_e32 v26, vcc, s21, v0
	v_addc_co_u32_e32 v27, vcc, v27, v1, vcc
	v_cmp_gt_i64_e32 vcc, s[8:9], v[26:27]
	v_cmp_gt_u64_e64 s[0:1], s[4:5], v[26:27]
	s_and_b64 s[16:17], vcc, s[0:1]
	v_mov_b32_e32 v33, 0
	v_mov_b32_e32 v36, 0
	;; [unrolled: 1-line block ×3, first 2 shown]
	s_and_saveexec_b64 s[0:1], s[16:17]
	s_cbranch_execz .LBB20_29
; %bb.28:                               ;   in Loop: Header=BB20_25 Depth=1
	v_mov_b32_e32 v31, s7
	v_add_co_u32_e32 v28, vcc, s6, v20
	v_addc_co_u32_e32 v29, vcc, v21, v31, vcc
	v_add_co_u32_e32 v30, vcc, s6, v22
	v_addc_co_u32_e32 v31, vcc, v23, v31, vcc
	global_load_ushort v37, v[28:29], off
	global_load_ushort v36, v[30:31], off
.LBB20_29:                              ;   in Loop: Header=BB20_25 Depth=1
	s_or_b64 exec, exec, s[0:1]
	v_mov_b32_e32 v29, s23
	v_add_co_u32_e32 v28, vcc, s22, v0
	v_addc_co_u32_e32 v29, vcc, v29, v1, vcc
	v_cmp_gt_i64_e32 vcc, s[8:9], v[28:29]
	v_cmp_gt_u64_e64 s[0:1], s[4:5], v[28:29]
	s_and_b64 s[16:17], vcc, s[0:1]
	v_mov_b32_e32 v38, 0
	s_and_saveexec_b64 s[0:1], s[16:17]
	s_cbranch_execz .LBB20_31
; %bb.30:                               ;   in Loop: Header=BB20_25 Depth=1
	v_mov_b32_e32 v33, s7
	v_add_co_u32_e32 v30, vcc, s6, v14
	v_addc_co_u32_e32 v31, vcc, v15, v33, vcc
	v_add_co_u32_e32 v40, vcc, s6, v16
	v_addc_co_u32_e32 v41, vcc, v17, v33, vcc
	global_load_ushort v38, v[30:31], off
	global_load_ushort v33, v[40:41], off
.LBB20_31:                              ;   in Loop: Header=BB20_25 Depth=1
	s_or_b64 exec, exec, s[0:1]
	v_mov_b32_e32 v31, s26
	v_add_co_u32_e32 v30, vcc, s25, v0
	v_addc_co_u32_e32 v31, vcc, v31, v1, vcc
	v_cmp_gt_i64_e32 vcc, s[8:9], v[30:31]
	v_cmp_gt_u64_e64 s[0:1], s[4:5], v[30:31]
	s_and_b64 s[16:17], vcc, s[0:1]
	v_mov_b32_e32 v39, 0
	v_mov_b32_e32 v40, 0
	s_and_saveexec_b64 s[0:1], s[16:17]
	s_cbranch_execz .LBB20_33
; %bb.32:                               ;   in Loop: Header=BB20_25 Depth=1
	v_mov_b32_e32 v39, s7
	v_add_co_u32_e32 v42, vcc, s6, v8
	v_addc_co_u32_e32 v43, vcc, v9, v39, vcc
	v_add_co_u32_e32 v44, vcc, s6, v10
	v_addc_co_u32_e32 v45, vcc, v11, v39, vcc
	global_load_ushort v40, v[42:43], off
	global_load_ushort v39, v[44:45], off
.LBB20_33:                              ;   in Loop: Header=BB20_25 Depth=1
	s_or_b64 exec, exec, s[0:1]
	s_waitcnt vmcnt(1)
	v_cvt_f32_f16_e32 v35, v35
	s_waitcnt vmcnt(0)
	v_cvt_f32_f16_e32 v41, v34
	s_and_b64 vcc, exec, s[2:3]
	s_cbranch_vccz .LBB20_53
; %bb.34:                               ;   in Loop: Header=BB20_25 Depth=1
	v_mul_f32_e32 v34, v32, v41
	v_fma_f32 v34, s24, v34, v35
	s_cbranch_execnz .LBB20_36
.LBB20_35:                              ;   in Loop: Header=BB20_25 Depth=1
	v_fmac_f32_e32 v35, v32, v41
	v_mov_b32_e32 v34, v35
.LBB20_36:                              ;   in Loop: Header=BB20_25 Depth=1
	v_cvt_f32_f16_e32 v37, v37
	v_cvt_f32_f16_e32 v36, v36
	v_cndmask_b32_e64 v35, 0, 1, s[2:3]
	v_cmp_ne_u32_e64 s[0:1], 1, v35
	s_andn2_b64 vcc, exec, s[2:3]
	s_cbranch_vccnz .LBB20_54
; %bb.37:                               ;   in Loop: Header=BB20_25 Depth=1
	v_mul_f32_e32 v35, v32, v36
	v_fma_f32 v35, s24, v35, v37
	s_cbranch_execnz .LBB20_39
.LBB20_38:                              ;   in Loop: Header=BB20_25 Depth=1
	v_fmac_f32_e32 v37, v32, v36
	v_mov_b32_e32 v35, v37
.LBB20_39:                              ;   in Loop: Header=BB20_25 Depth=1
	v_cvt_f32_f16_e32 v36, v38
	v_cvt_f32_f16_e32 v37, v33
	s_and_b64 vcc, exec, s[0:1]
	s_cbranch_vccnz .LBB20_55
; %bb.40:                               ;   in Loop: Header=BB20_25 Depth=1
	v_mul_f32_e32 v33, v32, v37
	v_fma_f32 v33, s24, v33, v36
	s_cbranch_execnz .LBB20_42
.LBB20_41:                              ;   in Loop: Header=BB20_25 Depth=1
	v_fmac_f32_e32 v36, v32, v37
	v_mov_b32_e32 v33, v36
.LBB20_42:                              ;   in Loop: Header=BB20_25 Depth=1
	v_cvt_f32_f16_e32 v37, v40
	v_cvt_f32_f16_e32 v38, v39
	s_and_b64 vcc, exec, s[0:1]
	s_cbranch_vccnz .LBB20_56
; %bb.43:                               ;   in Loop: Header=BB20_25 Depth=1
	v_mul_f32_e32 v36, v32, v38
	v_fma_f32 v36, s24, v36, v37
	s_cbranch_execnz .LBB20_45
.LBB20_44:                              ;   in Loop: Header=BB20_25 Depth=1
	v_fmac_f32_e32 v37, v32, v38
	v_mov_b32_e32 v36, v37
.LBB20_45:                              ;   in Loop: Header=BB20_25 Depth=1
	v_cmp_gt_u64_e32 vcc, s[10:11], v[0:1]
	s_and_saveexec_b64 s[0:1], vcc
	s_xor_b64 s[0:1], exec, s[0:1]
	s_cbranch_execz .LBB20_47
; %bb.46:                               ;   in Loop: Header=BB20_25 Depth=1
	v_cvt_f16_f32_e32 v34, v34
	v_mov_b32_e32 v37, s7
	v_add_co_u32_e32 v38, vcc, s6, v6
	v_addc_co_u32_e32 v39, vcc, v7, v37, vcc
	global_store_short v[38:39], v34, off
.LBB20_47:                              ;   in Loop: Header=BB20_25 Depth=1
	s_or_b64 exec, exec, s[0:1]
	v_cmp_gt_u64_e32 vcc, s[10:11], v[26:27]
	s_and_saveexec_b64 s[0:1], vcc
	s_cbranch_execnz .LBB20_50
; %bb.48:                               ;   in Loop: Header=BB20_25 Depth=1
	s_or_b64 exec, exec, s[0:1]
	v_cmp_gt_u64_e32 vcc, s[10:11], v[28:29]
	s_and_saveexec_b64 s[0:1], vcc
	s_cbranch_execnz .LBB20_51
.LBB20_49:                              ;   in Loop: Header=BB20_25 Depth=1
	s_or_b64 exec, exec, s[0:1]
	v_cmp_gt_u64_e32 vcc, s[10:11], v[30:31]
	s_and_saveexec_b64 s[0:1], vcc
	s_cbranch_execz .LBB20_24
	s_branch .LBB20_52
.LBB20_50:                              ;   in Loop: Header=BB20_25 Depth=1
	v_cvt_f16_f32_e32 v34, v35
	v_mov_b32_e32 v27, s7
	v_add_co_u32_e32 v26, vcc, s6, v24
	v_addc_co_u32_e32 v27, vcc, v25, v27, vcc
	global_store_short v[26:27], v34, off
	s_or_b64 exec, exec, s[0:1]
	v_cmp_gt_u64_e32 vcc, s[10:11], v[28:29]
	s_and_saveexec_b64 s[0:1], vcc
	s_cbranch_execz .LBB20_49
.LBB20_51:                              ;   in Loop: Header=BB20_25 Depth=1
	v_cvt_f16_f32_e32 v28, v33
	v_mov_b32_e32 v27, s7
	v_add_co_u32_e32 v26, vcc, s6, v18
	v_addc_co_u32_e32 v27, vcc, v19, v27, vcc
	global_store_short v[26:27], v28, off
	s_or_b64 exec, exec, s[0:1]
	v_cmp_gt_u64_e32 vcc, s[10:11], v[30:31]
	s_and_saveexec_b64 s[0:1], vcc
	s_cbranch_execz .LBB20_24
.LBB20_52:                              ;   in Loop: Header=BB20_25 Depth=1
	v_cvt_f16_f32_e32 v28, v36
	v_mov_b32_e32 v27, s7
	v_add_co_u32_e32 v26, vcc, s6, v12
	v_addc_co_u32_e32 v27, vcc, v13, v27, vcc
	global_store_short v[26:27], v28, off
	s_branch .LBB20_24
.LBB20_53:                              ;   in Loop: Header=BB20_25 Depth=1
                                        ; implicit-def: $vgpr34
	s_branch .LBB20_35
.LBB20_54:                              ;   in Loop: Header=BB20_25 Depth=1
                                        ; implicit-def: $vgpr35
	s_branch .LBB20_38
.LBB20_55:                              ;   in Loop: Header=BB20_25 Depth=1
                                        ; implicit-def: $vgpr33
	s_branch .LBB20_41
.LBB20_56:                              ;   in Loop: Header=BB20_25 Depth=1
                                        ; implicit-def: $vgpr36
	s_branch .LBB20_44
.LBB20_57:
	s_endpgm
	.section	.rodata,"a",@progbits
	.p2align	6, 0x0
	.amdhsa_kernel _ZN2at6native12_GLOBAL__N_125multi_tensor_apply_kernelINS1_18TensorListMetadataILi4EEENS1_32PointwiseOpScalar0dTensorFunctorIN3c104HalfELi4ELi2ELi3EEEJSt10multipliesIfEfEEEvT_T0_DpT1_
		.amdhsa_group_segment_fixed_size 0
		.amdhsa_private_segment_fixed_size 0
		.amdhsa_kernarg_size 3312
		.amdhsa_user_sgpr_count 6
		.amdhsa_user_sgpr_private_segment_buffer 1
		.amdhsa_user_sgpr_dispatch_ptr 0
		.amdhsa_user_sgpr_queue_ptr 0
		.amdhsa_user_sgpr_kernarg_segment_ptr 1
		.amdhsa_user_sgpr_dispatch_id 0
		.amdhsa_user_sgpr_flat_scratch_init 0
		.amdhsa_user_sgpr_kernarg_preload_length 0
		.amdhsa_user_sgpr_kernarg_preload_offset 0
		.amdhsa_user_sgpr_private_segment_size 0
		.amdhsa_uses_dynamic_stack 0
		.amdhsa_system_sgpr_private_segment_wavefront_offset 0
		.amdhsa_system_sgpr_workgroup_id_x 1
		.amdhsa_system_sgpr_workgroup_id_y 0
		.amdhsa_system_sgpr_workgroup_id_z 0
		.amdhsa_system_sgpr_workgroup_info 0
		.amdhsa_system_vgpr_workitem_id 0
		.amdhsa_next_free_vgpr 46
		.amdhsa_next_free_sgpr 34
		.amdhsa_accum_offset 48
		.amdhsa_reserve_vcc 1
		.amdhsa_reserve_flat_scratch 0
		.amdhsa_float_round_mode_32 0
		.amdhsa_float_round_mode_16_64 0
		.amdhsa_float_denorm_mode_32 3
		.amdhsa_float_denorm_mode_16_64 3
		.amdhsa_dx10_clamp 1
		.amdhsa_ieee_mode 1
		.amdhsa_fp16_overflow 0
		.amdhsa_tg_split 0
		.amdhsa_exception_fp_ieee_invalid_op 0
		.amdhsa_exception_fp_denorm_src 0
		.amdhsa_exception_fp_ieee_div_zero 0
		.amdhsa_exception_fp_ieee_overflow 0
		.amdhsa_exception_fp_ieee_underflow 0
		.amdhsa_exception_fp_ieee_inexact 0
		.amdhsa_exception_int_div_zero 0
	.end_amdhsa_kernel
	.section	.text._ZN2at6native12_GLOBAL__N_125multi_tensor_apply_kernelINS1_18TensorListMetadataILi4EEENS1_32PointwiseOpScalar0dTensorFunctorIN3c104HalfELi4ELi2ELi3EEEJSt10multipliesIfEfEEEvT_T0_DpT1_,"axG",@progbits,_ZN2at6native12_GLOBAL__N_125multi_tensor_apply_kernelINS1_18TensorListMetadataILi4EEENS1_32PointwiseOpScalar0dTensorFunctorIN3c104HalfELi4ELi2ELi3EEEJSt10multipliesIfEfEEEvT_T0_DpT1_,comdat
.Lfunc_end20:
	.size	_ZN2at6native12_GLOBAL__N_125multi_tensor_apply_kernelINS1_18TensorListMetadataILi4EEENS1_32PointwiseOpScalar0dTensorFunctorIN3c104HalfELi4ELi2ELi3EEEJSt10multipliesIfEfEEEvT_T0_DpT1_, .Lfunc_end20-_ZN2at6native12_GLOBAL__N_125multi_tensor_apply_kernelINS1_18TensorListMetadataILi4EEENS1_32PointwiseOpScalar0dTensorFunctorIN3c104HalfELi4ELi2ELi3EEEJSt10multipliesIfEfEEEvT_T0_DpT1_
                                        ; -- End function
	.section	.AMDGPU.csdata,"",@progbits
; Kernel info:
; codeLenInByte = 1912
; NumSgprs: 38
; NumVgprs: 46
; NumAgprs: 0
; TotalNumVgprs: 46
; ScratchSize: 0
; MemoryBound: 0
; FloatMode: 240
; IeeeMode: 1
; LDSByteSize: 0 bytes/workgroup (compile time only)
; SGPRBlocks: 4
; VGPRBlocks: 5
; NumSGPRsForWavesPerEU: 38
; NumVGPRsForWavesPerEU: 46
; AccumOffset: 48
; Occupancy: 8
; WaveLimiterHint : 0
; COMPUTE_PGM_RSRC2:SCRATCH_EN: 0
; COMPUTE_PGM_RSRC2:USER_SGPR: 6
; COMPUTE_PGM_RSRC2:TRAP_HANDLER: 0
; COMPUTE_PGM_RSRC2:TGID_X_EN: 1
; COMPUTE_PGM_RSRC2:TGID_Y_EN: 0
; COMPUTE_PGM_RSRC2:TGID_Z_EN: 0
; COMPUTE_PGM_RSRC2:TIDIG_COMP_CNT: 0
; COMPUTE_PGM_RSRC3_GFX90A:ACCUM_OFFSET: 11
; COMPUTE_PGM_RSRC3_GFX90A:TG_SPLIT: 0
	.section	.text._ZN2at6native12_GLOBAL__N_125multi_tensor_apply_kernelINS1_18TensorListMetadataILi4EEENS1_32PointwiseOpScalar0dTensorFunctorIN3c108BFloat16ELi4ELi2ELi3EEEJSt10multipliesIfEfEEEvT_T0_DpT1_,"axG",@progbits,_ZN2at6native12_GLOBAL__N_125multi_tensor_apply_kernelINS1_18TensorListMetadataILi4EEENS1_32PointwiseOpScalar0dTensorFunctorIN3c108BFloat16ELi4ELi2ELi3EEEJSt10multipliesIfEfEEEvT_T0_DpT1_,comdat
	.globl	_ZN2at6native12_GLOBAL__N_125multi_tensor_apply_kernelINS1_18TensorListMetadataILi4EEENS1_32PointwiseOpScalar0dTensorFunctorIN3c108BFloat16ELi4ELi2ELi3EEEJSt10multipliesIfEfEEEvT_T0_DpT1_ ; -- Begin function _ZN2at6native12_GLOBAL__N_125multi_tensor_apply_kernelINS1_18TensorListMetadataILi4EEENS1_32PointwiseOpScalar0dTensorFunctorIN3c108BFloat16ELi4ELi2ELi3EEEJSt10multipliesIfEfEEEvT_T0_DpT1_
	.p2align	8
	.type	_ZN2at6native12_GLOBAL__N_125multi_tensor_apply_kernelINS1_18TensorListMetadataILi4EEENS1_32PointwiseOpScalar0dTensorFunctorIN3c108BFloat16ELi4ELi2ELi3EEEJSt10multipliesIfEfEEEvT_T0_DpT1_,@function
_ZN2at6native12_GLOBAL__N_125multi_tensor_apply_kernelINS1_18TensorListMetadataILi4EEENS1_32PointwiseOpScalar0dTensorFunctorIN3c108BFloat16ELi4ELi2ELi3EEEJSt10multipliesIfEfEEEvT_T0_DpT1_: ; @_ZN2at6native12_GLOBAL__N_125multi_tensor_apply_kernelINS1_18TensorListMetadataILi4EEENS1_32PointwiseOpScalar0dTensorFunctorIN3c108BFloat16ELi4ELi2ELi3EEEJSt10multipliesIfEfEEEvT_T0_DpT1_
; %bb.0:
	v_mov_b32_e32 v1, s6
	global_load_ubyte v1, v1, s[4:5] offset:1440
	s_add_u32 s0, s4, s6
	s_mul_hi_u32 s1, s6, 3
	s_mul_i32 s6, s6, 3
	s_addc_u32 s2, s5, 0
	s_add_u32 s0, s0, s6
	s_addc_u32 s1, s2, s1
	s_load_dword s0, s[0:1], 0x6e0
	v_mov_b32_e32 v3, 0
	s_mov_b32 s3, 0
	s_mov_b32 s11, s3
	s_waitcnt vmcnt(0)
	v_readfirstlane_b32 s1, v1
	s_lshl_b32 s2, s1, 3
	s_load_dwordx2 s[8:9], s[4:5], s2 offset:0x120
	s_load_dwordx2 s[16:17], s[4:5], s2 offset:0x240
	;; [unrolled: 1-line block ×4, first 2 shown]
	s_waitcnt lgkmcnt(0)
	s_ashr_i32 s1, s0, 31
	s_lshl_b64 s[6:7], s[0:1], 17
	global_load_ushort v1, v3, s[8:9]
	s_add_u32 s8, s8, s6
	s_mov_b32 s9, s3
	s_load_dword s24, s[4:5], 0xbec
	s_load_dwordx2 s[12:13], s[4:5], s2 offset:0x480
	s_and_b32 s2, s18, 7
	s_and_b32 s8, s8, 7
	s_cmp_lg_u64 s[8:9], 0
	s_cselect_b64 s[8:9], -1, 0
	s_add_u32 s10, s16, s6
	s_or_b32 s10, s14, s10
	s_and_b32 s10, s10, 7
	s_cmp_lg_u32 s10, 0
	s_cselect_b64 s[20:21], -1, 0
	s_lshl_b64 s[0:1], s[0:1], 16
	s_or_b64 s[20:21], s[20:21], s[8:9]
	s_waitcnt lgkmcnt(0)
	s_sub_u32 s8, s12, s0
	s_subb_u32 s9, s13, s1
	s_and_b32 s10, s12, 3
	s_or_b64 s[0:1], s[2:3], s[10:11]
	s_cmp_lg_u64 s[0:1], 0
	s_cselect_b64 s[0:1], -1, 0
	s_or_b64 s[0:1], s[20:21], s[0:1]
	s_andn2_b64 vcc, exec, s[0:1]
	s_mov_b64 s[0:1], -1
	s_waitcnt vmcnt(0)
	v_lshlrev_b32_e32 v36, 16, v1
	s_cbranch_vccz .LBB21_21
; %bb.1:
	v_lshlrev_b32_e32 v2, 2, v0
	v_cmp_gt_i64_e32 vcc, s[8:9], v[2:3]
	s_and_saveexec_b64 s[10:11], vcc
	s_cbranch_execz .LBB21_20
; %bb.2:
	s_load_dword s0, s[4:5], 0xbfc
	v_lshlrev_b32_e32 v1, 3, v0
	v_cmp_neq_f32_e64 s[20:21], s24, 1.0
	v_mov_b32_e32 v2, s7
	v_add_co_u32_e32 v4, vcc, s6, v1
	s_waitcnt lgkmcnt(0)
	s_and_b32 s0, s0, 0xffff
	v_cndmask_b32_e64 v6, 0, 1, s[20:21]
	v_mov_b32_e32 v3, 0
	v_addc_co_u32_e32 v1, vcc, 0, v2, vcc
	s_lshl_b32 s25, s0, 3
	v_add_lshl_u32 v2, v0, s0, 2
	s_lshl_b32 s26, s0, 2
	s_mov_b64 s[12:13], 0
	v_mov_b32_e32 v5, s19
	v_mov_b32_e32 v10, s17
	v_cmp_ne_u32_e64 s[0:1], 1, v6
	s_movk_i32 s27, 0x7fff
	v_mov_b32_e32 v11, 0x7fc0
	v_mov_b32_e32 v12, 0x7fc00000
	;; [unrolled: 1-line block ×3, first 2 shown]
	s_mov_b64 s[22:23], 0xffff
	v_mov_b32_e32 v14, s3
	v_mov_b32_e32 v15, s3
	s_branch .LBB21_4
.LBB21_3:                               ;   in Loop: Header=BB21_4 Depth=1
	v_bfe_u32 v8, v16, 16, 1
	v_add3_u32 v8, v16, v8, s27
	v_bfe_u32 v9, v17, 16, 1
	v_lshrrev_b32_e32 v8, 16, v8
	v_cmp_o_f32_e32 vcc, v16, v16
	v_add3_u32 v9, v17, v9, s27
	v_cndmask_b32_e32 v8, v11, v8, vcc
	v_and_b32_e32 v9, 0xffff0000, v9
	v_cmp_o_f32_e32 vcc, v17, v17
	v_cndmask_b32_e32 v9, v12, v9, vcc
	v_or_b32_e32 v8, v9, v8
	v_bfe_u32 v9, v6, 16, 1
	v_add3_u32 v9, v6, v9, s27
	v_lshrrev_b32_e32 v9, 16, v9
	v_cmp_o_f32_e32 vcc, v6, v6
	v_cndmask_b32_e32 v6, v11, v9, vcc
	v_bfe_u32 v9, v7, 16, 1
	v_add3_u32 v9, v7, v9, s27
	v_and_b32_e32 v9, 0xffff0000, v9
	v_cmp_o_f32_e32 vcc, v7, v7
	v_cndmask_b32_e32 v7, v12, v9, vcc
	v_or3_b32 v7, 0, v6, v7
	v_or3_b32 v6, v8, 0, 0
	v_add_co_u32_e32 v8, vcc, s14, v4
	v_addc_co_u32_e32 v9, vcc, v13, v1, vcc
	v_cmp_le_i64_e32 vcc, s[8:9], v[2:3]
	v_cmp_lt_u64_e64 s[2:3], s[22:23], v[2:3]
	s_or_b64 s[2:3], vcc, s[2:3]
	v_add_co_u32_e32 v4, vcc, s25, v4
	v_addc_co_u32_e32 v1, vcc, v1, v14, vcc
	s_and_b64 s[2:3], exec, s[2:3]
	v_add_co_u32_e32 v2, vcc, s26, v2
	s_or_b64 s[12:13], s[2:3], s[12:13]
	v_addc_co_u32_e32 v3, vcc, v3, v15, vcc
	global_store_dwordx2 v[8:9], v[6:7], off
	s_andn2_b64 exec, exec, s[12:13]
	s_cbranch_execz .LBB21_20
.LBB21_4:                               ; =>This Inner Loop Header: Depth=1
	v_add_co_u32_e32 v6, vcc, s18, v4
	v_addc_co_u32_e32 v7, vcc, v5, v1, vcc
	v_add_co_u32_e32 v8, vcc, s16, v4
	v_addc_co_u32_e32 v9, vcc, v10, v1, vcc
	global_load_dwordx2 v[6:7], v[6:7], off
	s_and_b64 vcc, exec, s[20:21]
	global_load_dwordx2 v[8:9], v[8:9], off
	s_waitcnt vmcnt(1)
	v_lshlrev_b32_e32 v17, 16, v6
	s_waitcnt vmcnt(0)
	v_lshlrev_b32_e32 v18, 16, v8
	s_cbranch_vccz .LBB21_15
; %bb.5:                                ;   in Loop: Header=BB21_4 Depth=1
	v_mul_f32_e32 v16, v36, v18
	v_fma_f32 v16, s24, v16, v17
	s_cbranch_execnz .LBB21_7
.LBB21_6:                               ;   in Loop: Header=BB21_4 Depth=1
	v_fmac_f32_e32 v17, v36, v18
	v_mov_b32_e32 v16, v17
.LBB21_7:                               ;   in Loop: Header=BB21_4 Depth=1
	v_and_b32_e32 v18, 0xffff0000, v6
	s_and_b64 vcc, exec, s[0:1]
	v_and_b32_e32 v19, 0xffff0000, v8
	s_cbranch_vccnz .LBB21_16
; %bb.8:                                ;   in Loop: Header=BB21_4 Depth=1
	v_mul_f32_e32 v17, v36, v19
	v_fma_f32 v17, s24, v17, v18
	s_cbranch_execnz .LBB21_10
.LBB21_9:                               ;   in Loop: Header=BB21_4 Depth=1
	v_fmac_f32_e32 v18, v36, v19
	v_mov_b32_e32 v17, v18
.LBB21_10:                              ;   in Loop: Header=BB21_4 Depth=1
	v_alignbit_b32 v6, v7, v6, 16
	v_and_b32_e32 v18, 0xffff0000, v6
	v_alignbit_b32 v6, v9, v8, 16
	s_and_b64 vcc, exec, s[0:1]
	v_and_b32_e32 v8, 0xffff0000, v6
	s_cbranch_vccnz .LBB21_17
; %bb.11:                               ;   in Loop: Header=BB21_4 Depth=1
	v_mul_f32_e32 v6, v36, v8
	v_fma_f32 v6, s24, v6, v18
	s_cbranch_execnz .LBB21_13
.LBB21_12:                              ;   in Loop: Header=BB21_4 Depth=1
	v_fmac_f32_e32 v18, v36, v8
	v_mov_b32_e32 v6, v18
.LBB21_13:                              ;   in Loop: Header=BB21_4 Depth=1
	v_and_b32_e32 v8, 0xffff0000, v7
	s_and_b64 vcc, exec, s[0:1]
	v_and_b32_e32 v9, 0xffff0000, v9
	s_cbranch_vccnz .LBB21_18
; %bb.14:                               ;   in Loop: Header=BB21_4 Depth=1
	v_mul_f32_e32 v7, v36, v9
	v_fma_f32 v7, s24, v7, v8
	s_cbranch_execnz .LBB21_3
	s_branch .LBB21_19
.LBB21_15:                              ;   in Loop: Header=BB21_4 Depth=1
                                        ; implicit-def: $vgpr16
	s_branch .LBB21_6
.LBB21_16:                              ;   in Loop: Header=BB21_4 Depth=1
                                        ; implicit-def: $vgpr17
	s_branch .LBB21_9
.LBB21_17:                              ;   in Loop: Header=BB21_4 Depth=1
                                        ; implicit-def: $vgpr6
	s_branch .LBB21_12
.LBB21_18:                              ;   in Loop: Header=BB21_4 Depth=1
                                        ; implicit-def: $vgpr7
.LBB21_19:                              ;   in Loop: Header=BB21_4 Depth=1
	v_fmac_f32_e32 v8, v36, v9
	v_mov_b32_e32 v7, v8
	s_branch .LBB21_3
.LBB21_20:
	s_or_b64 exec, exec, s[10:11]
	s_mov_b64 s[0:1], 0
.LBB21_21:
	s_andn2_b64 vcc, exec, s[0:1]
	s_cbranch_vccnz .LBB21_57
; %bb.22:
	v_cmp_lt_i64_e64 s[0:1], s[8:9], 1
	s_and_b64 vcc, exec, s[0:1]
	s_cbranch_vccnz .LBB21_57
; %bb.23:
	s_load_dword s0, s[4:5], 0xbfc
	v_mov_b32_e32 v2, 0x10000
	v_mov_b32_e32 v3, 0
	v_cmp_lt_u64_e32 vcc, s[8:9], v[2:3]
	v_lshlrev_b32_e32 v14, 1, v0
	s_waitcnt lgkmcnt(0)
	s_and_b32 s21, s0, 0xffff
	s_and_b64 s[0:1], vcc, exec
	v_mov_b32_e32 v21, s19
	v_add_co_u32_e32 v2, vcc, s18, v14
	v_addc_co_u32_e32 v3, vcc, 0, v21, vcc
	v_mov_b32_e32 v23, s17
	v_add_co_u32_e32 v4, vcc, s16, v14
	v_mov_b32_e32 v1, 0
	v_addc_co_u32_e32 v5, vcc, 0, v23, vcc
	v_mov_b32_e32 v15, v1
	v_mov_b32_e32 v25, s15
	v_add_co_u32_e32 v6, vcc, s14, v14
	v_addc_co_u32_e32 v7, vcc, 0, v25, vcc
	v_mad_u64_u32 v[12:13], s[0:1], s21, 6, v[14:15]
	v_add_co_u32_e32 v8, vcc, s18, v12
	v_addc_co_u32_e32 v9, vcc, v21, v13, vcc
	v_add_co_u32_e32 v10, vcc, s16, v12
	v_addc_co_u32_e32 v11, vcc, v23, v13, vcc
	v_add_co_u32_e32 v12, vcc, s14, v12
	s_cselect_b32 s11, s9, 0
	s_cselect_b32 s10, s8, 0x10000
	s_lshl_b32 s12, s21, 2
	v_addc_co_u32_e32 v13, vcc, v25, v13, vcc
	v_add_co_u32_e32 v18, vcc, s12, v14
	v_addc_co_u32_e64 v19, s[0:1], 0, 0, vcc
	v_add_co_u32_e32 v14, vcc, s18, v18
	v_addc_co_u32_e32 v15, vcc, v21, v19, vcc
	v_add_co_u32_e32 v16, vcc, s16, v18
	v_addc_co_u32_e32 v17, vcc, v23, v19, vcc
	;; [unrolled: 2-line block ×3, first 2 shown]
	v_add_lshl_u32 v24, v0, s21, 1
	v_add_co_u32_e32 v20, vcc, s18, v24
	v_addc_co_u32_e32 v21, vcc, 0, v21, vcc
	v_add_co_u32_e32 v22, vcc, s16, v24
	s_mov_b32 s20, 0
	v_addc_co_u32_e32 v23, vcc, 0, v23, vcc
	s_mov_b32 s13, s20
	v_add_co_u32_e32 v24, vcc, s14, v24
	v_cmp_neq_f32_e64 s[2:3], s24, 1.0
	s_mov_b64 s[4:5], 0x10000
	s_lshl_b32 s22, s21, 1
	s_mov_b32 s23, s20
	s_mul_i32 s25, s21, 3
	s_mov_b32 s26, s20
	s_lshl_b32 s19, s21, 3
	s_mov_b32 s27, s20
	v_addc_co_u32_e32 v25, vcc, 0, v25, vcc
	s_movk_i32 s18, 0x7fff
	v_mov_b32_e32 v37, 0x7fc0
	s_mov_b64 s[14:15], s[12:13]
	s_branch .LBB21_25
.LBB21_24:                              ;   in Loop: Header=BB21_25 Depth=1
	s_or_b64 exec, exec, s[0:1]
	v_pk_mov_b32 v[26:27], s[8:9], s[8:9] op_sel:[0,1]
	v_cmp_ge_i64_e32 vcc, s[14:15], v[26:27]
	v_mov_b32_e32 v26, 0xffff
	v_mov_b32_e32 v27, 0
	v_cmp_gt_u64_e64 s[0:1], s[14:15], v[26:27]
	s_or_b64 s[0:1], vcc, s[0:1]
	v_mov_b32_e32 v26, s27
	v_add_co_u32_e32 v2, vcc, s19, v2
	v_addc_co_u32_e32 v3, vcc, v3, v26, vcc
	v_add_co_u32_e32 v4, vcc, s19, v4
	v_addc_co_u32_e32 v5, vcc, v5, v26, vcc
	;; [unrolled: 2-line block ×3, first 2 shown]
	v_mov_b32_e32 v27, s13
	v_add_co_u32_e32 v0, vcc, s12, v0
	v_addc_co_u32_e32 v1, vcc, v1, v27, vcc
	v_add_co_u32_e32 v8, vcc, s19, v8
	v_addc_co_u32_e32 v9, vcc, v9, v26, vcc
	v_add_co_u32_e32 v10, vcc, s19, v10
	v_addc_co_u32_e32 v11, vcc, v11, v26, vcc
	v_add_co_u32_e32 v12, vcc, s19, v12
	v_addc_co_u32_e32 v13, vcc, v13, v26, vcc
	v_add_co_u32_e32 v14, vcc, s19, v14
	v_addc_co_u32_e32 v15, vcc, v15, v26, vcc
	v_add_co_u32_e32 v16, vcc, s19, v16
	v_addc_co_u32_e32 v17, vcc, v17, v26, vcc
	v_add_co_u32_e32 v18, vcc, s19, v18
	v_addc_co_u32_e32 v19, vcc, v19, v26, vcc
	v_add_co_u32_e32 v20, vcc, s19, v20
	v_addc_co_u32_e32 v21, vcc, v21, v26, vcc
	v_add_co_u32_e32 v22, vcc, s19, v22
	v_addc_co_u32_e32 v23, vcc, v23, v26, vcc
	v_add_co_u32_e32 v24, vcc, s19, v24
	s_add_u32 s14, s14, s12
	v_addc_co_u32_e32 v25, vcc, v25, v26, vcc
	s_addc_u32 s15, s15, 0
	s_and_b64 vcc, exec, s[0:1]
	s_cbranch_vccnz .LBB21_57
.LBB21_25:                              ; =>This Inner Loop Header: Depth=1
	v_cmp_gt_i64_e32 vcc, s[8:9], v[0:1]
	v_cmp_gt_u64_e64 s[0:1], s[4:5], v[0:1]
	v_pk_mov_b32 v[30:31], 0, 0
	s_and_b64 s[16:17], vcc, s[0:1]
	v_pk_mov_b32 v[32:33], v[30:31], v[30:31] op_sel:[0,1]
	s_and_saveexec_b64 s[0:1], s[16:17]
	s_cbranch_execz .LBB21_27
; %bb.26:                               ;   in Loop: Header=BB21_25 Depth=1
	v_mov_b32_e32 v29, s7
	v_add_co_u32_e32 v26, vcc, s6, v2
	v_addc_co_u32_e32 v27, vcc, v3, v29, vcc
	v_add_co_u32_e32 v28, vcc, s6, v4
	v_addc_co_u32_e32 v29, vcc, v5, v29, vcc
	global_load_ushort v30, v[26:27], off
	global_load_ushort v31, v[28:29], off
	v_mov_b32_e32 v33, s20
	s_waitcnt vmcnt(1)
	v_and_b32_e32 v32, 0xffff, v30
	s_waitcnt vmcnt(0)
	v_and_b32_e32 v30, 0xffff, v31
	v_mov_b32_e32 v31, s20
.LBB21_27:                              ;   in Loop: Header=BB21_25 Depth=1
	s_or_b64 exec, exec, s[0:1]
	v_mov_b32_e32 v27, s20
	v_add_co_u32_e32 v26, vcc, s21, v0
	v_addc_co_u32_e32 v27, vcc, v27, v1, vcc
	v_cmp_gt_i64_e32 vcc, s[8:9], v[26:27]
	v_cmp_gt_u64_e64 s[0:1], s[4:5], v[26:27]
	s_and_b64 s[16:17], vcc, s[0:1]
	s_and_saveexec_b64 s[0:1], s[16:17]
	s_cbranch_execz .LBB21_29
; %bb.28:                               ;   in Loop: Header=BB21_25 Depth=1
	v_mov_b32_e32 v35, s7
	v_add_co_u32_e32 v28, vcc, s6, v22
	v_addc_co_u32_e32 v29, vcc, v23, v35, vcc
	v_add_co_u32_e32 v34, vcc, s6, v20
	v_addc_co_u32_e32 v35, vcc, v21, v35, vcc
	global_load_ushort v38, v[34:35], off
	global_load_ushort v39, v[28:29], off
	s_waitcnt vmcnt(1)
	v_lshl_or_b32 v32, v38, 16, v32
	s_waitcnt vmcnt(0)
	v_lshl_or_b32 v30, v39, 16, v30
.LBB21_29:                              ;   in Loop: Header=BB21_25 Depth=1
	s_or_b64 exec, exec, s[0:1]
	v_mov_b32_e32 v29, s23
	v_add_co_u32_e32 v28, vcc, s22, v0
	v_addc_co_u32_e32 v29, vcc, v29, v1, vcc
	v_cmp_gt_i64_e32 vcc, s[8:9], v[28:29]
	v_cmp_gt_u64_e64 s[0:1], s[4:5], v[28:29]
	s_and_b64 s[16:17], vcc, s[0:1]
	s_and_saveexec_b64 s[0:1], s[16:17]
	s_cbranch_execz .LBB21_31
; %bb.30:                               ;   in Loop: Header=BB21_25 Depth=1
	v_mov_b32_e32 v39, s7
	v_add_co_u32_e32 v34, vcc, s6, v16
	v_addc_co_u32_e32 v35, vcc, v17, v39, vcc
	v_add_co_u32_e32 v38, vcc, s6, v14
	v_addc_co_u32_e32 v39, vcc, v15, v39, vcc
	global_load_ushort v40, v[38:39], off
	global_load_ushort v41, v[34:35], off
	s_waitcnt vmcnt(1)
	v_or_b32_e32 v33, v40, v33
	s_waitcnt vmcnt(0)
	v_or_b32_e32 v31, v41, v31
.LBB21_31:                              ;   in Loop: Header=BB21_25 Depth=1
	s_or_b64 exec, exec, s[0:1]
	v_mov_b32_e32 v35, s26
	v_add_co_u32_e32 v34, vcc, s25, v0
	v_addc_co_u32_e32 v35, vcc, v35, v1, vcc
	v_cmp_gt_i64_e32 vcc, s[8:9], v[34:35]
	v_cmp_gt_u64_e64 s[0:1], s[4:5], v[34:35]
	s_and_b64 s[16:17], vcc, s[0:1]
	s_and_saveexec_b64 s[0:1], s[16:17]
	s_cbranch_execz .LBB21_33
; %bb.32:                               ;   in Loop: Header=BB21_25 Depth=1
	v_mov_b32_e32 v41, s7
	v_add_co_u32_e32 v38, vcc, s6, v10
	v_addc_co_u32_e32 v39, vcc, v11, v41, vcc
	v_add_co_u32_e32 v40, vcc, s6, v8
	v_addc_co_u32_e32 v41, vcc, v9, v41, vcc
	global_load_ushort v42, v[40:41], off
	global_load_ushort v43, v[38:39], off
	s_waitcnt vmcnt(1)
	v_lshlrev_b32_e32 v38, 16, v42
	s_waitcnt vmcnt(0)
	v_lshlrev_b32_e32 v39, 16, v43
	v_or_b32_e32 v33, v38, v33
	v_or_b32_e32 v31, v39, v31
.LBB21_33:                              ;   in Loop: Header=BB21_25 Depth=1
	s_or_b64 exec, exec, s[0:1]
	v_lshlrev_b32_e32 v39, 16, v32
	v_lshlrev_b32_e32 v40, 16, v30
	s_and_b64 vcc, exec, s[2:3]
	s_cbranch_vccz .LBB21_53
; %bb.34:                               ;   in Loop: Header=BB21_25 Depth=1
	v_mul_f32_e32 v38, v36, v40
	v_fma_f32 v38, s24, v38, v39
	s_cbranch_execnz .LBB21_36
.LBB21_35:                              ;   in Loop: Header=BB21_25 Depth=1
	v_fmac_f32_e32 v39, v36, v40
	v_mov_b32_e32 v38, v39
.LBB21_36:                              ;   in Loop: Header=BB21_25 Depth=1
	v_cndmask_b32_e64 v39, 0, 1, s[2:3]
	v_and_b32_e32 v40, 0xffff0000, v32
	v_cmp_ne_u32_e64 s[0:1], 1, v39
	s_andn2_b64 vcc, exec, s[2:3]
	v_and_b32_e32 v41, 0xffff0000, v30
	s_cbranch_vccnz .LBB21_54
; %bb.37:                               ;   in Loop: Header=BB21_25 Depth=1
	v_mul_f32_e32 v39, v36, v41
	v_fma_f32 v39, s24, v39, v40
	s_cbranch_execnz .LBB21_39
.LBB21_38:                              ;   in Loop: Header=BB21_25 Depth=1
	v_fmac_f32_e32 v40, v36, v41
	v_mov_b32_e32 v39, v40
.LBB21_39:                              ;   in Loop: Header=BB21_25 Depth=1
	v_alignbit_b32 v32, v33, v32, 16
	v_alignbit_b32 v30, v31, v30, 16
	v_and_b32_e32 v32, 0xffff0000, v32
	s_and_b64 vcc, exec, s[0:1]
	v_and_b32_e32 v40, 0xffff0000, v30
	s_cbranch_vccnz .LBB21_55
; %bb.40:                               ;   in Loop: Header=BB21_25 Depth=1
	v_mul_f32_e32 v30, v36, v40
	v_fma_f32 v30, s24, v30, v32
	s_cbranch_execnz .LBB21_42
.LBB21_41:                              ;   in Loop: Header=BB21_25 Depth=1
	v_fmac_f32_e32 v32, v36, v40
	v_mov_b32_e32 v30, v32
.LBB21_42:                              ;   in Loop: Header=BB21_25 Depth=1
	v_and_b32_e32 v32, 0xffff0000, v33
	s_and_b64 vcc, exec, s[0:1]
	v_and_b32_e32 v33, 0xffff0000, v31
	s_cbranch_vccnz .LBB21_56
; %bb.43:                               ;   in Loop: Header=BB21_25 Depth=1
	v_mul_f32_e32 v31, v36, v33
	v_fma_f32 v31, s24, v31, v32
	s_cbranch_execnz .LBB21_45
.LBB21_44:                              ;   in Loop: Header=BB21_25 Depth=1
	v_fmac_f32_e32 v32, v36, v33
	v_mov_b32_e32 v31, v32
.LBB21_45:                              ;   in Loop: Header=BB21_25 Depth=1
	v_cmp_gt_u64_e32 vcc, s[10:11], v[0:1]
	s_and_saveexec_b64 s[0:1], vcc
	s_xor_b64 s[0:1], exec, s[0:1]
	s_cbranch_execz .LBB21_47
; %bb.46:                               ;   in Loop: Header=BB21_25 Depth=1
	v_bfe_u32 v32, v38, 16, 1
	v_add3_u32 v32, v38, v32, s18
	v_lshrrev_b32_e32 v32, 16, v32
	v_cmp_o_f32_e32 vcc, v38, v38
	v_cndmask_b32_e32 v38, v37, v32, vcc
	v_mov_b32_e32 v33, s7
	v_add_co_u32_e32 v32, vcc, s6, v6
	v_addc_co_u32_e32 v33, vcc, v7, v33, vcc
	global_store_short v[32:33], v38, off
.LBB21_47:                              ;   in Loop: Header=BB21_25 Depth=1
	s_or_b64 exec, exec, s[0:1]
	v_cmp_gt_u64_e32 vcc, s[10:11], v[26:27]
	s_and_saveexec_b64 s[0:1], vcc
	s_cbranch_execnz .LBB21_50
; %bb.48:                               ;   in Loop: Header=BB21_25 Depth=1
	s_or_b64 exec, exec, s[0:1]
	v_cmp_gt_u64_e32 vcc, s[10:11], v[28:29]
	s_and_saveexec_b64 s[0:1], vcc
	s_cbranch_execnz .LBB21_51
.LBB21_49:                              ;   in Loop: Header=BB21_25 Depth=1
	s_or_b64 exec, exec, s[0:1]
	v_cmp_gt_u64_e32 vcc, s[10:11], v[34:35]
	s_and_saveexec_b64 s[0:1], vcc
	s_cbranch_execz .LBB21_24
	s_branch .LBB21_52
.LBB21_50:                              ;   in Loop: Header=BB21_25 Depth=1
	v_bfe_u32 v26, v39, 16, 1
	v_add3_u32 v26, v39, v26, s18
	v_lshrrev_b32_e32 v26, 16, v26
	v_cmp_o_f32_e32 vcc, v39, v39
	v_cndmask_b32_e32 v32, v37, v26, vcc
	v_mov_b32_e32 v27, s7
	v_add_co_u32_e32 v26, vcc, s6, v24
	v_addc_co_u32_e32 v27, vcc, v25, v27, vcc
	global_store_short v[26:27], v32, off
	s_or_b64 exec, exec, s[0:1]
	v_cmp_gt_u64_e32 vcc, s[10:11], v[28:29]
	s_and_saveexec_b64 s[0:1], vcc
	s_cbranch_execz .LBB21_49
.LBB21_51:                              ;   in Loop: Header=BB21_25 Depth=1
	v_bfe_u32 v26, v30, 16, 1
	v_add3_u32 v26, v30, v26, s18
	v_lshrrev_b32_e32 v26, 16, v26
	v_cmp_o_f32_e32 vcc, v30, v30
	v_cndmask_b32_e32 v28, v37, v26, vcc
	v_mov_b32_e32 v27, s7
	v_add_co_u32_e32 v26, vcc, s6, v18
	v_addc_co_u32_e32 v27, vcc, v19, v27, vcc
	global_store_short v[26:27], v28, off
	s_or_b64 exec, exec, s[0:1]
	v_cmp_gt_u64_e32 vcc, s[10:11], v[34:35]
	s_and_saveexec_b64 s[0:1], vcc
	s_cbranch_execz .LBB21_24
.LBB21_52:                              ;   in Loop: Header=BB21_25 Depth=1
	v_bfe_u32 v26, v31, 16, 1
	v_add3_u32 v26, v31, v26, s18
	v_lshrrev_b32_e32 v26, 16, v26
	v_cmp_o_f32_e32 vcc, v31, v31
	v_cndmask_b32_e32 v28, v37, v26, vcc
	v_mov_b32_e32 v27, s7
	v_add_co_u32_e32 v26, vcc, s6, v12
	v_addc_co_u32_e32 v27, vcc, v13, v27, vcc
	global_store_short v[26:27], v28, off
	s_branch .LBB21_24
.LBB21_53:                              ;   in Loop: Header=BB21_25 Depth=1
                                        ; implicit-def: $vgpr38
	s_branch .LBB21_35
.LBB21_54:                              ;   in Loop: Header=BB21_25 Depth=1
                                        ; implicit-def: $vgpr39
	s_branch .LBB21_38
.LBB21_55:                              ;   in Loop: Header=BB21_25 Depth=1
                                        ; implicit-def: $vgpr30
	s_branch .LBB21_41
.LBB21_56:                              ;   in Loop: Header=BB21_25 Depth=1
                                        ; implicit-def: $vgpr31
	s_branch .LBB21_44
.LBB21_57:
	s_endpgm
	.section	.rodata,"a",@progbits
	.p2align	6, 0x0
	.amdhsa_kernel _ZN2at6native12_GLOBAL__N_125multi_tensor_apply_kernelINS1_18TensorListMetadataILi4EEENS1_32PointwiseOpScalar0dTensorFunctorIN3c108BFloat16ELi4ELi2ELi3EEEJSt10multipliesIfEfEEEvT_T0_DpT1_
		.amdhsa_group_segment_fixed_size 0
		.amdhsa_private_segment_fixed_size 0
		.amdhsa_kernarg_size 3312
		.amdhsa_user_sgpr_count 6
		.amdhsa_user_sgpr_private_segment_buffer 1
		.amdhsa_user_sgpr_dispatch_ptr 0
		.amdhsa_user_sgpr_queue_ptr 0
		.amdhsa_user_sgpr_kernarg_segment_ptr 1
		.amdhsa_user_sgpr_dispatch_id 0
		.amdhsa_user_sgpr_flat_scratch_init 0
		.amdhsa_user_sgpr_kernarg_preload_length 0
		.amdhsa_user_sgpr_kernarg_preload_offset 0
		.amdhsa_user_sgpr_private_segment_size 0
		.amdhsa_uses_dynamic_stack 0
		.amdhsa_system_sgpr_private_segment_wavefront_offset 0
		.amdhsa_system_sgpr_workgroup_id_x 1
		.amdhsa_system_sgpr_workgroup_id_y 0
		.amdhsa_system_sgpr_workgroup_id_z 0
		.amdhsa_system_sgpr_workgroup_info 0
		.amdhsa_system_vgpr_workitem_id 0
		.amdhsa_next_free_vgpr 44
		.amdhsa_next_free_sgpr 28
		.amdhsa_accum_offset 44
		.amdhsa_reserve_vcc 1
		.amdhsa_reserve_flat_scratch 0
		.amdhsa_float_round_mode_32 0
		.amdhsa_float_round_mode_16_64 0
		.amdhsa_float_denorm_mode_32 3
		.amdhsa_float_denorm_mode_16_64 3
		.amdhsa_dx10_clamp 1
		.amdhsa_ieee_mode 1
		.amdhsa_fp16_overflow 0
		.amdhsa_tg_split 0
		.amdhsa_exception_fp_ieee_invalid_op 0
		.amdhsa_exception_fp_denorm_src 0
		.amdhsa_exception_fp_ieee_div_zero 0
		.amdhsa_exception_fp_ieee_overflow 0
		.amdhsa_exception_fp_ieee_underflow 0
		.amdhsa_exception_fp_ieee_inexact 0
		.amdhsa_exception_int_div_zero 0
	.end_amdhsa_kernel
	.section	.text._ZN2at6native12_GLOBAL__N_125multi_tensor_apply_kernelINS1_18TensorListMetadataILi4EEENS1_32PointwiseOpScalar0dTensorFunctorIN3c108BFloat16ELi4ELi2ELi3EEEJSt10multipliesIfEfEEEvT_T0_DpT1_,"axG",@progbits,_ZN2at6native12_GLOBAL__N_125multi_tensor_apply_kernelINS1_18TensorListMetadataILi4EEENS1_32PointwiseOpScalar0dTensorFunctorIN3c108BFloat16ELi4ELi2ELi3EEEJSt10multipliesIfEfEEEvT_T0_DpT1_,comdat
.Lfunc_end21:
	.size	_ZN2at6native12_GLOBAL__N_125multi_tensor_apply_kernelINS1_18TensorListMetadataILi4EEENS1_32PointwiseOpScalar0dTensorFunctorIN3c108BFloat16ELi4ELi2ELi3EEEJSt10multipliesIfEfEEEvT_T0_DpT1_, .Lfunc_end21-_ZN2at6native12_GLOBAL__N_125multi_tensor_apply_kernelINS1_18TensorListMetadataILi4EEENS1_32PointwiseOpScalar0dTensorFunctorIN3c108BFloat16ELi4ELi2ELi3EEEJSt10multipliesIfEfEEEvT_T0_DpT1_
                                        ; -- End function
	.section	.AMDGPU.csdata,"",@progbits
; Kernel info:
; codeLenInByte = 2264
; NumSgprs: 32
; NumVgprs: 44
; NumAgprs: 0
; TotalNumVgprs: 44
; ScratchSize: 0
; MemoryBound: 0
; FloatMode: 240
; IeeeMode: 1
; LDSByteSize: 0 bytes/workgroup (compile time only)
; SGPRBlocks: 3
; VGPRBlocks: 5
; NumSGPRsForWavesPerEU: 32
; NumVGPRsForWavesPerEU: 44
; AccumOffset: 44
; Occupancy: 8
; WaveLimiterHint : 0
; COMPUTE_PGM_RSRC2:SCRATCH_EN: 0
; COMPUTE_PGM_RSRC2:USER_SGPR: 6
; COMPUTE_PGM_RSRC2:TRAP_HANDLER: 0
; COMPUTE_PGM_RSRC2:TGID_X_EN: 1
; COMPUTE_PGM_RSRC2:TGID_Y_EN: 0
; COMPUTE_PGM_RSRC2:TGID_Z_EN: 0
; COMPUTE_PGM_RSRC2:TIDIG_COMP_CNT: 0
; COMPUTE_PGM_RSRC3_GFX90A:ACCUM_OFFSET: 10
; COMPUTE_PGM_RSRC3_GFX90A:TG_SPLIT: 0
	.section	.text._ZN2at6native12_GLOBAL__N_125multi_tensor_apply_kernelINS1_18TensorListMetadataILi3EEENS1_24PointwiseOpScalarFunctorIhLi3ELi3ELi0EEEJSt10multipliesIhEhEEEvT_T0_DpT1_,"axG",@progbits,_ZN2at6native12_GLOBAL__N_125multi_tensor_apply_kernelINS1_18TensorListMetadataILi3EEENS1_24PointwiseOpScalarFunctorIhLi3ELi3ELi0EEEJSt10multipliesIhEhEEEvT_T0_DpT1_,comdat
	.globl	_ZN2at6native12_GLOBAL__N_125multi_tensor_apply_kernelINS1_18TensorListMetadataILi3EEENS1_24PointwiseOpScalarFunctorIhLi3ELi3ELi0EEEJSt10multipliesIhEhEEEvT_T0_DpT1_ ; -- Begin function _ZN2at6native12_GLOBAL__N_125multi_tensor_apply_kernelINS1_18TensorListMetadataILi3EEENS1_24PointwiseOpScalarFunctorIhLi3ELi3ELi0EEEJSt10multipliesIhEhEEEvT_T0_DpT1_
	.p2align	8
	.type	_ZN2at6native12_GLOBAL__N_125multi_tensor_apply_kernelINS1_18TensorListMetadataILi3EEENS1_24PointwiseOpScalarFunctorIhLi3ELi3ELi0EEEJSt10multipliesIhEhEEEvT_T0_DpT1_,@function
_ZN2at6native12_GLOBAL__N_125multi_tensor_apply_kernelINS1_18TensorListMetadataILi3EEENS1_24PointwiseOpScalarFunctorIhLi3ELi3ELi0EEEJSt10multipliesIhEhEEEvT_T0_DpT1_: ; @_ZN2at6native12_GLOBAL__N_125multi_tensor_apply_kernelINS1_18TensorListMetadataILi3EEENS1_24PointwiseOpScalarFunctorIhLi3ELi3ELi0EEEJSt10multipliesIhEhEEEvT_T0_DpT1_
; %bb.0:
	v_mov_b32_e32 v1, s6
	global_load_ubyte v1, v1, s[4:5] offset:1536
	s_add_u32 s0, s4, s6
	s_mul_hi_u32 s1, s6, 3
	s_mul_i32 s6, s6, 3
	s_addc_u32 s2, s5, 0
	s_add_u32 s0, s0, s6
	s_addc_u32 s1, s2, s1
	s_load_dword s2, s[0:1], 0x740
	s_load_dword s22, s[4:5], 0xc48
	s_mov_b32 s15, 0
	s_waitcnt lgkmcnt(0)
	s_ashr_i32 s3, s2, 31
	s_lshl_b64 s[8:9], s[2:3], 16
	s_waitcnt vmcnt(0)
	v_readfirstlane_b32 s0, v1
	s_lshl_b32 s10, s0, 3
	s_load_dwordx2 s[0:1], s[4:5], s10 offset:0x0
	s_load_dwordx2 s[2:3], s[4:5], s10 offset:0x180
	;; [unrolled: 1-line block ×4, first 2 shown]
	s_waitcnt lgkmcnt(0)
	s_add_u32 s10, s0, s8
	s_addc_u32 s11, s1, s9
	s_add_u32 s20, s2, s8
	s_addc_u32 s23, s3, s9
	;; [unrolled: 2-line block ×3, first 2 shown]
	s_or_b32 s12, s21, s20
	s_and_b32 s12, s12, 3
	s_cmp_eq_u32 s12, 0
	s_cselect_b64 s[18:19], -1, 0
	s_sub_u32 s12, s16, s8
	s_subb_u32 s13, s17, s9
	s_or_b64 s[16:17], s[16:17], s[10:11]
	s_and_b32 s14, s16, 3
	s_cmp_eq_u64 s[14:15], 0
	s_cselect_b64 s[14:15], -1, 0
	s_and_b64 s[16:17], s[18:19], s[14:15]
	s_mov_b64 s[14:15], -1
	s_and_b64 vcc, exec, s[16:17]
	s_cbranch_vccnz .LBB22_29
; %bb.1:
	v_cmp_lt_i64_e64 s[14:15], s[12:13], 1
	s_and_b64 vcc, exec, s[14:15]
	s_cbranch_vccnz .LBB22_28
; %bb.2:
	s_load_dword s14, s[4:5], 0xc5c
	v_mov_b32_e32 v2, 0x10000
	v_mov_b32_e32 v3, 0
	v_cmp_lt_u64_e32 vcc, s[12:13], v[2:3]
	v_mov_b32_e32 v1, s9
	s_waitcnt lgkmcnt(0)
	s_and_b32 s18, s14, 0xffff
	s_and_b64 s[14:15], vcc, exec
	v_add_co_u32_e32 v23, vcc, s8, v0
	v_addc_co_u32_e32 v24, vcc, 0, v1, vcc
	v_mov_b32_e32 v25, s1
	v_add_co_u32_e32 v1, vcc, s0, v23
	v_addc_co_u32_e32 v2, vcc, v25, v24, vcc
	v_mov_b32_e32 v26, s3
	v_add_co_u32_e32 v3, vcc, s2, v23
	s_cselect_b32 s15, s13, 0
	s_cselect_b32 s14, s12, 0x10000
	s_lshl_b32 s19, s18, 1
	s_mul_i32 s16, s18, 3
	s_lshl_b32 s25, s18, 2
	v_addc_co_u32_e32 v4, vcc, v26, v24, vcc
	v_mov_b32_e32 v28, s7
	v_add_co_u32_e32 v5, vcc, s6, v23
	s_add_u32 s1, s8, s16
	v_addc_co_u32_e32 v6, vcc, v28, v24, vcc
	s_addc_u32 s3, s9, 0
	v_mov_b32_e32 v7, s3
	v_add_co_u32_e32 v11, vcc, s1, v0
	v_addc_co_u32_e32 v12, vcc, 0, v7, vcc
	v_add_co_u32_e32 v7, vcc, s0, v11
	v_addc_co_u32_e32 v8, vcc, v25, v12, vcc
	;; [unrolled: 2-line block ×4, first 2 shown]
	s_add_u32 s1, s8, s19
	v_add_co_u32_e32 v13, vcc, s16, v0
	s_addc_u32 s3, s9, 0
	v_addc_co_u32_e64 v14, s[16:17], 0, 0, vcc
	v_mov_b32_e32 v15, s3
	v_add_co_u32_e32 v19, vcc, s1, v0
	v_addc_co_u32_e32 v20, vcc, 0, v15, vcc
	v_add_co_u32_e32 v15, vcc, s0, v19
	v_addc_co_u32_e32 v16, vcc, v25, v20, vcc
	;; [unrolled: 2-line block ×4, first 2 shown]
	v_add_co_u32_e32 v21, vcc, s19, v0
	v_addc_co_u32_e64 v22, s[8:9], 0, 0, vcc
	v_add_co_u32_e32 v27, vcc, s18, v23
	v_addc_co_u32_e32 v29, vcc, 0, v24, vcc
	v_add_co_u32_e32 v23, vcc, s0, v27
	v_addc_co_u32_e32 v24, vcc, v25, v29, vcc
	;; [unrolled: 2-line block ×4, first 2 shown]
	v_add_co_u32_e32 v29, vcc, s18, v0
	v_addc_co_u32_e64 v30, s[0:1], 0, 0, vcc
	s_mov_b64 s[16:17], 0
	s_lshr_b32 s26, s22, 16
	s_branch .LBB22_4
.LBB22_3:                               ;   in Loop: Header=BB22_4 Depth=1
	s_or_b64 exec, exec, s[0:1]
	s_add_u32 s16, s16, s25
	s_addc_u32 s17, s17, 0
	s_waitcnt vmcnt(0)
	v_pk_mov_b32 v[32:33], s[12:13], s[12:13] op_sel:[0,1]
	v_cmp_lt_i64_e32 vcc, s[16:17], v[32:33]
	v_mov_b32_e32 v32, 0x10000
	v_mov_b32_e32 v33, 0
	v_cmp_lt_u64_e64 s[0:1], s[16:17], v[32:33]
	s_and_b64 s[0:1], vcc, s[0:1]
	s_and_b64 vcc, exec, s[0:1]
	s_cbranch_vccz .LBB22_28
.LBB22_4:                               ; =>This Inner Loop Header: Depth=1
	v_mov_b32_e32 v31, s17
	v_add_co_u32_e32 v32, vcc, s16, v0
	v_addc_co_u32_e32 v33, vcc, 0, v31, vcc
	v_cmp_gt_u64_e32 vcc, s[14:15], v[32:33]
	v_mov_b32_e32 v31, 0
	v_mov_b32_e32 v32, 0
	s_and_saveexec_b64 s[2:3], vcc
	s_cbranch_execz .LBB22_6
; %bb.5:                                ;   in Loop: Header=BB22_4 Depth=1
	v_mov_b32_e32 v31, s17
	v_add_co_u32_e64 v34, s[0:1], s16, v1
	v_addc_co_u32_e64 v35, s[0:1], v2, v31, s[0:1]
	v_add_co_u32_e64 v36, s[0:1], s16, v3
	v_addc_co_u32_e64 v37, s[0:1], v4, v31, s[0:1]
	global_load_ubyte v31, v[34:35], off
	global_load_ubyte v32, v[36:37], off
.LBB22_6:                               ;   in Loop: Header=BB22_4 Depth=1
	s_or_b64 exec, exec, s[2:3]
	v_mov_b32_e32 v33, 0
	v_mov_b32_e32 v34, 0
	s_and_saveexec_b64 s[2:3], vcc
	s_cbranch_execz .LBB22_8
; %bb.7:                                ;   in Loop: Header=BB22_4 Depth=1
	v_mov_b32_e32 v35, s17
	v_add_co_u32_e64 v34, s[0:1], s16, v5
	v_addc_co_u32_e64 v35, s[0:1], v6, v35, s[0:1]
	global_load_ubyte v34, v[34:35], off
.LBB22_8:                               ;   in Loop: Header=BB22_4 Depth=1
	s_or_b64 exec, exec, s[2:3]
	v_mov_b32_e32 v35, s17
	v_add_co_u32_e64 v36, s[0:1], s16, v29
	v_addc_co_u32_e64 v37, s[0:1], v30, v35, s[0:1]
	v_cmp_gt_u64_e64 s[0:1], s[14:15], v[36:37]
	v_mov_b32_e32 v35, 0
	s_and_saveexec_b64 s[6:7], s[0:1]
	s_cbranch_execz .LBB22_10
; %bb.9:                                ;   in Loop: Header=BB22_4 Depth=1
	v_mov_b32_e32 v33, s17
	v_add_co_u32_e64 v36, s[2:3], s16, v25
	v_addc_co_u32_e64 v37, s[2:3], v26, v33, s[2:3]
	v_add_co_u32_e64 v38, s[2:3], s16, v23
	v_addc_co_u32_e64 v39, s[2:3], v24, v33, s[2:3]
	global_load_ubyte v33, v[38:39], off
	global_load_ubyte v35, v[36:37], off
.LBB22_10:                              ;   in Loop: Header=BB22_4 Depth=1
	s_or_b64 exec, exec, s[6:7]
	v_mov_b32_e32 v36, 0
	v_mov_b32_e32 v37, 0
	s_and_saveexec_b64 s[6:7], s[0:1]
	s_cbranch_execz .LBB22_12
; %bb.11:                               ;   in Loop: Header=BB22_4 Depth=1
	v_mov_b32_e32 v37, s17
	v_add_co_u32_e64 v38, s[2:3], s16, v27
	v_addc_co_u32_e64 v39, s[2:3], v28, v37, s[2:3]
	global_load_ubyte v37, v[38:39], off
.LBB22_12:                              ;   in Loop: Header=BB22_4 Depth=1
	s_or_b64 exec, exec, s[6:7]
	v_mov_b32_e32 v39, s17
	v_add_co_u32_e64 v38, s[2:3], s16, v21
	v_addc_co_u32_e64 v39, s[2:3], v22, v39, s[2:3]
	v_cmp_gt_u64_e64 s[2:3], s[14:15], v[38:39]
	v_mov_b32_e32 v38, 0
	s_and_saveexec_b64 s[8:9], s[2:3]
	s_cbranch_execz .LBB22_14
; %bb.13:                               ;   in Loop: Header=BB22_4 Depth=1
	v_mov_b32_e32 v36, s17
	v_add_co_u32_e64 v40, s[6:7], s16, v17
	v_addc_co_u32_e64 v41, s[6:7], v18, v36, s[6:7]
	v_add_co_u32_e64 v42, s[6:7], s16, v15
	v_addc_co_u32_e64 v43, s[6:7], v16, v36, s[6:7]
	global_load_ubyte v36, v[42:43], off
	global_load_ubyte v38, v[40:41], off
.LBB22_14:                              ;   in Loop: Header=BB22_4 Depth=1
	s_or_b64 exec, exec, s[8:9]
	v_mov_b32_e32 v39, 0
	v_mov_b32_e32 v40, 0
	s_and_saveexec_b64 s[8:9], s[2:3]
	s_cbranch_execz .LBB22_16
; %bb.15:                               ;   in Loop: Header=BB22_4 Depth=1
	v_mov_b32_e32 v41, s17
	v_add_co_u32_e64 v40, s[6:7], s16, v19
	v_addc_co_u32_e64 v41, s[6:7], v20, v41, s[6:7]
	global_load_ubyte v40, v[40:41], off
.LBB22_16:                              ;   in Loop: Header=BB22_4 Depth=1
	s_or_b64 exec, exec, s[8:9]
	v_mov_b32_e32 v41, s17
	v_add_co_u32_e64 v42, s[6:7], s16, v13
	v_addc_co_u32_e64 v43, s[6:7], v14, v41, s[6:7]
	v_cmp_gt_u64_e64 s[6:7], s[14:15], v[42:43]
	v_mov_b32_e32 v41, 0
	s_and_saveexec_b64 s[18:19], s[6:7]
	s_cbranch_execnz .LBB22_22
; %bb.17:                               ;   in Loop: Header=BB22_4 Depth=1
	s_or_b64 exec, exec, s[18:19]
	v_mov_b32_e32 v42, 0
	s_and_saveexec_b64 s[18:19], s[6:7]
	s_cbranch_execnz .LBB22_23
.LBB22_18:                              ;   in Loop: Header=BB22_4 Depth=1
	s_or_b64 exec, exec, s[18:19]
	s_and_saveexec_b64 s[8:9], vcc
	s_cbranch_execnz .LBB22_24
.LBB22_19:                              ;   in Loop: Header=BB22_4 Depth=1
	s_or_b64 exec, exec, s[8:9]
	s_and_saveexec_b64 s[8:9], s[0:1]
	s_cbranch_execnz .LBB22_25
.LBB22_20:                              ;   in Loop: Header=BB22_4 Depth=1
	s_or_b64 exec, exec, s[8:9]
	s_and_saveexec_b64 s[0:1], s[2:3]
	s_cbranch_execnz .LBB22_26
.LBB22_21:                              ;   in Loop: Header=BB22_4 Depth=1
	s_or_b64 exec, exec, s[0:1]
	s_and_saveexec_b64 s[0:1], s[6:7]
	s_cbranch_execz .LBB22_3
	s_branch .LBB22_27
.LBB22_22:                              ;   in Loop: Header=BB22_4 Depth=1
	v_mov_b32_e32 v39, s17
	v_add_co_u32_e64 v42, s[8:9], s16, v9
	v_addc_co_u32_e64 v43, s[8:9], v10, v39, s[8:9]
	v_add_co_u32_e64 v44, s[8:9], s16, v7
	v_addc_co_u32_e64 v45, s[8:9], v8, v39, s[8:9]
	global_load_ubyte v39, v[44:45], off
	global_load_ubyte v41, v[42:43], off
	s_or_b64 exec, exec, s[18:19]
	v_mov_b32_e32 v42, 0
	s_and_saveexec_b64 s[18:19], s[6:7]
	s_cbranch_execz .LBB22_18
.LBB22_23:                              ;   in Loop: Header=BB22_4 Depth=1
	v_mov_b32_e32 v43, s17
	v_add_co_u32_e64 v42, s[8:9], s16, v11
	v_addc_co_u32_e64 v43, s[8:9], v12, v43, s[8:9]
	global_load_ubyte v42, v[42:43], off
	s_or_b64 exec, exec, s[18:19]
	s_and_saveexec_b64 s[8:9], vcc
	s_cbranch_execz .LBB22_19
.LBB22_24:                              ;   in Loop: Header=BB22_4 Depth=1
	s_waitcnt vmcnt(0)
	v_mul_lo_u16_e32 v32, s26, v32
	v_mad_legacy_u16 v31, v32, v34, v31
	v_mov_b32_e32 v32, s17
	v_add_co_u32_e32 v44, vcc, s16, v1
	v_addc_co_u32_e32 v45, vcc, v2, v32, vcc
	global_store_byte v[44:45], v31, off
	s_or_b64 exec, exec, s[8:9]
	s_and_saveexec_b64 s[8:9], s[0:1]
	s_cbranch_execz .LBB22_20
.LBB22_25:                              ;   in Loop: Header=BB22_4 Depth=1
	s_waitcnt vmcnt(0)
	v_mul_lo_u16_e32 v31, s26, v35
	v_mad_legacy_u16 v31, v31, v37, v33
	v_mov_b32_e32 v33, s17
	v_add_co_u32_e32 v32, vcc, s16, v23
	v_addc_co_u32_e32 v33, vcc, v24, v33, vcc
	global_store_byte v[32:33], v31, off
	s_or_b64 exec, exec, s[8:9]
	s_and_saveexec_b64 s[0:1], s[2:3]
	s_cbranch_execz .LBB22_21
.LBB22_26:                              ;   in Loop: Header=BB22_4 Depth=1
	s_waitcnt vmcnt(0)
	v_mul_lo_u16_e32 v31, s26, v38
	v_mov_b32_e32 v33, s17
	v_add_co_u32_e32 v32, vcc, s16, v15
	v_mad_legacy_u16 v31, v31, v40, v36
	v_addc_co_u32_e32 v33, vcc, v16, v33, vcc
	global_store_byte v[32:33], v31, off
	s_or_b64 exec, exec, s[0:1]
	s_and_saveexec_b64 s[0:1], s[6:7]
	s_cbranch_execz .LBB22_3
.LBB22_27:                              ;   in Loop: Header=BB22_4 Depth=1
	s_waitcnt vmcnt(0)
	v_mul_lo_u16_e32 v31, s26, v41
	v_mov_b32_e32 v33, s17
	v_add_co_u32_e32 v32, vcc, s16, v7
	v_mad_legacy_u16 v31, v31, v42, v39
	v_addc_co_u32_e32 v33, vcc, v8, v33, vcc
	global_store_byte v[32:33], v31, off
	s_branch .LBB22_3
.LBB22_28:
	s_mov_b64 s[14:15], 0
.LBB22_29:
	s_andn2_b64 vcc, exec, s[14:15]
	s_cbranch_vccnz .LBB22_33
; %bb.30:
	v_lshlrev_b32_e32 v0, 2, v0
	v_mov_b32_e32 v1, 0
	v_cmp_gt_i64_e32 vcc, s[12:13], v[0:1]
	s_and_saveexec_b64 s[0:1], vcc
	s_cbranch_execz .LBB22_33
; %bb.31:
	s_load_dword s0, s[4:5], 0xc5c
	s_mov_b32 s1, 0
	s_mov_b64 s[2:3], 0
	s_lshr_b32 s6, s22, 16
	v_mov_b32_e32 v2, s11
	s_waitcnt lgkmcnt(0)
	s_and_b32 s0, s0, 0xffff
	s_lshl_b32 s7, s0, 2
	v_mov_b32_e32 v3, s23
	v_mov_b32_e32 v4, s24
	s_mov_b32 s8, 0x6050400
	v_mov_b32_e32 v5, s1
	s_mov_b64 s[4:5], 0xffff
.LBB22_32:                              ; =>This Inner Loop Header: Depth=1
	v_add_co_u32_e32 v6, vcc, s10, v0
	v_addc_co_u32_e32 v7, vcc, v2, v1, vcc
	v_add_co_u32_e32 v8, vcc, s20, v0
	v_addc_co_u32_e32 v9, vcc, v3, v1, vcc
	v_add_co_u32_e32 v10, vcc, s21, v0
	v_addc_co_u32_e32 v11, vcc, v4, v1, vcc
	global_load_dword v12, v[8:9], off
	global_load_dword v13, v[6:7], off
	;; [unrolled: 1-line block ×3, first 2 shown]
	v_add_co_u32_e32 v0, vcc, s7, v0
	v_addc_co_u32_e32 v1, vcc, v5, v1, vcc
	v_cmp_le_i64_e32 vcc, s[12:13], v[0:1]
	v_cmp_lt_u64_e64 s[0:1], s[4:5], v[0:1]
	s_or_b64 s[0:1], vcc, s[0:1]
	s_and_b64 s[0:1], exec, s[0:1]
	s_or_b64 s[2:3], s[0:1], s[2:3]
	s_waitcnt vmcnt(2)
	v_lshrrev_b32_e32 v10, 8, v12
	v_mul_lo_u16_e32 v8, s6, v12
	s_waitcnt vmcnt(1)
	v_lshrrev_b32_e32 v9, 8, v13
	s_waitcnt vmcnt(0)
	v_lshrrev_b32_e32 v11, 8, v14
	v_lshrrev_b32_e32 v15, 16, v13
	;; [unrolled: 1-line block ×3, first 2 shown]
	v_mul_lo_u16_sdwa v17, v12, s6 dst_sel:DWORD dst_unused:UNUSED_PAD src0_sel:WORD_1 src1_sel:DWORD
	v_mul_lo_u16_e32 v10, s6, v10
	v_lshrrev_b32_e32 v18, 24, v13
	v_lshrrev_b32_e32 v19, 24, v14
	v_mul_lo_u16_sdwa v12, v12, s6 dst_sel:DWORD dst_unused:UNUSED_PAD src0_sel:BYTE_3 src1_sel:DWORD
	v_mad_legacy_u16 v8, v8, v14, v13
	v_mad_legacy_u16 v13, v17, v16, v15
	;; [unrolled: 1-line block ×4, first 2 shown]
	v_and_b32_e32 v10, 0xff, v13
	v_and_b32_e32 v9, 0xff, v9
	v_lshlrev_b32_e32 v11, 24, v12
	v_lshlrev_b32_e32 v10, 16, v10
	v_perm_b32 v8, v9, v8, s8
	v_or3_b32 v8, v8, v10, v11
	global_store_dword v[6:7], v8, off
	s_andn2_b64 exec, exec, s[2:3]
	s_cbranch_execnz .LBB22_32
.LBB22_33:
	s_endpgm
	.section	.rodata,"a",@progbits
	.p2align	6, 0x0
	.amdhsa_kernel _ZN2at6native12_GLOBAL__N_125multi_tensor_apply_kernelINS1_18TensorListMetadataILi3EEENS1_24PointwiseOpScalarFunctorIhLi3ELi3ELi0EEEJSt10multipliesIhEhEEEvT_T0_DpT1_
		.amdhsa_group_segment_fixed_size 0
		.amdhsa_private_segment_fixed_size 0
		.amdhsa_kernarg_size 3408
		.amdhsa_user_sgpr_count 6
		.amdhsa_user_sgpr_private_segment_buffer 1
		.amdhsa_user_sgpr_dispatch_ptr 0
		.amdhsa_user_sgpr_queue_ptr 0
		.amdhsa_user_sgpr_kernarg_segment_ptr 1
		.amdhsa_user_sgpr_dispatch_id 0
		.amdhsa_user_sgpr_flat_scratch_init 0
		.amdhsa_user_sgpr_kernarg_preload_length 0
		.amdhsa_user_sgpr_kernarg_preload_offset 0
		.amdhsa_user_sgpr_private_segment_size 0
		.amdhsa_uses_dynamic_stack 0
		.amdhsa_system_sgpr_private_segment_wavefront_offset 0
		.amdhsa_system_sgpr_workgroup_id_x 1
		.amdhsa_system_sgpr_workgroup_id_y 0
		.amdhsa_system_sgpr_workgroup_id_z 0
		.amdhsa_system_sgpr_workgroup_info 0
		.amdhsa_system_vgpr_workitem_id 0
		.amdhsa_next_free_vgpr 46
		.amdhsa_next_free_sgpr 27
		.amdhsa_accum_offset 48
		.amdhsa_reserve_vcc 1
		.amdhsa_reserve_flat_scratch 0
		.amdhsa_float_round_mode_32 0
		.amdhsa_float_round_mode_16_64 0
		.amdhsa_float_denorm_mode_32 3
		.amdhsa_float_denorm_mode_16_64 3
		.amdhsa_dx10_clamp 1
		.amdhsa_ieee_mode 1
		.amdhsa_fp16_overflow 0
		.amdhsa_tg_split 0
		.amdhsa_exception_fp_ieee_invalid_op 0
		.amdhsa_exception_fp_denorm_src 0
		.amdhsa_exception_fp_ieee_div_zero 0
		.amdhsa_exception_fp_ieee_overflow 0
		.amdhsa_exception_fp_ieee_underflow 0
		.amdhsa_exception_fp_ieee_inexact 0
		.amdhsa_exception_int_div_zero 0
	.end_amdhsa_kernel
	.section	.text._ZN2at6native12_GLOBAL__N_125multi_tensor_apply_kernelINS1_18TensorListMetadataILi3EEENS1_24PointwiseOpScalarFunctorIhLi3ELi3ELi0EEEJSt10multipliesIhEhEEEvT_T0_DpT1_,"axG",@progbits,_ZN2at6native12_GLOBAL__N_125multi_tensor_apply_kernelINS1_18TensorListMetadataILi3EEENS1_24PointwiseOpScalarFunctorIhLi3ELi3ELi0EEEJSt10multipliesIhEhEEEvT_T0_DpT1_,comdat
.Lfunc_end22:
	.size	_ZN2at6native12_GLOBAL__N_125multi_tensor_apply_kernelINS1_18TensorListMetadataILi3EEENS1_24PointwiseOpScalarFunctorIhLi3ELi3ELi0EEEJSt10multipliesIhEhEEEvT_T0_DpT1_, .Lfunc_end22-_ZN2at6native12_GLOBAL__N_125multi_tensor_apply_kernelINS1_18TensorListMetadataILi3EEENS1_24PointwiseOpScalarFunctorIhLi3ELi3ELi0EEEJSt10multipliesIhEhEEEvT_T0_DpT1_
                                        ; -- End function
	.section	.AMDGPU.csdata,"",@progbits
; Kernel info:
; codeLenInByte = 1712
; NumSgprs: 31
; NumVgprs: 46
; NumAgprs: 0
; TotalNumVgprs: 46
; ScratchSize: 0
; MemoryBound: 0
; FloatMode: 240
; IeeeMode: 1
; LDSByteSize: 0 bytes/workgroup (compile time only)
; SGPRBlocks: 3
; VGPRBlocks: 5
; NumSGPRsForWavesPerEU: 31
; NumVGPRsForWavesPerEU: 46
; AccumOffset: 48
; Occupancy: 8
; WaveLimiterHint : 0
; COMPUTE_PGM_RSRC2:SCRATCH_EN: 0
; COMPUTE_PGM_RSRC2:USER_SGPR: 6
; COMPUTE_PGM_RSRC2:TRAP_HANDLER: 0
; COMPUTE_PGM_RSRC2:TGID_X_EN: 1
; COMPUTE_PGM_RSRC2:TGID_Y_EN: 0
; COMPUTE_PGM_RSRC2:TGID_Z_EN: 0
; COMPUTE_PGM_RSRC2:TIDIG_COMP_CNT: 0
; COMPUTE_PGM_RSRC3_GFX90A:ACCUM_OFFSET: 11
; COMPUTE_PGM_RSRC3_GFX90A:TG_SPLIT: 0
	.section	.text._ZN2at6native12_GLOBAL__N_125multi_tensor_apply_kernelINS1_18TensorListMetadataILi3EEENS1_24PointwiseOpScalarFunctorIaLi3ELi3ELi0EEEJSt10multipliesIaEaEEEvT_T0_DpT1_,"axG",@progbits,_ZN2at6native12_GLOBAL__N_125multi_tensor_apply_kernelINS1_18TensorListMetadataILi3EEENS1_24PointwiseOpScalarFunctorIaLi3ELi3ELi0EEEJSt10multipliesIaEaEEEvT_T0_DpT1_,comdat
	.globl	_ZN2at6native12_GLOBAL__N_125multi_tensor_apply_kernelINS1_18TensorListMetadataILi3EEENS1_24PointwiseOpScalarFunctorIaLi3ELi3ELi0EEEJSt10multipliesIaEaEEEvT_T0_DpT1_ ; -- Begin function _ZN2at6native12_GLOBAL__N_125multi_tensor_apply_kernelINS1_18TensorListMetadataILi3EEENS1_24PointwiseOpScalarFunctorIaLi3ELi3ELi0EEEJSt10multipliesIaEaEEEvT_T0_DpT1_
	.p2align	8
	.type	_ZN2at6native12_GLOBAL__N_125multi_tensor_apply_kernelINS1_18TensorListMetadataILi3EEENS1_24PointwiseOpScalarFunctorIaLi3ELi3ELi0EEEJSt10multipliesIaEaEEEvT_T0_DpT1_,@function
_ZN2at6native12_GLOBAL__N_125multi_tensor_apply_kernelINS1_18TensorListMetadataILi3EEENS1_24PointwiseOpScalarFunctorIaLi3ELi3ELi0EEEJSt10multipliesIaEaEEEvT_T0_DpT1_: ; @_ZN2at6native12_GLOBAL__N_125multi_tensor_apply_kernelINS1_18TensorListMetadataILi3EEENS1_24PointwiseOpScalarFunctorIaLi3ELi3ELi0EEEJSt10multipliesIaEaEEEvT_T0_DpT1_
; %bb.0:
	v_mov_b32_e32 v1, s6
	global_load_ubyte v1, v1, s[4:5] offset:1536
	s_add_u32 s0, s4, s6
	s_mul_hi_u32 s1, s6, 3
	s_mul_i32 s6, s6, 3
	s_addc_u32 s2, s5, 0
	s_add_u32 s0, s0, s6
	s_addc_u32 s1, s2, s1
	s_load_dword s2, s[0:1], 0x740
	s_load_dword s22, s[4:5], 0xc48
	s_mov_b32 s15, 0
	s_waitcnt lgkmcnt(0)
	s_ashr_i32 s3, s2, 31
	s_lshl_b64 s[8:9], s[2:3], 16
	s_waitcnt vmcnt(0)
	v_readfirstlane_b32 s0, v1
	s_lshl_b32 s10, s0, 3
	s_load_dwordx2 s[0:1], s[4:5], s10 offset:0x0
	s_load_dwordx2 s[2:3], s[4:5], s10 offset:0x180
	;; [unrolled: 1-line block ×4, first 2 shown]
	s_waitcnt lgkmcnt(0)
	s_add_u32 s10, s0, s8
	s_addc_u32 s11, s1, s9
	s_add_u32 s20, s2, s8
	s_addc_u32 s23, s3, s9
	;; [unrolled: 2-line block ×3, first 2 shown]
	s_or_b32 s12, s21, s20
	s_and_b32 s12, s12, 3
	s_cmp_eq_u32 s12, 0
	s_cselect_b64 s[18:19], -1, 0
	s_sub_u32 s12, s16, s8
	s_subb_u32 s13, s17, s9
	s_or_b64 s[16:17], s[16:17], s[10:11]
	s_and_b32 s14, s16, 3
	s_cmp_eq_u64 s[14:15], 0
	s_cselect_b64 s[14:15], -1, 0
	s_and_b64 s[16:17], s[18:19], s[14:15]
	s_mov_b64 s[14:15], -1
	s_and_b64 vcc, exec, s[16:17]
	s_cbranch_vccnz .LBB23_29
; %bb.1:
	v_cmp_lt_i64_e64 s[14:15], s[12:13], 1
	s_and_b64 vcc, exec, s[14:15]
	s_cbranch_vccnz .LBB23_28
; %bb.2:
	s_load_dword s14, s[4:5], 0xc5c
	v_mov_b32_e32 v2, 0x10000
	v_mov_b32_e32 v3, 0
	v_cmp_lt_u64_e32 vcc, s[12:13], v[2:3]
	v_mov_b32_e32 v1, s9
	s_waitcnt lgkmcnt(0)
	s_and_b32 s18, s14, 0xffff
	s_and_b64 s[14:15], vcc, exec
	v_add_co_u32_e32 v23, vcc, s8, v0
	v_addc_co_u32_e32 v24, vcc, 0, v1, vcc
	v_mov_b32_e32 v25, s1
	v_add_co_u32_e32 v1, vcc, s0, v23
	v_addc_co_u32_e32 v2, vcc, v25, v24, vcc
	v_mov_b32_e32 v26, s3
	v_add_co_u32_e32 v3, vcc, s2, v23
	s_cselect_b32 s15, s13, 0
	s_cselect_b32 s14, s12, 0x10000
	s_lshl_b32 s19, s18, 1
	s_mul_i32 s16, s18, 3
	s_lshl_b32 s25, s18, 2
	v_addc_co_u32_e32 v4, vcc, v26, v24, vcc
	v_mov_b32_e32 v28, s7
	v_add_co_u32_e32 v5, vcc, s6, v23
	s_add_u32 s1, s8, s16
	v_addc_co_u32_e32 v6, vcc, v28, v24, vcc
	s_addc_u32 s3, s9, 0
	v_mov_b32_e32 v7, s3
	v_add_co_u32_e32 v11, vcc, s1, v0
	v_addc_co_u32_e32 v12, vcc, 0, v7, vcc
	v_add_co_u32_e32 v7, vcc, s0, v11
	v_addc_co_u32_e32 v8, vcc, v25, v12, vcc
	;; [unrolled: 2-line block ×4, first 2 shown]
	s_add_u32 s1, s8, s19
	v_add_co_u32_e32 v13, vcc, s16, v0
	s_addc_u32 s3, s9, 0
	v_addc_co_u32_e64 v14, s[16:17], 0, 0, vcc
	v_mov_b32_e32 v15, s3
	v_add_co_u32_e32 v19, vcc, s1, v0
	v_addc_co_u32_e32 v20, vcc, 0, v15, vcc
	v_add_co_u32_e32 v15, vcc, s0, v19
	v_addc_co_u32_e32 v16, vcc, v25, v20, vcc
	;; [unrolled: 2-line block ×4, first 2 shown]
	v_add_co_u32_e32 v21, vcc, s19, v0
	v_addc_co_u32_e64 v22, s[8:9], 0, 0, vcc
	v_add_co_u32_e32 v27, vcc, s18, v23
	v_addc_co_u32_e32 v29, vcc, 0, v24, vcc
	v_add_co_u32_e32 v23, vcc, s0, v27
	v_addc_co_u32_e32 v24, vcc, v25, v29, vcc
	;; [unrolled: 2-line block ×4, first 2 shown]
	v_add_co_u32_e32 v29, vcc, s18, v0
	v_addc_co_u32_e64 v30, s[0:1], 0, 0, vcc
	s_mov_b64 s[16:17], 0
	s_lshr_b32 s26, s22, 16
	s_branch .LBB23_4
.LBB23_3:                               ;   in Loop: Header=BB23_4 Depth=1
	s_or_b64 exec, exec, s[0:1]
	s_add_u32 s16, s16, s25
	s_addc_u32 s17, s17, 0
	s_waitcnt vmcnt(0)
	v_pk_mov_b32 v[32:33], s[12:13], s[12:13] op_sel:[0,1]
	v_cmp_lt_i64_e32 vcc, s[16:17], v[32:33]
	v_mov_b32_e32 v32, 0x10000
	v_mov_b32_e32 v33, 0
	v_cmp_lt_u64_e64 s[0:1], s[16:17], v[32:33]
	s_and_b64 s[0:1], vcc, s[0:1]
	s_and_b64 vcc, exec, s[0:1]
	s_cbranch_vccz .LBB23_28
.LBB23_4:                               ; =>This Inner Loop Header: Depth=1
	v_mov_b32_e32 v31, s17
	v_add_co_u32_e32 v32, vcc, s16, v0
	v_addc_co_u32_e32 v33, vcc, 0, v31, vcc
	v_cmp_gt_u64_e32 vcc, s[14:15], v[32:33]
	v_mov_b32_e32 v31, 0
	v_mov_b32_e32 v32, 0
	s_and_saveexec_b64 s[2:3], vcc
	s_cbranch_execz .LBB23_6
; %bb.5:                                ;   in Loop: Header=BB23_4 Depth=1
	v_mov_b32_e32 v31, s17
	v_add_co_u32_e64 v34, s[0:1], s16, v1
	v_addc_co_u32_e64 v35, s[0:1], v2, v31, s[0:1]
	v_add_co_u32_e64 v36, s[0:1], s16, v3
	v_addc_co_u32_e64 v37, s[0:1], v4, v31, s[0:1]
	global_load_ubyte v31, v[34:35], off
	global_load_ubyte v32, v[36:37], off
.LBB23_6:                               ;   in Loop: Header=BB23_4 Depth=1
	s_or_b64 exec, exec, s[2:3]
	v_mov_b32_e32 v33, 0
	v_mov_b32_e32 v34, 0
	s_and_saveexec_b64 s[2:3], vcc
	s_cbranch_execz .LBB23_8
; %bb.7:                                ;   in Loop: Header=BB23_4 Depth=1
	v_mov_b32_e32 v35, s17
	v_add_co_u32_e64 v34, s[0:1], s16, v5
	v_addc_co_u32_e64 v35, s[0:1], v6, v35, s[0:1]
	global_load_ubyte v34, v[34:35], off
.LBB23_8:                               ;   in Loop: Header=BB23_4 Depth=1
	s_or_b64 exec, exec, s[2:3]
	v_mov_b32_e32 v35, s17
	v_add_co_u32_e64 v36, s[0:1], s16, v29
	v_addc_co_u32_e64 v37, s[0:1], v30, v35, s[0:1]
	v_cmp_gt_u64_e64 s[0:1], s[14:15], v[36:37]
	v_mov_b32_e32 v35, 0
	s_and_saveexec_b64 s[6:7], s[0:1]
	s_cbranch_execz .LBB23_10
; %bb.9:                                ;   in Loop: Header=BB23_4 Depth=1
	v_mov_b32_e32 v33, s17
	v_add_co_u32_e64 v36, s[2:3], s16, v25
	v_addc_co_u32_e64 v37, s[2:3], v26, v33, s[2:3]
	v_add_co_u32_e64 v38, s[2:3], s16, v23
	v_addc_co_u32_e64 v39, s[2:3], v24, v33, s[2:3]
	global_load_ubyte v33, v[38:39], off
	global_load_ubyte v35, v[36:37], off
.LBB23_10:                              ;   in Loop: Header=BB23_4 Depth=1
	s_or_b64 exec, exec, s[6:7]
	v_mov_b32_e32 v36, 0
	v_mov_b32_e32 v37, 0
	s_and_saveexec_b64 s[6:7], s[0:1]
	s_cbranch_execz .LBB23_12
; %bb.11:                               ;   in Loop: Header=BB23_4 Depth=1
	v_mov_b32_e32 v37, s17
	v_add_co_u32_e64 v38, s[2:3], s16, v27
	v_addc_co_u32_e64 v39, s[2:3], v28, v37, s[2:3]
	global_load_ubyte v37, v[38:39], off
.LBB23_12:                              ;   in Loop: Header=BB23_4 Depth=1
	s_or_b64 exec, exec, s[6:7]
	v_mov_b32_e32 v39, s17
	v_add_co_u32_e64 v38, s[2:3], s16, v21
	v_addc_co_u32_e64 v39, s[2:3], v22, v39, s[2:3]
	v_cmp_gt_u64_e64 s[2:3], s[14:15], v[38:39]
	v_mov_b32_e32 v38, 0
	s_and_saveexec_b64 s[8:9], s[2:3]
	s_cbranch_execz .LBB23_14
; %bb.13:                               ;   in Loop: Header=BB23_4 Depth=1
	v_mov_b32_e32 v36, s17
	v_add_co_u32_e64 v40, s[6:7], s16, v17
	v_addc_co_u32_e64 v41, s[6:7], v18, v36, s[6:7]
	v_add_co_u32_e64 v42, s[6:7], s16, v15
	v_addc_co_u32_e64 v43, s[6:7], v16, v36, s[6:7]
	global_load_ubyte v36, v[42:43], off
	global_load_ubyte v38, v[40:41], off
.LBB23_14:                              ;   in Loop: Header=BB23_4 Depth=1
	s_or_b64 exec, exec, s[8:9]
	v_mov_b32_e32 v39, 0
	v_mov_b32_e32 v40, 0
	s_and_saveexec_b64 s[8:9], s[2:3]
	s_cbranch_execz .LBB23_16
; %bb.15:                               ;   in Loop: Header=BB23_4 Depth=1
	v_mov_b32_e32 v41, s17
	v_add_co_u32_e64 v40, s[6:7], s16, v19
	v_addc_co_u32_e64 v41, s[6:7], v20, v41, s[6:7]
	global_load_ubyte v40, v[40:41], off
.LBB23_16:                              ;   in Loop: Header=BB23_4 Depth=1
	s_or_b64 exec, exec, s[8:9]
	v_mov_b32_e32 v41, s17
	v_add_co_u32_e64 v42, s[6:7], s16, v13
	v_addc_co_u32_e64 v43, s[6:7], v14, v41, s[6:7]
	v_cmp_gt_u64_e64 s[6:7], s[14:15], v[42:43]
	v_mov_b32_e32 v41, 0
	s_and_saveexec_b64 s[18:19], s[6:7]
	s_cbranch_execnz .LBB23_22
; %bb.17:                               ;   in Loop: Header=BB23_4 Depth=1
	s_or_b64 exec, exec, s[18:19]
	v_mov_b32_e32 v42, 0
	s_and_saveexec_b64 s[18:19], s[6:7]
	s_cbranch_execnz .LBB23_23
.LBB23_18:                              ;   in Loop: Header=BB23_4 Depth=1
	s_or_b64 exec, exec, s[18:19]
	s_and_saveexec_b64 s[8:9], vcc
	s_cbranch_execnz .LBB23_24
.LBB23_19:                              ;   in Loop: Header=BB23_4 Depth=1
	s_or_b64 exec, exec, s[8:9]
	s_and_saveexec_b64 s[8:9], s[0:1]
	s_cbranch_execnz .LBB23_25
.LBB23_20:                              ;   in Loop: Header=BB23_4 Depth=1
	s_or_b64 exec, exec, s[8:9]
	s_and_saveexec_b64 s[0:1], s[2:3]
	s_cbranch_execnz .LBB23_26
.LBB23_21:                              ;   in Loop: Header=BB23_4 Depth=1
	s_or_b64 exec, exec, s[0:1]
	s_and_saveexec_b64 s[0:1], s[6:7]
	s_cbranch_execz .LBB23_3
	s_branch .LBB23_27
.LBB23_22:                              ;   in Loop: Header=BB23_4 Depth=1
	v_mov_b32_e32 v39, s17
	v_add_co_u32_e64 v42, s[8:9], s16, v9
	v_addc_co_u32_e64 v43, s[8:9], v10, v39, s[8:9]
	v_add_co_u32_e64 v44, s[8:9], s16, v7
	v_addc_co_u32_e64 v45, s[8:9], v8, v39, s[8:9]
	global_load_ubyte v39, v[44:45], off
	global_load_ubyte v41, v[42:43], off
	s_or_b64 exec, exec, s[18:19]
	v_mov_b32_e32 v42, 0
	s_and_saveexec_b64 s[18:19], s[6:7]
	s_cbranch_execz .LBB23_18
.LBB23_23:                              ;   in Loop: Header=BB23_4 Depth=1
	v_mov_b32_e32 v43, s17
	v_add_co_u32_e64 v42, s[8:9], s16, v11
	v_addc_co_u32_e64 v43, s[8:9], v12, v43, s[8:9]
	global_load_ubyte v42, v[42:43], off
	s_or_b64 exec, exec, s[18:19]
	s_and_saveexec_b64 s[8:9], vcc
	s_cbranch_execz .LBB23_19
.LBB23_24:                              ;   in Loop: Header=BB23_4 Depth=1
	s_waitcnt vmcnt(0)
	v_mul_lo_u16_e32 v32, s26, v32
	v_mad_legacy_u16 v31, v32, v34, v31
	v_mov_b32_e32 v32, s17
	v_add_co_u32_e32 v44, vcc, s16, v1
	v_addc_co_u32_e32 v45, vcc, v2, v32, vcc
	global_store_byte v[44:45], v31, off
	s_or_b64 exec, exec, s[8:9]
	s_and_saveexec_b64 s[8:9], s[0:1]
	s_cbranch_execz .LBB23_20
.LBB23_25:                              ;   in Loop: Header=BB23_4 Depth=1
	s_waitcnt vmcnt(0)
	v_mul_lo_u16_e32 v31, s26, v35
	v_mad_legacy_u16 v31, v31, v37, v33
	v_mov_b32_e32 v33, s17
	v_add_co_u32_e32 v32, vcc, s16, v23
	v_addc_co_u32_e32 v33, vcc, v24, v33, vcc
	global_store_byte v[32:33], v31, off
	s_or_b64 exec, exec, s[8:9]
	s_and_saveexec_b64 s[0:1], s[2:3]
	s_cbranch_execz .LBB23_21
.LBB23_26:                              ;   in Loop: Header=BB23_4 Depth=1
	s_waitcnt vmcnt(0)
	v_mul_lo_u16_e32 v31, s26, v38
	v_mov_b32_e32 v33, s17
	v_add_co_u32_e32 v32, vcc, s16, v15
	v_mad_legacy_u16 v31, v31, v40, v36
	v_addc_co_u32_e32 v33, vcc, v16, v33, vcc
	global_store_byte v[32:33], v31, off
	s_or_b64 exec, exec, s[0:1]
	s_and_saveexec_b64 s[0:1], s[6:7]
	s_cbranch_execz .LBB23_3
.LBB23_27:                              ;   in Loop: Header=BB23_4 Depth=1
	s_waitcnt vmcnt(0)
	v_mul_lo_u16_e32 v31, s26, v41
	v_mov_b32_e32 v33, s17
	v_add_co_u32_e32 v32, vcc, s16, v7
	v_mad_legacy_u16 v31, v31, v42, v39
	v_addc_co_u32_e32 v33, vcc, v8, v33, vcc
	global_store_byte v[32:33], v31, off
	s_branch .LBB23_3
.LBB23_28:
	s_mov_b64 s[14:15], 0
.LBB23_29:
	s_andn2_b64 vcc, exec, s[14:15]
	s_cbranch_vccnz .LBB23_33
; %bb.30:
	v_lshlrev_b32_e32 v0, 2, v0
	v_mov_b32_e32 v1, 0
	v_cmp_gt_i64_e32 vcc, s[12:13], v[0:1]
	s_and_saveexec_b64 s[0:1], vcc
	s_cbranch_execz .LBB23_33
; %bb.31:
	s_load_dword s0, s[4:5], 0xc5c
	s_mov_b32 s1, 0
	s_mov_b64 s[2:3], 0
	s_lshr_b32 s6, s22, 16
	v_mov_b32_e32 v2, s11
	s_waitcnt lgkmcnt(0)
	s_and_b32 s0, s0, 0xffff
	s_lshl_b32 s7, s0, 2
	v_mov_b32_e32 v3, s23
	v_mov_b32_e32 v4, s24
	s_mov_b32 s8, 0x6050400
	v_mov_b32_e32 v5, s1
	s_mov_b64 s[4:5], 0xffff
.LBB23_32:                              ; =>This Inner Loop Header: Depth=1
	v_add_co_u32_e32 v6, vcc, s10, v0
	v_addc_co_u32_e32 v7, vcc, v2, v1, vcc
	v_add_co_u32_e32 v8, vcc, s20, v0
	v_addc_co_u32_e32 v9, vcc, v3, v1, vcc
	;; [unrolled: 2-line block ×3, first 2 shown]
	global_load_dword v12, v[8:9], off
	global_load_dword v13, v[6:7], off
	;; [unrolled: 1-line block ×3, first 2 shown]
	v_add_co_u32_e32 v0, vcc, s7, v0
	v_addc_co_u32_e32 v1, vcc, v5, v1, vcc
	v_cmp_le_i64_e32 vcc, s[12:13], v[0:1]
	v_cmp_lt_u64_e64 s[0:1], s[4:5], v[0:1]
	s_or_b64 s[0:1], vcc, s[0:1]
	s_and_b64 s[0:1], exec, s[0:1]
	s_or_b64 s[2:3], s[0:1], s[2:3]
	s_waitcnt vmcnt(2)
	v_lshrrev_b32_e32 v10, 8, v12
	v_mul_lo_u16_e32 v8, s6, v12
	s_waitcnt vmcnt(1)
	v_lshrrev_b32_e32 v9, 8, v13
	s_waitcnt vmcnt(0)
	v_lshrrev_b32_e32 v11, 8, v14
	v_lshrrev_b32_e32 v15, 16, v13
	;; [unrolled: 1-line block ×3, first 2 shown]
	v_mul_lo_u16_sdwa v17, v12, s6 dst_sel:DWORD dst_unused:UNUSED_PAD src0_sel:WORD_1 src1_sel:DWORD
	v_mul_lo_u16_e32 v10, s6, v10
	v_lshrrev_b32_e32 v18, 24, v13
	v_lshrrev_b32_e32 v19, 24, v14
	v_mul_lo_u16_sdwa v12, v12, s6 dst_sel:DWORD dst_unused:UNUSED_PAD src0_sel:BYTE_3 src1_sel:DWORD
	v_mad_legacy_u16 v8, v8, v14, v13
	v_mad_legacy_u16 v13, v17, v16, v15
	;; [unrolled: 1-line block ×4, first 2 shown]
	v_and_b32_e32 v10, 0xff, v13
	v_and_b32_e32 v9, 0xff, v9
	v_lshlrev_b32_e32 v11, 24, v12
	v_lshlrev_b32_e32 v10, 16, v10
	v_perm_b32 v8, v9, v8, s8
	v_or3_b32 v8, v8, v10, v11
	global_store_dword v[6:7], v8, off
	s_andn2_b64 exec, exec, s[2:3]
	s_cbranch_execnz .LBB23_32
.LBB23_33:
	s_endpgm
	.section	.rodata,"a",@progbits
	.p2align	6, 0x0
	.amdhsa_kernel _ZN2at6native12_GLOBAL__N_125multi_tensor_apply_kernelINS1_18TensorListMetadataILi3EEENS1_24PointwiseOpScalarFunctorIaLi3ELi3ELi0EEEJSt10multipliesIaEaEEEvT_T0_DpT1_
		.amdhsa_group_segment_fixed_size 0
		.amdhsa_private_segment_fixed_size 0
		.amdhsa_kernarg_size 3408
		.amdhsa_user_sgpr_count 6
		.amdhsa_user_sgpr_private_segment_buffer 1
		.amdhsa_user_sgpr_dispatch_ptr 0
		.amdhsa_user_sgpr_queue_ptr 0
		.amdhsa_user_sgpr_kernarg_segment_ptr 1
		.amdhsa_user_sgpr_dispatch_id 0
		.amdhsa_user_sgpr_flat_scratch_init 0
		.amdhsa_user_sgpr_kernarg_preload_length 0
		.amdhsa_user_sgpr_kernarg_preload_offset 0
		.amdhsa_user_sgpr_private_segment_size 0
		.amdhsa_uses_dynamic_stack 0
		.amdhsa_system_sgpr_private_segment_wavefront_offset 0
		.amdhsa_system_sgpr_workgroup_id_x 1
		.amdhsa_system_sgpr_workgroup_id_y 0
		.amdhsa_system_sgpr_workgroup_id_z 0
		.amdhsa_system_sgpr_workgroup_info 0
		.amdhsa_system_vgpr_workitem_id 0
		.amdhsa_next_free_vgpr 46
		.amdhsa_next_free_sgpr 27
		.amdhsa_accum_offset 48
		.amdhsa_reserve_vcc 1
		.amdhsa_reserve_flat_scratch 0
		.amdhsa_float_round_mode_32 0
		.amdhsa_float_round_mode_16_64 0
		.amdhsa_float_denorm_mode_32 3
		.amdhsa_float_denorm_mode_16_64 3
		.amdhsa_dx10_clamp 1
		.amdhsa_ieee_mode 1
		.amdhsa_fp16_overflow 0
		.amdhsa_tg_split 0
		.amdhsa_exception_fp_ieee_invalid_op 0
		.amdhsa_exception_fp_denorm_src 0
		.amdhsa_exception_fp_ieee_div_zero 0
		.amdhsa_exception_fp_ieee_overflow 0
		.amdhsa_exception_fp_ieee_underflow 0
		.amdhsa_exception_fp_ieee_inexact 0
		.amdhsa_exception_int_div_zero 0
	.end_amdhsa_kernel
	.section	.text._ZN2at6native12_GLOBAL__N_125multi_tensor_apply_kernelINS1_18TensorListMetadataILi3EEENS1_24PointwiseOpScalarFunctorIaLi3ELi3ELi0EEEJSt10multipliesIaEaEEEvT_T0_DpT1_,"axG",@progbits,_ZN2at6native12_GLOBAL__N_125multi_tensor_apply_kernelINS1_18TensorListMetadataILi3EEENS1_24PointwiseOpScalarFunctorIaLi3ELi3ELi0EEEJSt10multipliesIaEaEEEvT_T0_DpT1_,comdat
.Lfunc_end23:
	.size	_ZN2at6native12_GLOBAL__N_125multi_tensor_apply_kernelINS1_18TensorListMetadataILi3EEENS1_24PointwiseOpScalarFunctorIaLi3ELi3ELi0EEEJSt10multipliesIaEaEEEvT_T0_DpT1_, .Lfunc_end23-_ZN2at6native12_GLOBAL__N_125multi_tensor_apply_kernelINS1_18TensorListMetadataILi3EEENS1_24PointwiseOpScalarFunctorIaLi3ELi3ELi0EEEJSt10multipliesIaEaEEEvT_T0_DpT1_
                                        ; -- End function
	.section	.AMDGPU.csdata,"",@progbits
; Kernel info:
; codeLenInByte = 1712
; NumSgprs: 31
; NumVgprs: 46
; NumAgprs: 0
; TotalNumVgprs: 46
; ScratchSize: 0
; MemoryBound: 0
; FloatMode: 240
; IeeeMode: 1
; LDSByteSize: 0 bytes/workgroup (compile time only)
; SGPRBlocks: 3
; VGPRBlocks: 5
; NumSGPRsForWavesPerEU: 31
; NumVGPRsForWavesPerEU: 46
; AccumOffset: 48
; Occupancy: 8
; WaveLimiterHint : 0
; COMPUTE_PGM_RSRC2:SCRATCH_EN: 0
; COMPUTE_PGM_RSRC2:USER_SGPR: 6
; COMPUTE_PGM_RSRC2:TRAP_HANDLER: 0
; COMPUTE_PGM_RSRC2:TGID_X_EN: 1
; COMPUTE_PGM_RSRC2:TGID_Y_EN: 0
; COMPUTE_PGM_RSRC2:TGID_Z_EN: 0
; COMPUTE_PGM_RSRC2:TIDIG_COMP_CNT: 0
; COMPUTE_PGM_RSRC3_GFX90A:ACCUM_OFFSET: 11
; COMPUTE_PGM_RSRC3_GFX90A:TG_SPLIT: 0
	.section	.text._ZN2at6native12_GLOBAL__N_125multi_tensor_apply_kernelINS1_18TensorListMetadataILi3EEENS1_24PointwiseOpScalarFunctorIiLi3ELi3ELi0EEEJSt10multipliesIiEiEEEvT_T0_DpT1_,"axG",@progbits,_ZN2at6native12_GLOBAL__N_125multi_tensor_apply_kernelINS1_18TensorListMetadataILi3EEENS1_24PointwiseOpScalarFunctorIiLi3ELi3ELi0EEEJSt10multipliesIiEiEEEvT_T0_DpT1_,comdat
	.globl	_ZN2at6native12_GLOBAL__N_125multi_tensor_apply_kernelINS1_18TensorListMetadataILi3EEENS1_24PointwiseOpScalarFunctorIiLi3ELi3ELi0EEEJSt10multipliesIiEiEEEvT_T0_DpT1_ ; -- Begin function _ZN2at6native12_GLOBAL__N_125multi_tensor_apply_kernelINS1_18TensorListMetadataILi3EEENS1_24PointwiseOpScalarFunctorIiLi3ELi3ELi0EEEJSt10multipliesIiEiEEEvT_T0_DpT1_
	.p2align	8
	.type	_ZN2at6native12_GLOBAL__N_125multi_tensor_apply_kernelINS1_18TensorListMetadataILi3EEENS1_24PointwiseOpScalarFunctorIiLi3ELi3ELi0EEEJSt10multipliesIiEiEEEvT_T0_DpT1_,@function
_ZN2at6native12_GLOBAL__N_125multi_tensor_apply_kernelINS1_18TensorListMetadataILi3EEENS1_24PointwiseOpScalarFunctorIiLi3ELi3ELi0EEEJSt10multipliesIiEiEEEvT_T0_DpT1_: ; @_ZN2at6native12_GLOBAL__N_125multi_tensor_apply_kernelINS1_18TensorListMetadataILi3EEENS1_24PointwiseOpScalarFunctorIiLi3ELi3ELi0EEEJSt10multipliesIiEiEEEvT_T0_DpT1_
; %bb.0:
	v_mov_b32_e32 v1, s6
	global_load_ubyte v1, v1, s[4:5] offset:1536
	s_load_dword s26, s[4:5], 0xc4c
	s_add_u32 s0, s4, s6
	s_mul_hi_u32 s2, s6, 3
	s_mul_i32 s6, s6, 3
	s_addc_u32 s7, s5, 0
	s_add_u32 s6, s0, s6
	s_addc_u32 s7, s7, s2
	s_load_dword s6, s[6:7], 0x740
	s_mov_b32 s1, 0
	s_mov_b32 s3, s1
	s_waitcnt lgkmcnt(0)
	s_ashr_i32 s7, s6, 31
	s_lshl_b64 s[18:19], s[6:7], 18
	s_waitcnt vmcnt(0)
	v_readfirstlane_b32 s0, v1
	s_lshl_b32 s0, s0, 3
	s_load_dwordx2 s[16:17], s[4:5], s0 offset:0x0
	s_load_dwordx2 s[14:15], s[4:5], s0 offset:0x180
	;; [unrolled: 1-line block ×4, first 2 shown]
	s_waitcnt lgkmcnt(0)
	s_and_b32 s0, s16, 15
	s_add_u32 s2, s14, s18
	s_or_b32 s2, s10, s2
	s_and_b32 s2, s2, 15
	s_cmp_eq_u32 s2, 0
	s_cselect_b64 s[20:21], -1, 0
	s_lshl_b64 s[6:7], s[6:7], 16
	s_sub_u32 s12, s8, s6
	s_subb_u32 s13, s9, s7
	s_and_b32 s2, s8, 3
	s_or_b64 s[0:1], s[0:1], s[2:3]
	s_cmp_eq_u64 s[0:1], 0
	s_cselect_b64 s[0:1], -1, 0
	s_and_b64 s[2:3], s[20:21], s[0:1]
	s_mov_b64 s[0:1], -1
	s_and_b64 vcc, exec, s[2:3]
	s_cbranch_vccnz .LBB24_29
; %bb.1:
	v_cmp_lt_i64_e64 s[0:1], s[12:13], 1
	s_and_b64 vcc, exec, s[0:1]
	s_cbranch_vccnz .LBB24_28
; %bb.2:
	s_load_dword s0, s[4:5], 0xc5c
	v_mov_b32_e32 v2, 0x10000
	v_mov_b32_e32 v3, 0
	v_cmp_lt_u64_e32 vcc, s[12:13], v[2:3]
	v_lshlrev_b32_e32 v14, 2, v0
	s_waitcnt lgkmcnt(0)
	s_and_b32 s2, s0, 0xffff
	s_and_b64 s[0:1], vcc, exec
	v_mov_b32_e32 v19, s17
	v_add_co_u32_e32 v2, vcc, s16, v14
	v_addc_co_u32_e32 v1, vcc, 0, v19, vcc
	v_mov_b32_e32 v21, s15
	v_add_co_u32_e32 v4, vcc, s14, v14
	v_addc_co_u32_e32 v3, vcc, 0, v21, vcc
	v_mov_b32_e32 v15, 0
	v_mov_b32_e32 v23, s11
	v_add_co_u32_e32 v6, vcc, s10, v14
	v_addc_co_u32_e32 v5, vcc, 0, v23, vcc
	v_mad_u64_u32 v[12:13], s[0:1], s2, 12, v[14:15]
	v_add_co_u32_e32 v8, vcc, s16, v12
	v_addc_co_u32_e32 v7, vcc, v19, v13, vcc
	v_add_co_u32_e32 v10, vcc, s14, v12
	v_addc_co_u32_e32 v9, vcc, v21, v13, vcc
	v_add_co_u32_e32 v12, vcc, s10, v12
	s_mul_i32 s6, s2, 3
	v_addc_co_u32_e32 v11, vcc, v23, v13, vcc
	v_add_co_u32_e32 v25, vcc, s6, v0
	v_addc_co_u32_e64 v27, s[0:1], 0, 0, vcc
	s_cselect_b32 s21, s13, 0
	s_cselect_b32 s20, s12, 0x10000
	s_lshl_b32 s0, s2, 3
	v_add_co_u32_e32 v17, vcc, s0, v14
	v_addc_co_u32_e64 v20, s[0:1], 0, 0, vcc
	v_add_co_u32_e32 v14, vcc, s16, v17
	v_addc_co_u32_e32 v13, vcc, v19, v20, vcc
	v_add_co_u32_e32 v16, vcc, s14, v17
	v_addc_co_u32_e32 v15, vcc, v21, v20, vcc
	v_add_co_u32_e32 v18, vcc, s10, v17
	s_lshl_b32 s3, s2, 1
	v_addc_co_u32_e32 v17, vcc, v23, v20, vcc
	v_add_co_u32_e32 v29, vcc, s3, v0
	v_addc_co_u32_e64 v31, s[0:1], 0, 0, vcc
	v_add_co_u32_e32 v33, vcc, s2, v0
	v_lshlrev_b32_e32 v24, 2, v33
	v_addc_co_u32_e64 v34, s[0:1], 0, 0, vcc
	v_add_co_u32_e32 v20, vcc, s16, v24
	v_addc_co_u32_e32 v19, vcc, 0, v19, vcc
	v_add_co_u32_e32 v22, vcc, s14, v24
	v_addc_co_u32_e32 v21, vcc, 0, v21, vcc
	v_add_co_u32_e32 v24, vcc, s10, v24
	s_mov_b32 s27, 0
	s_lshl_b32 s28, s2, 2
	s_lshl_b32 s29, s2, 4
	v_addc_co_u32_e32 v23, vcc, 0, v23, vcc
	s_mov_b64 s[22:23], 0
	s_branch .LBB24_4
.LBB24_3:                               ;   in Loop: Header=BB24_4 Depth=1
	s_or_b64 exec, exec, s[0:1]
	s_add_u32 s22, s22, s28
	s_addc_u32 s23, s23, 0
	s_waitcnt vmcnt(0)
	v_pk_mov_b32 v[36:37], s[12:13], s[12:13] op_sel:[0,1]
	v_cmp_lt_i64_e32 vcc, s[22:23], v[36:37]
	v_mov_b32_e32 v36, 0x10000
	v_mov_b32_e32 v37, 0
	v_cmp_lt_u64_e64 s[0:1], s[22:23], v[36:37]
	s_and_b64 s[0:1], vcc, s[0:1]
	v_mov_b32_e32 v26, s27
	v_add_co_u32_e32 v2, vcc, s29, v2
	v_addc_co_u32_e32 v1, vcc, v1, v26, vcc
	v_add_co_u32_e32 v4, vcc, s29, v4
	v_addc_co_u32_e32 v3, vcc, v3, v26, vcc
	;; [unrolled: 2-line block ×12, first 2 shown]
	s_and_b64 vcc, exec, s[0:1]
	s_cbranch_vccz .LBB24_28
.LBB24_4:                               ; =>This Inner Loop Header: Depth=1
	v_mov_b32_e32 v26, s23
	v_add_co_u32_e32 v36, vcc, s22, v0
	v_addc_co_u32_e32 v37, vcc, 0, v26, vcc
	v_cmp_gt_u64_e32 vcc, s[20:21], v[36:37]
	v_mov_b32_e32 v26, 0
	v_mov_b32_e32 v35, 0
	s_and_saveexec_b64 s[2:3], vcc
	s_cbranch_execz .LBB24_6
; %bb.5:                                ;   in Loop: Header=BB24_4 Depth=1
	v_mov_b32_e32 v26, s19
	v_add_co_u32_e64 v36, s[0:1], s18, v2
	v_addc_co_u32_e64 v37, s[0:1], v1, v26, s[0:1]
	v_add_co_u32_e64 v38, s[0:1], s18, v4
	v_addc_co_u32_e64 v39, s[0:1], v3, v26, s[0:1]
	global_load_dword v26, v[36:37], off
	global_load_dword v35, v[38:39], off
.LBB24_6:                               ;   in Loop: Header=BB24_4 Depth=1
	s_or_b64 exec, exec, s[2:3]
	v_mov_b32_e32 v28, 0
	v_mov_b32_e32 v36, 0
	s_and_saveexec_b64 s[2:3], vcc
	s_cbranch_execz .LBB24_8
; %bb.7:                                ;   in Loop: Header=BB24_4 Depth=1
	v_mov_b32_e32 v30, s19
	v_add_co_u32_e64 v36, s[0:1], s18, v6
	v_addc_co_u32_e64 v37, s[0:1], v5, v30, s[0:1]
	global_load_dword v36, v[36:37], off
.LBB24_8:                               ;   in Loop: Header=BB24_4 Depth=1
	s_or_b64 exec, exec, s[2:3]
	v_mov_b32_e32 v30, s23
	v_add_co_u32_e64 v38, s[0:1], s22, v33
	v_addc_co_u32_e64 v39, s[0:1], v34, v30, s[0:1]
	v_cmp_gt_u64_e64 s[0:1], s[20:21], v[38:39]
	v_mov_b32_e32 v37, 0
	s_and_saveexec_b64 s[6:7], s[0:1]
	s_cbranch_execz .LBB24_10
; %bb.9:                                ;   in Loop: Header=BB24_4 Depth=1
	v_mov_b32_e32 v28, s19
	v_add_co_u32_e64 v38, s[2:3], s18, v20
	v_addc_co_u32_e64 v39, s[2:3], v19, v28, s[2:3]
	v_add_co_u32_e64 v40, s[2:3], s18, v22
	v_addc_co_u32_e64 v41, s[2:3], v21, v28, s[2:3]
	global_load_dword v28, v[38:39], off
	global_load_dword v37, v[40:41], off
.LBB24_10:                              ;   in Loop: Header=BB24_4 Depth=1
	s_or_b64 exec, exec, s[6:7]
	v_mov_b32_e32 v30, 0
	v_mov_b32_e32 v38, 0
	s_and_saveexec_b64 s[6:7], s[0:1]
	s_cbranch_execz .LBB24_12
; %bb.11:                               ;   in Loop: Header=BB24_4 Depth=1
	v_mov_b32_e32 v32, s19
	v_add_co_u32_e64 v38, s[2:3], s18, v24
	v_addc_co_u32_e64 v39, s[2:3], v23, v32, s[2:3]
	global_load_dword v38, v[38:39], off
.LBB24_12:                              ;   in Loop: Header=BB24_4 Depth=1
	s_or_b64 exec, exec, s[6:7]
	v_mov_b32_e32 v32, s23
	v_add_co_u32_e64 v40, s[2:3], s22, v29
	v_addc_co_u32_e64 v41, s[2:3], v31, v32, s[2:3]
	v_cmp_gt_u64_e64 s[2:3], s[20:21], v[40:41]
	v_mov_b32_e32 v39, 0
	s_and_saveexec_b64 s[8:9], s[2:3]
	s_cbranch_execz .LBB24_14
; %bb.13:                               ;   in Loop: Header=BB24_4 Depth=1
	v_mov_b32_e32 v30, s19
	v_add_co_u32_e64 v40, s[6:7], s18, v14
	v_addc_co_u32_e64 v41, s[6:7], v13, v30, s[6:7]
	v_add_co_u32_e64 v42, s[6:7], s18, v16
	v_addc_co_u32_e64 v43, s[6:7], v15, v30, s[6:7]
	global_load_dword v30, v[40:41], off
	global_load_dword v39, v[42:43], off
.LBB24_14:                              ;   in Loop: Header=BB24_4 Depth=1
	s_or_b64 exec, exec, s[8:9]
	v_mov_b32_e32 v32, 0
	v_mov_b32_e32 v40, 0
	s_and_saveexec_b64 s[8:9], s[2:3]
	s_cbranch_execz .LBB24_16
; %bb.15:                               ;   in Loop: Header=BB24_4 Depth=1
	v_mov_b32_e32 v41, s19
	v_add_co_u32_e64 v40, s[6:7], s18, v18
	v_addc_co_u32_e64 v41, s[6:7], v17, v41, s[6:7]
	global_load_dword v40, v[40:41], off
.LBB24_16:                              ;   in Loop: Header=BB24_4 Depth=1
	s_or_b64 exec, exec, s[8:9]
	v_mov_b32_e32 v41, s23
	v_add_co_u32_e64 v42, s[6:7], s22, v25
	v_addc_co_u32_e64 v43, s[6:7], v27, v41, s[6:7]
	v_cmp_gt_u64_e64 s[6:7], s[20:21], v[42:43]
	v_mov_b32_e32 v41, 0
	s_and_saveexec_b64 s[24:25], s[6:7]
	s_cbranch_execnz .LBB24_22
; %bb.17:                               ;   in Loop: Header=BB24_4 Depth=1
	s_or_b64 exec, exec, s[24:25]
	v_mov_b32_e32 v42, 0
	s_and_saveexec_b64 s[24:25], s[6:7]
	s_cbranch_execnz .LBB24_23
.LBB24_18:                              ;   in Loop: Header=BB24_4 Depth=1
	s_or_b64 exec, exec, s[24:25]
	s_and_saveexec_b64 s[8:9], vcc
	s_cbranch_execnz .LBB24_24
.LBB24_19:                              ;   in Loop: Header=BB24_4 Depth=1
	s_or_b64 exec, exec, s[8:9]
	s_and_saveexec_b64 s[8:9], s[0:1]
	s_cbranch_execnz .LBB24_25
.LBB24_20:                              ;   in Loop: Header=BB24_4 Depth=1
	s_or_b64 exec, exec, s[8:9]
	s_and_saveexec_b64 s[0:1], s[2:3]
	s_cbranch_execnz .LBB24_26
.LBB24_21:                              ;   in Loop: Header=BB24_4 Depth=1
	s_or_b64 exec, exec, s[0:1]
	s_and_saveexec_b64 s[0:1], s[6:7]
	s_cbranch_execz .LBB24_3
	s_branch .LBB24_27
.LBB24_22:                              ;   in Loop: Header=BB24_4 Depth=1
	v_mov_b32_e32 v32, s19
	v_add_co_u32_e64 v42, s[8:9], s18, v8
	v_addc_co_u32_e64 v43, s[8:9], v7, v32, s[8:9]
	v_add_co_u32_e64 v44, s[8:9], s18, v10
	v_addc_co_u32_e64 v45, s[8:9], v9, v32, s[8:9]
	global_load_dword v32, v[42:43], off
	global_load_dword v41, v[44:45], off
	s_or_b64 exec, exec, s[24:25]
	v_mov_b32_e32 v42, 0
	s_and_saveexec_b64 s[24:25], s[6:7]
	s_cbranch_execz .LBB24_18
.LBB24_23:                              ;   in Loop: Header=BB24_4 Depth=1
	v_mov_b32_e32 v43, s19
	v_add_co_u32_e64 v42, s[8:9], s18, v12
	v_addc_co_u32_e64 v43, s[8:9], v11, v43, s[8:9]
	global_load_dword v42, v[42:43], off
	s_or_b64 exec, exec, s[24:25]
	s_and_saveexec_b64 s[8:9], vcc
	s_cbranch_execz .LBB24_19
.LBB24_24:                              ;   in Loop: Header=BB24_4 Depth=1
	v_mov_b32_e32 v43, s19
	v_add_co_u32_e32 v44, vcc, s18, v2
	s_waitcnt vmcnt(0)
	v_mul_lo_u32 v35, v35, s26
	v_addc_co_u32_e32 v45, vcc, v1, v43, vcc
	v_mad_u64_u32 v[46:47], s[24:25], v35, v36, v[26:27]
	global_store_dword v[44:45], v46, off
	s_or_b64 exec, exec, s[8:9]
	s_and_saveexec_b64 s[8:9], s[0:1]
	s_cbranch_execz .LBB24_20
.LBB24_25:                              ;   in Loop: Header=BB24_4 Depth=1
	s_waitcnt vmcnt(0)
	v_mul_lo_u32 v26, v37, s26
	v_mad_u64_u32 v[36:37], s[0:1], v26, v38, v[28:29]
	v_mov_b32_e32 v26, s19
	v_add_co_u32_e32 v44, vcc, s18, v20
	v_addc_co_u32_e32 v45, vcc, v19, v26, vcc
	global_store_dword v[44:45], v36, off
	s_or_b64 exec, exec, s[8:9]
	s_and_saveexec_b64 s[0:1], s[2:3]
	s_cbranch_execz .LBB24_21
.LBB24_26:                              ;   in Loop: Header=BB24_4 Depth=1
	s_waitcnt vmcnt(0)
	v_mul_lo_u32 v26, v39, s26
	v_mad_u64_u32 v[36:37], s[2:3], v26, v40, v[30:31]
	v_mov_b32_e32 v26, s19
	v_add_co_u32_e32 v38, vcc, s18, v14
	v_addc_co_u32_e32 v39, vcc, v13, v26, vcc
	global_store_dword v[38:39], v36, off
	s_or_b64 exec, exec, s[0:1]
	s_and_saveexec_b64 s[0:1], s[6:7]
	s_cbranch_execz .LBB24_3
.LBB24_27:                              ;   in Loop: Header=BB24_4 Depth=1
	s_waitcnt vmcnt(0)
	v_mul_lo_u32 v26, v41, s26
	v_mad_u64_u32 v[36:37], s[2:3], v26, v42, v[32:33]
	v_mov_b32_e32 v26, s19
	v_add_co_u32_e32 v38, vcc, s18, v8
	v_addc_co_u32_e32 v39, vcc, v7, v26, vcc
	global_store_dword v[38:39], v36, off
	s_branch .LBB24_3
.LBB24_28:
	s_mov_b64 s[0:1], 0
.LBB24_29:
	s_andn2_b64 vcc, exec, s[0:1]
	s_cbranch_vccnz .LBB24_33
; %bb.30:
	v_mov_b32_e32 v3, 0
	v_lshlrev_b32_e32 v2, 2, v0
	s_mov_b32 s0, 0
	v_cmp_gt_i64_e32 vcc, s[12:13], v[2:3]
	s_and_saveexec_b64 s[2:3], vcc
	s_cbranch_execz .LBB24_33
; %bb.31:
	s_load_dword s1, s[4:5], 0xc5c
	v_lshlrev_b32_e32 v1, 4, v0
	v_mov_b32_e32 v4, s19
	s_mov_b32 s8, s26
	s_mov_b64 s[4:5], 0
	s_waitcnt lgkmcnt(0)
	s_and_b32 s1, s1, 0xffff
	s_lshl_b32 s9, s1, 2
	s_add_u32 s16, s16, 8
	s_addc_u32 s2, s17, 0
	s_lshl_b32 s17, s1, 4
	s_add_u32 s14, s14, 8
	v_add_lshl_u32 v2, v0, s1, 2
	v_add_co_u32_e32 v0, vcc, s18, v1
	s_addc_u32 s3, s15, 0
	v_addc_co_u32_e32 v1, vcc, 0, v4, vcc
	v_mov_b32_e32 v4, s2
	v_mov_b32_e32 v5, s3
	;; [unrolled: 1-line block ×3, first 2 shown]
	s_mov_b64 s[6:7], 0xffff
	v_mov_b32_e32 v7, s0
	v_mov_b32_e32 v8, s0
.LBB24_32:                              ; =>This Inner Loop Header: Depth=1
	v_add_co_u32_e32 v22, vcc, s16, v0
	v_addc_co_u32_e32 v23, vcc, v4, v1, vcc
	v_add_co_u32_e32 v24, vcc, s14, v0
	v_addc_co_u32_e32 v25, vcc, v5, v1, vcc
	;; [unrolled: 2-line block ×3, first 2 shown]
	global_load_dwordx4 v[10:13], v[24:25], off offset:-8
	global_load_dwordx4 v[14:17], v[22:23], off offset:-8
	global_load_dwordx4 v[18:21], v[26:27], off
	v_cmp_le_i64_e32 vcc, s[12:13], v[2:3]
	v_cmp_lt_u64_e64 s[0:1], s[6:7], v[2:3]
	v_add_co_u32_e64 v2, s[2:3], s9, v2
	s_or_b64 s[0:1], vcc, s[0:1]
	v_addc_co_u32_e64 v3, s[2:3], v3, v7, s[2:3]
	s_and_b64 s[0:1], exec, s[0:1]
	v_add_co_u32_e64 v0, s[2:3], s17, v0
	s_or_b64 s[4:5], s[0:1], s[4:5]
	v_addc_co_u32_e64 v1, s[2:3], v1, v8, s[2:3]
	s_waitcnt vmcnt(2)
	v_mul_lo_u32 v9, v10, s26
	v_mul_lo_u32 v11, v11, s8
	s_waitcnt vmcnt(1)
	v_mov_b32_e32 v10, v15
	v_mul_lo_u32 v26, v12, s26
	v_mul_lo_u32 v13, v13, s8
	v_mov_b32_e32 v12, v17
	s_waitcnt vmcnt(0)
	v_mad_u64_u32 v[24:25], s[0:1], v11, v19, v[10:11]
	v_mad_u64_u32 v[10:11], s[0:1], v9, v18, v[14:15]
	;; [unrolled: 1-line block ×4, first 2 shown]
	v_mov_b32_e32 v11, v24
	v_mov_b32_e32 v13, v14
	global_store_dwordx4 v[22:23], v[10:13], off offset:-8
	s_andn2_b64 exec, exec, s[4:5]
	s_cbranch_execnz .LBB24_32
.LBB24_33:
	s_endpgm
	.section	.rodata,"a",@progbits
	.p2align	6, 0x0
	.amdhsa_kernel _ZN2at6native12_GLOBAL__N_125multi_tensor_apply_kernelINS1_18TensorListMetadataILi3EEENS1_24PointwiseOpScalarFunctorIiLi3ELi3ELi0EEEJSt10multipliesIiEiEEEvT_T0_DpT1_
		.amdhsa_group_segment_fixed_size 0
		.amdhsa_private_segment_fixed_size 0
		.amdhsa_kernarg_size 3408
		.amdhsa_user_sgpr_count 6
		.amdhsa_user_sgpr_private_segment_buffer 1
		.amdhsa_user_sgpr_dispatch_ptr 0
		.amdhsa_user_sgpr_queue_ptr 0
		.amdhsa_user_sgpr_kernarg_segment_ptr 1
		.amdhsa_user_sgpr_dispatch_id 0
		.amdhsa_user_sgpr_flat_scratch_init 0
		.amdhsa_user_sgpr_kernarg_preload_length 0
		.amdhsa_user_sgpr_kernarg_preload_offset 0
		.amdhsa_user_sgpr_private_segment_size 0
		.amdhsa_uses_dynamic_stack 0
		.amdhsa_system_sgpr_private_segment_wavefront_offset 0
		.amdhsa_system_sgpr_workgroup_id_x 1
		.amdhsa_system_sgpr_workgroup_id_y 0
		.amdhsa_system_sgpr_workgroup_id_z 0
		.amdhsa_system_sgpr_workgroup_info 0
		.amdhsa_system_vgpr_workitem_id 0
		.amdhsa_next_free_vgpr 48
		.amdhsa_next_free_sgpr 30
		.amdhsa_accum_offset 48
		.amdhsa_reserve_vcc 1
		.amdhsa_reserve_flat_scratch 0
		.amdhsa_float_round_mode_32 0
		.amdhsa_float_round_mode_16_64 0
		.amdhsa_float_denorm_mode_32 3
		.amdhsa_float_denorm_mode_16_64 3
		.amdhsa_dx10_clamp 1
		.amdhsa_ieee_mode 1
		.amdhsa_fp16_overflow 0
		.amdhsa_tg_split 0
		.amdhsa_exception_fp_ieee_invalid_op 0
		.amdhsa_exception_fp_denorm_src 0
		.amdhsa_exception_fp_ieee_div_zero 0
		.amdhsa_exception_fp_ieee_overflow 0
		.amdhsa_exception_fp_ieee_underflow 0
		.amdhsa_exception_fp_ieee_inexact 0
		.amdhsa_exception_int_div_zero 0
	.end_amdhsa_kernel
	.section	.text._ZN2at6native12_GLOBAL__N_125multi_tensor_apply_kernelINS1_18TensorListMetadataILi3EEENS1_24PointwiseOpScalarFunctorIiLi3ELi3ELi0EEEJSt10multipliesIiEiEEEvT_T0_DpT1_,"axG",@progbits,_ZN2at6native12_GLOBAL__N_125multi_tensor_apply_kernelINS1_18TensorListMetadataILi3EEENS1_24PointwiseOpScalarFunctorIiLi3ELi3ELi0EEEJSt10multipliesIiEiEEEvT_T0_DpT1_,comdat
.Lfunc_end24:
	.size	_ZN2at6native12_GLOBAL__N_125multi_tensor_apply_kernelINS1_18TensorListMetadataILi3EEENS1_24PointwiseOpScalarFunctorIiLi3ELi3ELi0EEEJSt10multipliesIiEiEEEvT_T0_DpT1_, .Lfunc_end24-_ZN2at6native12_GLOBAL__N_125multi_tensor_apply_kernelINS1_18TensorListMetadataILi3EEENS1_24PointwiseOpScalarFunctorIiLi3ELi3ELi0EEEJSt10multipliesIiEiEEEvT_T0_DpT1_
                                        ; -- End function
	.section	.AMDGPU.csdata,"",@progbits
; Kernel info:
; codeLenInByte = 1820
; NumSgprs: 34
; NumVgprs: 48
; NumAgprs: 0
; TotalNumVgprs: 48
; ScratchSize: 0
; MemoryBound: 0
; FloatMode: 240
; IeeeMode: 1
; LDSByteSize: 0 bytes/workgroup (compile time only)
; SGPRBlocks: 4
; VGPRBlocks: 5
; NumSGPRsForWavesPerEU: 34
; NumVGPRsForWavesPerEU: 48
; AccumOffset: 48
; Occupancy: 8
; WaveLimiterHint : 0
; COMPUTE_PGM_RSRC2:SCRATCH_EN: 0
; COMPUTE_PGM_RSRC2:USER_SGPR: 6
; COMPUTE_PGM_RSRC2:TRAP_HANDLER: 0
; COMPUTE_PGM_RSRC2:TGID_X_EN: 1
; COMPUTE_PGM_RSRC2:TGID_Y_EN: 0
; COMPUTE_PGM_RSRC2:TGID_Z_EN: 0
; COMPUTE_PGM_RSRC2:TIDIG_COMP_CNT: 0
; COMPUTE_PGM_RSRC3_GFX90A:ACCUM_OFFSET: 11
; COMPUTE_PGM_RSRC3_GFX90A:TG_SPLIT: 0
	.section	.text._ZN2at6native12_GLOBAL__N_125multi_tensor_apply_kernelINS1_18TensorListMetadataILi3EEENS1_24PointwiseOpScalarFunctorIlLi3ELi3ELi0EEEJSt10multipliesIlElEEEvT_T0_DpT1_,"axG",@progbits,_ZN2at6native12_GLOBAL__N_125multi_tensor_apply_kernelINS1_18TensorListMetadataILi3EEENS1_24PointwiseOpScalarFunctorIlLi3ELi3ELi0EEEJSt10multipliesIlElEEEvT_T0_DpT1_,comdat
	.globl	_ZN2at6native12_GLOBAL__N_125multi_tensor_apply_kernelINS1_18TensorListMetadataILi3EEENS1_24PointwiseOpScalarFunctorIlLi3ELi3ELi0EEEJSt10multipliesIlElEEEvT_T0_DpT1_ ; -- Begin function _ZN2at6native12_GLOBAL__N_125multi_tensor_apply_kernelINS1_18TensorListMetadataILi3EEENS1_24PointwiseOpScalarFunctorIlLi3ELi3ELi0EEEJSt10multipliesIlElEEEvT_T0_DpT1_
	.p2align	8
	.type	_ZN2at6native12_GLOBAL__N_125multi_tensor_apply_kernelINS1_18TensorListMetadataILi3EEENS1_24PointwiseOpScalarFunctorIlLi3ELi3ELi0EEEJSt10multipliesIlElEEEvT_T0_DpT1_,@function
_ZN2at6native12_GLOBAL__N_125multi_tensor_apply_kernelINS1_18TensorListMetadataILi3EEENS1_24PointwiseOpScalarFunctorIlLi3ELi3ELi0EEEJSt10multipliesIlElEEEvT_T0_DpT1_: ; @_ZN2at6native12_GLOBAL__N_125multi_tensor_apply_kernelINS1_18TensorListMetadataILi3EEENS1_24PointwiseOpScalarFunctorIlLi3ELi3ELi0EEEJSt10multipliesIlElEEEvT_T0_DpT1_
; %bb.0:
	v_mov_b32_e32 v1, s6
	global_load_ubyte v1, v1, s[4:5] offset:1536
	s_add_u32 s0, s4, s6
	s_mul_hi_u32 s1, s6, 3
	s_mul_i32 s6, s6, 3
	s_addc_u32 s2, s5, 0
	s_add_u32 s0, s0, s6
	s_addc_u32 s1, s2, s1
	s_load_dword s8, s[0:1], 0x740
	s_load_dwordx2 s[10:11], s[4:5], 0xc50
	s_mov_b32 s17, 0
	s_mov_b32 s19, s17
	s_waitcnt lgkmcnt(0)
	s_ashr_i32 s9, s8, 31
	s_lshl_b64 s[14:15], s[8:9], 19
	s_waitcnt vmcnt(0)
	v_readfirstlane_b32 s0, v1
	s_lshl_b32 s12, s0, 3
	s_load_dwordx2 s[6:7], s[4:5], s12 offset:0x0
	s_load_dwordx2 s[2:3], s[4:5], s12 offset:0x180
	;; [unrolled: 1-line block ×4, first 2 shown]
	s_waitcnt lgkmcnt(0)
	s_add_u32 s22, s6, s14
	s_addc_u32 s23, s7, s15
	s_and_b32 s16, s22, 31
	s_add_u32 s24, s2, s14
	s_addc_u32 s25, s3, s15
	s_add_u32 s26, s0, s14
	s_addc_u32 s27, s1, s15
	s_or_b32 s12, s26, s24
	s_and_b32 s12, s12, 31
	s_cmp_eq_u32 s12, 0
	s_cselect_b64 s[28:29], -1, 0
	s_lshl_b64 s[8:9], s[8:9], 16
	s_sub_u32 s12, s20, s8
	s_subb_u32 s13, s21, s9
	s_and_b32 s18, s20, 3
	s_or_b64 s[8:9], s[16:17], s[18:19]
	s_cmp_eq_u64 s[8:9], 0
	s_cselect_b64 s[8:9], -1, 0
	s_and_b64 s[16:17], s[28:29], s[8:9]
	s_mov_b64 s[8:9], -1
	s_and_b64 vcc, exec, s[16:17]
	s_cbranch_vccnz .LBB25_29
; %bb.1:
	v_cmp_lt_i64_e64 s[8:9], s[12:13], 1
	s_and_b64 vcc, exec, s[8:9]
	s_cbranch_vccnz .LBB25_28
; %bb.2:
	s_load_dword s8, s[4:5], 0xc64
	v_mov_b32_e32 v2, 0x10000
	v_mov_b32_e32 v3, 0
	v_cmp_lt_u64_e32 vcc, s[12:13], v[2:3]
	v_lshlrev_b32_e32 v14, 3, v0
	s_waitcnt lgkmcnt(0)
	s_and_b32 s18, s8, 0xffff
	s_and_b64 s[8:9], vcc, exec
	v_mov_b32_e32 v19, s7
	v_add_co_u32_e32 v2, vcc, s6, v14
	v_addc_co_u32_e32 v1, vcc, 0, v19, vcc
	v_mov_b32_e32 v21, s3
	v_add_co_u32_e32 v4, vcc, s2, v14
	v_addc_co_u32_e32 v3, vcc, 0, v21, vcc
	v_mov_b32_e32 v15, 0
	v_mov_b32_e32 v23, s1
	v_add_co_u32_e32 v6, vcc, s0, v14
	v_addc_co_u32_e32 v5, vcc, 0, v23, vcc
	v_mad_u64_u32 v[12:13], s[8:9], s18, 24, v[14:15]
	v_add_co_u32_e32 v8, vcc, s6, v12
	v_addc_co_u32_e32 v7, vcc, v19, v13, vcc
	v_add_co_u32_e32 v10, vcc, s2, v12
	v_addc_co_u32_e32 v9, vcc, v21, v13, vcc
	v_add_co_u32_e32 v12, vcc, s0, v12
	s_mul_i32 s20, s18, 3
	v_addc_co_u32_e32 v11, vcc, v23, v13, vcc
	s_cselect_b32 s17, s13, 0
	s_cselect_b32 s16, s12, 0x10000
	v_add_co_u32_e32 v25, vcc, s20, v0
	s_lshl_b32 s1, s18, 4
	v_addc_co_u32_e64 v50, s[8:9], 0, 0, vcc
	v_add_co_u32_e32 v17, vcc, s1, v14
	v_addc_co_u32_e64 v20, s[8:9], 0, 0, vcc
	v_add_co_u32_e32 v14, vcc, s6, v17
	v_addc_co_u32_e32 v13, vcc, v19, v20, vcc
	v_add_co_u32_e32 v16, vcc, s2, v17
	v_addc_co_u32_e32 v15, vcc, v21, v20, vcc
	v_add_co_u32_e32 v18, vcc, s0, v17
	s_lshl_b32 s19, s18, 1
	v_addc_co_u32_e32 v17, vcc, v23, v20, vcc
	v_add_co_u32_e32 v51, vcc, s19, v0
	v_addc_co_u32_e64 v52, s[8:9], 0, 0, vcc
	v_add_co_u32_e32 v53, vcc, s18, v0
	v_lshlrev_b32_e32 v24, 3, v53
	v_addc_co_u32_e64 v54, s[8:9], 0, 0, vcc
	v_add_co_u32_e32 v20, vcc, s6, v24
	v_addc_co_u32_e32 v19, vcc, 0, v19, vcc
	v_add_co_u32_e32 v22, vcc, s2, v24
	v_addc_co_u32_e32 v21, vcc, 0, v21, vcc
	v_add_co_u32_e32 v24, vcc, s0, v24
	s_mov_b32 s28, 0
	s_lshl_b32 s29, s18, 2
	s_lshl_b32 s30, s18, 5
	v_addc_co_u32_e32 v23, vcc, 0, v23, vcc
	s_mov_b64 s[18:19], 0
	s_branch .LBB25_4
.LBB25_3:                               ;   in Loop: Header=BB25_4 Depth=1
	s_or_b64 exec, exec, s[0:1]
	s_add_u32 s18, s18, s29
	s_addc_u32 s19, s19, 0
	s_waitcnt vmcnt(0)
	v_pk_mov_b32 v[26:27], s[12:13], s[12:13] op_sel:[0,1]
	v_cmp_lt_i64_e32 vcc, s[18:19], v[26:27]
	v_mov_b32_e32 v26, 0x10000
	v_mov_b32_e32 v27, 0
	v_cmp_lt_u64_e64 s[0:1], s[18:19], v[26:27]
	s_and_b64 s[0:1], vcc, s[0:1]
	v_mov_b32_e32 v26, s28
	v_add_co_u32_e32 v2, vcc, s30, v2
	v_addc_co_u32_e32 v1, vcc, v1, v26, vcc
	v_add_co_u32_e32 v4, vcc, s30, v4
	v_addc_co_u32_e32 v3, vcc, v3, v26, vcc
	;; [unrolled: 2-line block ×12, first 2 shown]
	s_and_b64 vcc, exec, s[0:1]
	s_cbranch_vccz .LBB25_28
.LBB25_4:                               ; =>This Inner Loop Header: Depth=1
	v_mov_b32_e32 v27, s19
	v_add_co_u32_e32 v26, vcc, s18, v0
	v_addc_co_u32_e32 v27, vcc, 0, v27, vcc
	v_cmp_gt_u64_e32 vcc, s[16:17], v[26:27]
	v_pk_mov_b32 v[26:27], 0, 0
	v_pk_mov_b32 v[28:29], v[26:27], v[26:27] op_sel:[0,1]
	v_pk_mov_b32 v[30:31], v[26:27], v[26:27] op_sel:[0,1]
	s_and_saveexec_b64 s[2:3], vcc
	s_cbranch_execz .LBB25_6
; %bb.5:                                ;   in Loop: Header=BB25_4 Depth=1
	v_mov_b32_e32 v28, s15
	v_add_co_u32_e64 v32, s[0:1], s14, v2
	v_addc_co_u32_e64 v33, s[0:1], v1, v28, s[0:1]
	v_add_co_u32_e64 v34, s[0:1], s14, v4
	v_addc_co_u32_e64 v35, s[0:1], v3, v28, s[0:1]
	global_load_dwordx2 v[28:29], v[32:33], off
	global_load_dwordx2 v[30:31], v[34:35], off
.LBB25_6:                               ;   in Loop: Header=BB25_4 Depth=1
	s_or_b64 exec, exec, s[2:3]
	s_and_saveexec_b64 s[2:3], vcc
	s_cbranch_execz .LBB25_8
; %bb.7:                                ;   in Loop: Header=BB25_4 Depth=1
	v_mov_b32_e32 v27, s15
	v_add_co_u32_e64 v26, s[0:1], s14, v6
	v_addc_co_u32_e64 v27, s[0:1], v5, v27, s[0:1]
	global_load_dwordx2 v[26:27], v[26:27], off
.LBB25_8:                               ;   in Loop: Header=BB25_4 Depth=1
	s_or_b64 exec, exec, s[2:3]
	v_mov_b32_e32 v33, s19
	v_add_co_u32_e64 v32, s[0:1], s18, v53
	v_addc_co_u32_e64 v33, s[0:1], v54, v33, s[0:1]
	v_cmp_gt_u64_e64 s[0:1], s[16:17], v[32:33]
	v_pk_mov_b32 v[32:33], 0, 0
	v_pk_mov_b32 v[34:35], v[32:33], v[32:33] op_sel:[0,1]
	v_pk_mov_b32 v[36:37], v[32:33], v[32:33] op_sel:[0,1]
	s_and_saveexec_b64 s[6:7], s[0:1]
	s_cbranch_execz .LBB25_10
; %bb.9:                                ;   in Loop: Header=BB25_4 Depth=1
	v_mov_b32_e32 v34, s15
	v_add_co_u32_e64 v38, s[2:3], s14, v20
	v_addc_co_u32_e64 v39, s[2:3], v19, v34, s[2:3]
	v_add_co_u32_e64 v40, s[2:3], s14, v22
	v_addc_co_u32_e64 v41, s[2:3], v21, v34, s[2:3]
	global_load_dwordx2 v[34:35], v[38:39], off
	global_load_dwordx2 v[36:37], v[40:41], off
.LBB25_10:                              ;   in Loop: Header=BB25_4 Depth=1
	s_or_b64 exec, exec, s[6:7]
	s_and_saveexec_b64 s[6:7], s[0:1]
	s_cbranch_execz .LBB25_12
; %bb.11:                               ;   in Loop: Header=BB25_4 Depth=1
	v_mov_b32_e32 v33, s15
	v_add_co_u32_e64 v32, s[2:3], s14, v24
	v_addc_co_u32_e64 v33, s[2:3], v23, v33, s[2:3]
	global_load_dwordx2 v[32:33], v[32:33], off
.LBB25_12:                              ;   in Loop: Header=BB25_4 Depth=1
	s_or_b64 exec, exec, s[6:7]
	v_mov_b32_e32 v39, s19
	v_add_co_u32_e64 v38, s[2:3], s18, v51
	v_addc_co_u32_e64 v39, s[2:3], v52, v39, s[2:3]
	v_cmp_gt_u64_e64 s[2:3], s[16:17], v[38:39]
	v_pk_mov_b32 v[38:39], 0, 0
	v_pk_mov_b32 v[40:41], v[38:39], v[38:39] op_sel:[0,1]
	v_pk_mov_b32 v[42:43], v[38:39], v[38:39] op_sel:[0,1]
	s_and_saveexec_b64 s[8:9], s[2:3]
	s_cbranch_execz .LBB25_14
; %bb.13:                               ;   in Loop: Header=BB25_4 Depth=1
	v_mov_b32_e32 v40, s15
	v_add_co_u32_e64 v44, s[6:7], s14, v14
	v_addc_co_u32_e64 v45, s[6:7], v13, v40, s[6:7]
	v_add_co_u32_e64 v46, s[6:7], s14, v16
	v_addc_co_u32_e64 v47, s[6:7], v15, v40, s[6:7]
	global_load_dwordx2 v[40:41], v[44:45], off
	global_load_dwordx2 v[42:43], v[46:47], off
.LBB25_14:                              ;   in Loop: Header=BB25_4 Depth=1
	s_or_b64 exec, exec, s[8:9]
	s_and_saveexec_b64 s[8:9], s[2:3]
	s_cbranch_execz .LBB25_16
; %bb.15:                               ;   in Loop: Header=BB25_4 Depth=1
	v_mov_b32_e32 v39, s15
	v_add_co_u32_e64 v38, s[6:7], s14, v18
	v_addc_co_u32_e64 v39, s[6:7], v17, v39, s[6:7]
	global_load_dwordx2 v[38:39], v[38:39], off
.LBB25_16:                              ;   in Loop: Header=BB25_4 Depth=1
	s_or_b64 exec, exec, s[8:9]
	v_mov_b32_e32 v45, s19
	v_add_co_u32_e64 v44, s[6:7], s18, v25
	v_addc_co_u32_e64 v45, s[6:7], v50, v45, s[6:7]
	v_cmp_gt_u64_e64 s[6:7], s[16:17], v[44:45]
	v_pk_mov_b32 v[44:45], 0, 0
	v_pk_mov_b32 v[46:47], v[44:45], v[44:45] op_sel:[0,1]
	v_pk_mov_b32 v[48:49], v[44:45], v[44:45] op_sel:[0,1]
	s_and_saveexec_b64 s[20:21], s[6:7]
	s_cbranch_execnz .LBB25_22
; %bb.17:                               ;   in Loop: Header=BB25_4 Depth=1
	s_or_b64 exec, exec, s[20:21]
	s_and_saveexec_b64 s[20:21], s[6:7]
	s_cbranch_execnz .LBB25_23
.LBB25_18:                              ;   in Loop: Header=BB25_4 Depth=1
	s_or_b64 exec, exec, s[20:21]
	s_and_saveexec_b64 s[8:9], vcc
	s_cbranch_execnz .LBB25_24
.LBB25_19:                              ;   in Loop: Header=BB25_4 Depth=1
	s_or_b64 exec, exec, s[8:9]
	s_and_saveexec_b64 s[8:9], s[0:1]
	s_cbranch_execnz .LBB25_25
.LBB25_20:                              ;   in Loop: Header=BB25_4 Depth=1
	s_or_b64 exec, exec, s[8:9]
	s_and_saveexec_b64 s[0:1], s[2:3]
	s_cbranch_execnz .LBB25_26
.LBB25_21:                              ;   in Loop: Header=BB25_4 Depth=1
	s_or_b64 exec, exec, s[0:1]
	s_and_saveexec_b64 s[0:1], s[6:7]
	s_cbranch_execz .LBB25_3
	s_branch .LBB25_27
.LBB25_22:                              ;   in Loop: Header=BB25_4 Depth=1
	v_mov_b32_e32 v46, s15
	v_add_co_u32_e64 v56, s[8:9], s14, v8
	v_addc_co_u32_e64 v57, s[8:9], v7, v46, s[8:9]
	v_add_co_u32_e64 v58, s[8:9], s14, v10
	v_addc_co_u32_e64 v59, s[8:9], v9, v46, s[8:9]
	global_load_dwordx2 v[46:47], v[56:57], off
	global_load_dwordx2 v[48:49], v[58:59], off
	s_or_b64 exec, exec, s[20:21]
	s_and_saveexec_b64 s[20:21], s[6:7]
	s_cbranch_execz .LBB25_18
.LBB25_23:                              ;   in Loop: Header=BB25_4 Depth=1
	v_mov_b32_e32 v45, s15
	v_add_co_u32_e64 v44, s[8:9], s14, v12
	v_addc_co_u32_e64 v45, s[8:9], v11, v45, s[8:9]
	global_load_dwordx2 v[44:45], v[44:45], off
	s_or_b64 exec, exec, s[20:21]
	s_and_saveexec_b64 s[8:9], vcc
	s_cbranch_execz .LBB25_19
.LBB25_24:                              ;   in Loop: Header=BB25_4 Depth=1
	v_mov_b32_e32 v55, s15
	v_add_co_u32_e32 v56, vcc, s14, v2
	v_addc_co_u32_e32 v57, vcc, v1, v55, vcc
	s_waitcnt vmcnt(0)
	v_mul_lo_u32 v55, v31, s10
	v_mul_lo_u32 v58, v30, s11
	v_mad_u64_u32 v[30:31], s[20:21], v30, s10, 0
	v_add3_u32 v31, v31, v58, v55
	v_mul_lo_u32 v31, v31, v26
	v_mul_lo_u32 v55, v30, v27
	v_mad_u64_u32 v[26:27], s[20:21], v30, v26, v[28:29]
	v_add3_u32 v27, v31, v27, v55
	global_store_dwordx2 v[56:57], v[26:27], off
	s_or_b64 exec, exec, s[8:9]
	s_and_saveexec_b64 s[8:9], s[0:1]
	s_cbranch_execz .LBB25_20
.LBB25_25:                              ;   in Loop: Header=BB25_4 Depth=1
	s_waitcnt vmcnt(0)
	v_mul_lo_u32 v28, v37, s10
	v_mul_lo_u32 v29, v36, s11
	v_mad_u64_u32 v[26:27], s[0:1], v36, s10, 0
	v_add3_u32 v27, v27, v29, v28
	v_mul_lo_u32 v28, v27, v32
	v_mul_lo_u32 v29, v26, v33
	v_mad_u64_u32 v[26:27], s[0:1], v26, v32, v[34:35]
	v_add3_u32 v27, v28, v27, v29
	v_mov_b32_e32 v29, s15
	v_add_co_u32_e32 v28, vcc, s14, v20
	v_addc_co_u32_e32 v29, vcc, v19, v29, vcc
	global_store_dwordx2 v[28:29], v[26:27], off
	s_or_b64 exec, exec, s[8:9]
	s_and_saveexec_b64 s[0:1], s[2:3]
	s_cbranch_execz .LBB25_21
.LBB25_26:                              ;   in Loop: Header=BB25_4 Depth=1
	s_waitcnt vmcnt(0)
	v_mul_lo_u32 v28, v43, s10
	v_mul_lo_u32 v29, v42, s11
	v_mad_u64_u32 v[26:27], s[2:3], v42, s10, 0
	v_add3_u32 v27, v27, v29, v28
	v_mul_lo_u32 v28, v27, v38
	v_mul_lo_u32 v29, v26, v39
	v_mad_u64_u32 v[26:27], s[2:3], v26, v38, v[40:41]
	v_add3_u32 v27, v28, v27, v29
	v_mov_b32_e32 v29, s15
	v_add_co_u32_e32 v28, vcc, s14, v14
	v_addc_co_u32_e32 v29, vcc, v13, v29, vcc
	global_store_dwordx2 v[28:29], v[26:27], off
	s_or_b64 exec, exec, s[0:1]
	s_and_saveexec_b64 s[0:1], s[6:7]
	s_cbranch_execz .LBB25_3
.LBB25_27:                              ;   in Loop: Header=BB25_4 Depth=1
	s_waitcnt vmcnt(0)
	v_mul_lo_u32 v28, v49, s10
	v_mul_lo_u32 v29, v48, s11
	v_mad_u64_u32 v[26:27], s[2:3], v48, s10, 0
	v_add3_u32 v27, v27, v29, v28
	v_mul_lo_u32 v28, v27, v44
	v_mul_lo_u32 v29, v26, v45
	v_mad_u64_u32 v[26:27], s[2:3], v26, v44, v[46:47]
	v_add3_u32 v27, v28, v27, v29
	v_mov_b32_e32 v29, s15
	v_add_co_u32_e32 v28, vcc, s14, v8
	v_addc_co_u32_e32 v29, vcc, v7, v29, vcc
	global_store_dwordx2 v[28:29], v[26:27], off
	s_branch .LBB25_3
.LBB25_28:
	s_mov_b64 s[8:9], 0
.LBB25_29:
	s_andn2_b64 vcc, exec, s[8:9]
	s_cbranch_vccnz .LBB25_33
; %bb.30:
	v_mov_b32_e32 v3, 0
	v_lshlrev_b32_e32 v2, 2, v0
	s_mov_b32 s0, 0
	v_cmp_gt_i64_e32 vcc, s[12:13], v[2:3]
	s_and_saveexec_b64 s[2:3], vcc
	s_cbranch_execz .LBB25_33
; %bb.31:
	s_load_dword s1, s[4:5], 0xc64
	v_lshlrev_b32_e32 v4, 5, v0
	s_mov_b64 s[4:5], 0
	s_mov_b64 s[6:7], 0xffff
	s_waitcnt lgkmcnt(0)
	s_and_b32 s1, s1, 0xffff
	v_add_lshl_u32 v2, v0, s1, 2
	s_lshl_b32 s8, s1, 2
	s_lshl_b32 s9, s1, 5
	v_mov_b32_e32 v0, s0
.LBB25_32:                              ; =>This Inner Loop Header: Depth=1
	v_mov_b32_e32 v5, s25
	v_add_co_u32_e32 v30, vcc, s24, v4
	v_mov_b32_e32 v1, s23
	v_mov_b32_e32 v6, s27
	v_add_co_u32_e64 v32, s[0:1], s26, v4
	v_add_co_u32_e64 v34, s[2:3], s22, v4
	v_addc_co_u32_e32 v31, vcc, 0, v5, vcc
	v_addc_co_u32_e64 v35, s[2:3], 0, v1, s[2:3]
	v_addc_co_u32_e64 v33, vcc, 0, v6, s[0:1]
	global_load_dwordx4 v[6:9], v[30:31], off
	global_load_dwordx4 v[10:13], v[30:31], off offset:16
	global_load_dwordx4 v[14:17], v[32:33], off
	global_load_dwordx4 v[18:21], v[34:35], off
	global_load_dwordx4 v[22:25], v[32:33], off offset:16
	global_load_dwordx4 v[26:29], v[34:35], off offset:16
	v_cmp_le_i64_e32 vcc, s[12:13], v[2:3]
	v_cmp_lt_u64_e64 s[0:1], s[6:7], v[2:3]
	s_or_b64 s[0:1], vcc, s[0:1]
	s_add_u32 s22, s22, s9
	s_addc_u32 s23, s23, 0
	s_add_u32 s26, s26, s9
	s_addc_u32 s27, s27, 0
	;; [unrolled: 2-line block ×3, first 2 shown]
	s_and_b64 s[0:1], exec, s[0:1]
	s_or_b64 s[4:5], s[0:1], s[4:5]
	v_add_co_u32_e64 v2, s[2:3], s8, v2
	v_addc_co_u32_e64 v3, s[2:3], v3, v0, s[2:3]
	s_waitcnt vmcnt(5)
	v_mul_lo_u32 v1, v7, s10
	v_mul_lo_u32 v5, v6, s11
	v_mad_u64_u32 v[6:7], s[0:1], v6, s10, 0
	v_mul_lo_u32 v30, v9, s10
	v_mul_lo_u32 v31, v8, s11
	v_mad_u64_u32 v[8:9], s[0:1], v8, s10, 0
	s_waitcnt vmcnt(4)
	v_mul_lo_u32 v32, v11, s10
	v_mul_lo_u32 v33, v10, s11
	v_mad_u64_u32 v[10:11], s[0:1], v10, s10, 0
	v_mul_lo_u32 v36, v13, s10
	v_mul_lo_u32 v37, v12, s11
	v_mad_u64_u32 v[12:13], s[0:1], v12, s10, 0
	v_add3_u32 v1, v7, v5, v1
	s_waitcnt vmcnt(3)
	v_mul_lo_u32 v5, v6, v15
	v_add3_u32 v15, v9, v31, v30
	s_waitcnt vmcnt(2)
	v_mad_u64_u32 v[6:7], s[0:1], v6, v14, v[18:19]
	v_mul_lo_u32 v17, v8, v17
	v_mad_u64_u32 v[8:9], s[0:1], v8, v16, v[20:21]
	v_add3_u32 v18, v11, v33, v32
	v_add3_u32 v20, v13, v37, v36
	v_mul_lo_u32 v1, v1, v14
	v_mul_lo_u32 v14, v15, v16
	s_waitcnt vmcnt(1)
	v_mul_lo_u32 v19, v10, v23
	s_waitcnt vmcnt(0)
	v_mad_u64_u32 v[10:11], s[0:1], v10, v22, v[26:27]
	v_mul_lo_u32 v21, v12, v25
	v_mad_u64_u32 v[12:13], s[0:1], v12, v24, v[28:29]
	v_mul_lo_u32 v15, v18, v22
	v_mul_lo_u32 v16, v20, v24
	v_add3_u32 v7, v1, v7, v5
	v_add3_u32 v9, v14, v9, v17
	;; [unrolled: 1-line block ×4, first 2 shown]
	global_store_dwordx4 v[34:35], v[6:9], off
	global_store_dwordx4 v[34:35], v[10:13], off offset:16
	s_andn2_b64 exec, exec, s[4:5]
	s_cbranch_execnz .LBB25_32
.LBB25_33:
	s_endpgm
	.section	.rodata,"a",@progbits
	.p2align	6, 0x0
	.amdhsa_kernel _ZN2at6native12_GLOBAL__N_125multi_tensor_apply_kernelINS1_18TensorListMetadataILi3EEENS1_24PointwiseOpScalarFunctorIlLi3ELi3ELi0EEEJSt10multipliesIlElEEEvT_T0_DpT1_
		.amdhsa_group_segment_fixed_size 0
		.amdhsa_private_segment_fixed_size 0
		.amdhsa_kernarg_size 3416
		.amdhsa_user_sgpr_count 6
		.amdhsa_user_sgpr_private_segment_buffer 1
		.amdhsa_user_sgpr_dispatch_ptr 0
		.amdhsa_user_sgpr_queue_ptr 0
		.amdhsa_user_sgpr_kernarg_segment_ptr 1
		.amdhsa_user_sgpr_dispatch_id 0
		.amdhsa_user_sgpr_flat_scratch_init 0
		.amdhsa_user_sgpr_kernarg_preload_length 0
		.amdhsa_user_sgpr_kernarg_preload_offset 0
		.amdhsa_user_sgpr_private_segment_size 0
		.amdhsa_uses_dynamic_stack 0
		.amdhsa_system_sgpr_private_segment_wavefront_offset 0
		.amdhsa_system_sgpr_workgroup_id_x 1
		.amdhsa_system_sgpr_workgroup_id_y 0
		.amdhsa_system_sgpr_workgroup_id_z 0
		.amdhsa_system_sgpr_workgroup_info 0
		.amdhsa_system_vgpr_workitem_id 0
		.amdhsa_next_free_vgpr 60
		.amdhsa_next_free_sgpr 31
		.amdhsa_accum_offset 60
		.amdhsa_reserve_vcc 1
		.amdhsa_reserve_flat_scratch 0
		.amdhsa_float_round_mode_32 0
		.amdhsa_float_round_mode_16_64 0
		.amdhsa_float_denorm_mode_32 3
		.amdhsa_float_denorm_mode_16_64 3
		.amdhsa_dx10_clamp 1
		.amdhsa_ieee_mode 1
		.amdhsa_fp16_overflow 0
		.amdhsa_tg_split 0
		.amdhsa_exception_fp_ieee_invalid_op 0
		.amdhsa_exception_fp_denorm_src 0
		.amdhsa_exception_fp_ieee_div_zero 0
		.amdhsa_exception_fp_ieee_overflow 0
		.amdhsa_exception_fp_ieee_underflow 0
		.amdhsa_exception_fp_ieee_inexact 0
		.amdhsa_exception_int_div_zero 0
	.end_amdhsa_kernel
	.section	.text._ZN2at6native12_GLOBAL__N_125multi_tensor_apply_kernelINS1_18TensorListMetadataILi3EEENS1_24PointwiseOpScalarFunctorIlLi3ELi3ELi0EEEJSt10multipliesIlElEEEvT_T0_DpT1_,"axG",@progbits,_ZN2at6native12_GLOBAL__N_125multi_tensor_apply_kernelINS1_18TensorListMetadataILi3EEENS1_24PointwiseOpScalarFunctorIlLi3ELi3ELi0EEEJSt10multipliesIlElEEEvT_T0_DpT1_,comdat
.Lfunc_end25:
	.size	_ZN2at6native12_GLOBAL__N_125multi_tensor_apply_kernelINS1_18TensorListMetadataILi3EEENS1_24PointwiseOpScalarFunctorIlLi3ELi3ELi0EEEJSt10multipliesIlElEEEvT_T0_DpT1_, .Lfunc_end25-_ZN2at6native12_GLOBAL__N_125multi_tensor_apply_kernelINS1_18TensorListMetadataILi3EEENS1_24PointwiseOpScalarFunctorIlLi3ELi3ELi0EEEJSt10multipliesIlElEEEvT_T0_DpT1_
                                        ; -- End function
	.section	.AMDGPU.csdata,"",@progbits
; Kernel info:
; codeLenInByte = 2284
; NumSgprs: 35
; NumVgprs: 60
; NumAgprs: 0
; TotalNumVgprs: 60
; ScratchSize: 0
; MemoryBound: 0
; FloatMode: 240
; IeeeMode: 1
; LDSByteSize: 0 bytes/workgroup (compile time only)
; SGPRBlocks: 4
; VGPRBlocks: 7
; NumSGPRsForWavesPerEU: 35
; NumVGPRsForWavesPerEU: 60
; AccumOffset: 60
; Occupancy: 8
; WaveLimiterHint : 0
; COMPUTE_PGM_RSRC2:SCRATCH_EN: 0
; COMPUTE_PGM_RSRC2:USER_SGPR: 6
; COMPUTE_PGM_RSRC2:TRAP_HANDLER: 0
; COMPUTE_PGM_RSRC2:TGID_X_EN: 1
; COMPUTE_PGM_RSRC2:TGID_Y_EN: 0
; COMPUTE_PGM_RSRC2:TGID_Z_EN: 0
; COMPUTE_PGM_RSRC2:TIDIG_COMP_CNT: 0
; COMPUTE_PGM_RSRC3_GFX90A:ACCUM_OFFSET: 14
; COMPUTE_PGM_RSRC3_GFX90A:TG_SPLIT: 0
	.section	.text._ZN2at6native12_GLOBAL__N_125multi_tensor_apply_kernelINS1_18TensorListMetadataILi3EEENS1_24PointwiseOpScalarFunctorIsLi3ELi3ELi0EEEJSt10multipliesIsEsEEEvT_T0_DpT1_,"axG",@progbits,_ZN2at6native12_GLOBAL__N_125multi_tensor_apply_kernelINS1_18TensorListMetadataILi3EEENS1_24PointwiseOpScalarFunctorIsLi3ELi3ELi0EEEJSt10multipliesIsEsEEEvT_T0_DpT1_,comdat
	.globl	_ZN2at6native12_GLOBAL__N_125multi_tensor_apply_kernelINS1_18TensorListMetadataILi3EEENS1_24PointwiseOpScalarFunctorIsLi3ELi3ELi0EEEJSt10multipliesIsEsEEEvT_T0_DpT1_ ; -- Begin function _ZN2at6native12_GLOBAL__N_125multi_tensor_apply_kernelINS1_18TensorListMetadataILi3EEENS1_24PointwiseOpScalarFunctorIsLi3ELi3ELi0EEEJSt10multipliesIsEsEEEvT_T0_DpT1_
	.p2align	8
	.type	_ZN2at6native12_GLOBAL__N_125multi_tensor_apply_kernelINS1_18TensorListMetadataILi3EEENS1_24PointwiseOpScalarFunctorIsLi3ELi3ELi0EEEJSt10multipliesIsEsEEEvT_T0_DpT1_,@function
_ZN2at6native12_GLOBAL__N_125multi_tensor_apply_kernelINS1_18TensorListMetadataILi3EEENS1_24PointwiseOpScalarFunctorIsLi3ELi3ELi0EEEJSt10multipliesIsEsEEEvT_T0_DpT1_: ; @_ZN2at6native12_GLOBAL__N_125multi_tensor_apply_kernelINS1_18TensorListMetadataILi3EEENS1_24PointwiseOpScalarFunctorIsLi3ELi3ELi0EEEJSt10multipliesIsEsEEEvT_T0_DpT1_
; %bb.0:
	v_mov_b32_e32 v1, s6
	global_load_ubyte v1, v1, s[4:5] offset:1536
	s_load_dword s0, s[4:5], 0xc48
	s_mul_i32 s7, s6, 3
	s_mul_hi_u32 s2, s6, 3
	s_mov_b32 s1, 0
	s_mov_b32 s3, s1
	s_waitcnt lgkmcnt(0)
	s_lshr_b32 s26, s0, 16
	s_add_u32 s0, s4, s6
	s_addc_u32 s8, s5, 0
	s_add_u32 s6, s0, s7
	s_addc_u32 s7, s8, s2
	s_load_dword s6, s[6:7], 0x740
	s_waitcnt lgkmcnt(0)
	s_ashr_i32 s7, s6, 31
	s_lshl_b64 s[18:19], s[6:7], 17
	s_waitcnt vmcnt(0)
	v_readfirstlane_b32 s0, v1
	s_lshl_b32 s0, s0, 3
	s_load_dwordx2 s[10:11], s[4:5], s0 offset:0x0
	s_load_dwordx2 s[12:13], s[4:5], s0 offset:0x180
	;; [unrolled: 1-line block ×4, first 2 shown]
	s_waitcnt lgkmcnt(0)
	s_and_b32 s0, s10, 7
	s_add_u32 s2, s12, s18
	s_or_b32 s2, s14, s2
	s_and_b32 s2, s2, 7
	s_cmp_eq_u32 s2, 0
	s_cselect_b64 s[20:21], -1, 0
	s_lshl_b64 s[6:7], s[6:7], 16
	s_sub_u32 s16, s8, s6
	s_subb_u32 s17, s9, s7
	s_and_b32 s2, s8, 3
	s_or_b64 s[0:1], s[0:1], s[2:3]
	s_cmp_eq_u64 s[0:1], 0
	s_cselect_b64 s[0:1], -1, 0
	s_and_b64 s[2:3], s[20:21], s[0:1]
	s_mov_b64 s[0:1], -1
	s_and_b64 vcc, exec, s[2:3]
	s_cbranch_vccnz .LBB26_29
; %bb.1:
	v_cmp_lt_i64_e64 s[0:1], s[16:17], 1
	s_and_b64 vcc, exec, s[0:1]
	s_cbranch_vccnz .LBB26_28
; %bb.2:
	s_load_dword s0, s[4:5], 0xc5c
	v_mov_b32_e32 v2, 0x10000
	v_mov_b32_e32 v3, 0
	v_cmp_lt_u64_e32 vcc, s[16:17], v[2:3]
	v_lshlrev_b32_e32 v14, 1, v0
	s_waitcnt lgkmcnt(0)
	s_and_b32 s2, s0, 0xffff
	s_and_b64 s[0:1], vcc, exec
	v_mov_b32_e32 v19, s11
	v_add_co_u32_e32 v2, vcc, s10, v14
	v_addc_co_u32_e32 v1, vcc, 0, v19, vcc
	v_mov_b32_e32 v21, s13
	v_add_co_u32_e32 v4, vcc, s12, v14
	v_addc_co_u32_e32 v3, vcc, 0, v21, vcc
	v_mov_b32_e32 v15, 0
	v_mov_b32_e32 v23, s15
	v_add_co_u32_e32 v6, vcc, s14, v14
	v_addc_co_u32_e32 v5, vcc, 0, v23, vcc
	v_mad_u64_u32 v[12:13], s[0:1], s2, 6, v[14:15]
	v_add_co_u32_e32 v8, vcc, s10, v12
	v_addc_co_u32_e32 v7, vcc, v19, v13, vcc
	v_add_co_u32_e32 v10, vcc, s12, v12
	v_addc_co_u32_e32 v9, vcc, v21, v13, vcc
	v_add_co_u32_e32 v12, vcc, s14, v12
	s_mul_i32 s6, s2, 3
	v_addc_co_u32_e32 v11, vcc, v23, v13, vcc
	s_cselect_b32 s21, s17, 0
	s_cselect_b32 s20, s16, 0x10000
	s_lshl_b32 s28, s2, 2
	v_add_co_u32_e32 v25, vcc, s6, v0
	v_addc_co_u32_e64 v26, s[0:1], 0, 0, vcc
	v_add_co_u32_e32 v17, vcc, s28, v14
	v_addc_co_u32_e64 v20, s[0:1], 0, 0, vcc
	v_add_co_u32_e32 v14, vcc, s10, v17
	v_addc_co_u32_e32 v13, vcc, v19, v20, vcc
	v_add_co_u32_e32 v16, vcc, s12, v17
	v_addc_co_u32_e32 v15, vcc, v21, v20, vcc
	v_add_co_u32_e32 v18, vcc, s14, v17
	s_lshl_b32 s3, s2, 1
	v_addc_co_u32_e32 v17, vcc, v23, v20, vcc
	v_add_co_u32_e32 v27, vcc, s3, v0
	v_addc_co_u32_e64 v28, s[0:1], 0, 0, vcc
	v_add_co_u32_e32 v29, vcc, s2, v0
	v_lshlrev_b32_e32 v24, 1, v29
	v_addc_co_u32_e64 v30, s[0:1], 0, 0, vcc
	v_add_co_u32_e32 v20, vcc, s10, v24
	v_addc_co_u32_e32 v19, vcc, 0, v19, vcc
	v_add_co_u32_e32 v22, vcc, s12, v24
	v_addc_co_u32_e32 v21, vcc, 0, v21, vcc
	v_add_co_u32_e32 v24, vcc, s14, v24
	s_mov_b32 s27, 0
	s_lshl_b32 s29, s2, 3
	v_addc_co_u32_e32 v23, vcc, 0, v23, vcc
	s_mov_b64 s[22:23], 0
	s_branch .LBB26_4
.LBB26_3:                               ;   in Loop: Header=BB26_4 Depth=1
	s_or_b64 exec, exec, s[0:1]
	s_add_u32 s22, s22, s28
	s_addc_u32 s23, s23, 0
	s_waitcnt vmcnt(0)
	v_pk_mov_b32 v[32:33], s[16:17], s[16:17] op_sel:[0,1]
	v_cmp_lt_i64_e32 vcc, s[22:23], v[32:33]
	v_mov_b32_e32 v32, 0x10000
	v_mov_b32_e32 v33, 0
	v_cmp_lt_u64_e64 s[0:1], s[22:23], v[32:33]
	s_and_b64 s[0:1], vcc, s[0:1]
	v_mov_b32_e32 v31, s27
	v_add_co_u32_e32 v2, vcc, s29, v2
	v_addc_co_u32_e32 v1, vcc, v1, v31, vcc
	v_add_co_u32_e32 v4, vcc, s29, v4
	v_addc_co_u32_e32 v3, vcc, v3, v31, vcc
	;; [unrolled: 2-line block ×12, first 2 shown]
	s_and_b64 vcc, exec, s[0:1]
	s_cbranch_vccz .LBB26_28
.LBB26_4:                               ; =>This Inner Loop Header: Depth=1
	v_mov_b32_e32 v31, s23
	v_add_co_u32_e32 v32, vcc, s22, v0
	v_addc_co_u32_e32 v33, vcc, 0, v31, vcc
	v_cmp_gt_u64_e32 vcc, s[20:21], v[32:33]
	v_mov_b32_e32 v31, 0
	v_mov_b32_e32 v32, 0
	s_and_saveexec_b64 s[2:3], vcc
	s_cbranch_execz .LBB26_6
; %bb.5:                                ;   in Loop: Header=BB26_4 Depth=1
	v_mov_b32_e32 v31, s19
	v_add_co_u32_e64 v34, s[0:1], s18, v2
	v_addc_co_u32_e64 v35, s[0:1], v1, v31, s[0:1]
	v_add_co_u32_e64 v36, s[0:1], s18, v4
	v_addc_co_u32_e64 v37, s[0:1], v3, v31, s[0:1]
	global_load_ushort v31, v[34:35], off
	global_load_ushort v32, v[36:37], off
.LBB26_6:                               ;   in Loop: Header=BB26_4 Depth=1
	s_or_b64 exec, exec, s[2:3]
	v_mov_b32_e32 v33, 0
	v_mov_b32_e32 v34, 0
	s_and_saveexec_b64 s[2:3], vcc
	s_cbranch_execz .LBB26_8
; %bb.7:                                ;   in Loop: Header=BB26_4 Depth=1
	v_mov_b32_e32 v35, s19
	v_add_co_u32_e64 v34, s[0:1], s18, v6
	v_addc_co_u32_e64 v35, s[0:1], v5, v35, s[0:1]
	global_load_ushort v34, v[34:35], off
.LBB26_8:                               ;   in Loop: Header=BB26_4 Depth=1
	s_or_b64 exec, exec, s[2:3]
	v_mov_b32_e32 v35, s23
	v_add_co_u32_e64 v36, s[0:1], s22, v29
	v_addc_co_u32_e64 v37, s[0:1], v30, v35, s[0:1]
	v_cmp_gt_u64_e64 s[0:1], s[20:21], v[36:37]
	v_mov_b32_e32 v35, 0
	s_and_saveexec_b64 s[6:7], s[0:1]
	s_cbranch_execz .LBB26_10
; %bb.9:                                ;   in Loop: Header=BB26_4 Depth=1
	v_mov_b32_e32 v33, s19
	v_add_co_u32_e64 v36, s[2:3], s18, v22
	v_addc_co_u32_e64 v37, s[2:3], v21, v33, s[2:3]
	v_add_co_u32_e64 v38, s[2:3], s18, v20
	v_addc_co_u32_e64 v39, s[2:3], v19, v33, s[2:3]
	global_load_ushort v33, v[38:39], off
	global_load_ushort v35, v[36:37], off
.LBB26_10:                              ;   in Loop: Header=BB26_4 Depth=1
	s_or_b64 exec, exec, s[6:7]
	v_mov_b32_e32 v36, 0
	v_mov_b32_e32 v37, 0
	s_and_saveexec_b64 s[6:7], s[0:1]
	s_cbranch_execz .LBB26_12
; %bb.11:                               ;   in Loop: Header=BB26_4 Depth=1
	v_mov_b32_e32 v37, s19
	v_add_co_u32_e64 v38, s[2:3], s18, v24
	v_addc_co_u32_e64 v39, s[2:3], v23, v37, s[2:3]
	global_load_ushort v37, v[38:39], off
.LBB26_12:                              ;   in Loop: Header=BB26_4 Depth=1
	s_or_b64 exec, exec, s[6:7]
	v_mov_b32_e32 v39, s23
	v_add_co_u32_e64 v38, s[2:3], s22, v27
	v_addc_co_u32_e64 v39, s[2:3], v28, v39, s[2:3]
	v_cmp_gt_u64_e64 s[2:3], s[20:21], v[38:39]
	v_mov_b32_e32 v38, 0
	s_and_saveexec_b64 s[8:9], s[2:3]
	s_cbranch_execz .LBB26_14
; %bb.13:                               ;   in Loop: Header=BB26_4 Depth=1
	v_mov_b32_e32 v36, s19
	v_add_co_u32_e64 v40, s[6:7], s18, v16
	v_addc_co_u32_e64 v41, s[6:7], v15, v36, s[6:7]
	v_add_co_u32_e64 v42, s[6:7], s18, v14
	v_addc_co_u32_e64 v43, s[6:7], v13, v36, s[6:7]
	global_load_ushort v36, v[42:43], off
	global_load_ushort v38, v[40:41], off
.LBB26_14:                              ;   in Loop: Header=BB26_4 Depth=1
	s_or_b64 exec, exec, s[8:9]
	v_mov_b32_e32 v39, 0
	v_mov_b32_e32 v40, 0
	s_and_saveexec_b64 s[8:9], s[2:3]
	s_cbranch_execz .LBB26_16
; %bb.15:                               ;   in Loop: Header=BB26_4 Depth=1
	v_mov_b32_e32 v41, s19
	v_add_co_u32_e64 v40, s[6:7], s18, v18
	v_addc_co_u32_e64 v41, s[6:7], v17, v41, s[6:7]
	global_load_ushort v40, v[40:41], off
.LBB26_16:                              ;   in Loop: Header=BB26_4 Depth=1
	s_or_b64 exec, exec, s[8:9]
	v_mov_b32_e32 v41, s23
	v_add_co_u32_e64 v42, s[6:7], s22, v25
	v_addc_co_u32_e64 v43, s[6:7], v26, v41, s[6:7]
	v_cmp_gt_u64_e64 s[6:7], s[20:21], v[42:43]
	v_mov_b32_e32 v41, 0
	s_and_saveexec_b64 s[24:25], s[6:7]
	s_cbranch_execnz .LBB26_22
; %bb.17:                               ;   in Loop: Header=BB26_4 Depth=1
	s_or_b64 exec, exec, s[24:25]
	v_mov_b32_e32 v42, 0
	s_and_saveexec_b64 s[24:25], s[6:7]
	s_cbranch_execnz .LBB26_23
.LBB26_18:                              ;   in Loop: Header=BB26_4 Depth=1
	s_or_b64 exec, exec, s[24:25]
	s_and_saveexec_b64 s[8:9], vcc
	s_cbranch_execnz .LBB26_24
.LBB26_19:                              ;   in Loop: Header=BB26_4 Depth=1
	s_or_b64 exec, exec, s[8:9]
	s_and_saveexec_b64 s[8:9], s[0:1]
	s_cbranch_execnz .LBB26_25
.LBB26_20:                              ;   in Loop: Header=BB26_4 Depth=1
	s_or_b64 exec, exec, s[8:9]
	s_and_saveexec_b64 s[0:1], s[2:3]
	s_cbranch_execnz .LBB26_26
.LBB26_21:                              ;   in Loop: Header=BB26_4 Depth=1
	s_or_b64 exec, exec, s[0:1]
	s_and_saveexec_b64 s[0:1], s[6:7]
	s_cbranch_execz .LBB26_3
	s_branch .LBB26_27
.LBB26_22:                              ;   in Loop: Header=BB26_4 Depth=1
	v_mov_b32_e32 v39, s19
	v_add_co_u32_e64 v42, s[8:9], s18, v10
	v_addc_co_u32_e64 v43, s[8:9], v9, v39, s[8:9]
	v_add_co_u32_e64 v44, s[8:9], s18, v8
	v_addc_co_u32_e64 v45, s[8:9], v7, v39, s[8:9]
	global_load_ushort v39, v[44:45], off
	global_load_ushort v41, v[42:43], off
	s_or_b64 exec, exec, s[24:25]
	v_mov_b32_e32 v42, 0
	s_and_saveexec_b64 s[24:25], s[6:7]
	s_cbranch_execz .LBB26_18
.LBB26_23:                              ;   in Loop: Header=BB26_4 Depth=1
	v_mov_b32_e32 v43, s19
	v_add_co_u32_e64 v42, s[8:9], s18, v12
	v_addc_co_u32_e64 v43, s[8:9], v11, v43, s[8:9]
	global_load_ushort v42, v[42:43], off
	s_or_b64 exec, exec, s[24:25]
	s_and_saveexec_b64 s[8:9], vcc
	s_cbranch_execz .LBB26_19
.LBB26_24:                              ;   in Loop: Header=BB26_4 Depth=1
	s_waitcnt vmcnt(0)
	v_mul_lo_u16_e32 v32, s26, v32
	v_mad_legacy_u16 v31, v32, v34, v31
	v_mov_b32_e32 v32, s19
	v_add_co_u32_e32 v44, vcc, s18, v2
	v_addc_co_u32_e32 v45, vcc, v1, v32, vcc
	global_store_short v[44:45], v31, off
	s_or_b64 exec, exec, s[8:9]
	s_and_saveexec_b64 s[8:9], s[0:1]
	s_cbranch_execz .LBB26_20
.LBB26_25:                              ;   in Loop: Header=BB26_4 Depth=1
	s_waitcnt vmcnt(0)
	v_mul_lo_u16_e32 v31, s26, v35
	v_mad_legacy_u16 v31, v31, v37, v33
	v_mov_b32_e32 v33, s19
	v_add_co_u32_e32 v32, vcc, s18, v20
	v_addc_co_u32_e32 v33, vcc, v19, v33, vcc
	global_store_short v[32:33], v31, off
	s_or_b64 exec, exec, s[8:9]
	s_and_saveexec_b64 s[0:1], s[2:3]
	s_cbranch_execz .LBB26_21
.LBB26_26:                              ;   in Loop: Header=BB26_4 Depth=1
	s_waitcnt vmcnt(0)
	v_mul_lo_u16_e32 v31, s26, v38
	v_mov_b32_e32 v33, s19
	v_add_co_u32_e32 v32, vcc, s18, v14
	v_mad_legacy_u16 v31, v31, v40, v36
	v_addc_co_u32_e32 v33, vcc, v13, v33, vcc
	global_store_short v[32:33], v31, off
	s_or_b64 exec, exec, s[0:1]
	s_and_saveexec_b64 s[0:1], s[6:7]
	s_cbranch_execz .LBB26_3
.LBB26_27:                              ;   in Loop: Header=BB26_4 Depth=1
	s_waitcnt vmcnt(0)
	v_mul_lo_u16_e32 v31, s26, v41
	v_mov_b32_e32 v33, s19
	v_add_co_u32_e32 v32, vcc, s18, v8
	v_mad_legacy_u16 v31, v31, v42, v39
	v_addc_co_u32_e32 v33, vcc, v7, v33, vcc
	global_store_short v[32:33], v31, off
	s_branch .LBB26_3
.LBB26_28:
	s_mov_b64 s[0:1], 0
.LBB26_29:
	s_andn2_b64 vcc, exec, s[0:1]
	s_cbranch_vccnz .LBB26_33
; %bb.30:
	v_mov_b32_e32 v3, 0
	v_lshlrev_b32_e32 v2, 2, v0
	s_mov_b32 s0, 0
	v_cmp_gt_i64_e32 vcc, s[16:17], v[2:3]
	s_and_saveexec_b64 s[2:3], vcc
	s_cbranch_execz .LBB26_33
; %bb.31:
	s_load_dword s1, s[4:5], 0xc5c
	v_lshlrev_b32_e32 v1, 3, v0
	v_mov_b32_e32 v2, s19
	v_add_co_u32_e32 v4, vcc, s18, v1
	s_waitcnt lgkmcnt(0)
	s_and_b32 s1, s1, 0xffff
	v_addc_co_u32_e32 v1, vcc, 0, v2, vcc
	s_lshl_b32 s8, s1, 3
	v_add_lshl_u32 v2, v0, s1, 2
	s_lshl_b32 s9, s1, 2
	s_mov_b64 s[4:5], 0
	v_mov_b32_e32 v0, s11
	v_mov_b32_e32 v5, s13
	;; [unrolled: 1-line block ×3, first 2 shown]
	s_mov_b64 s[6:7], 0xffff
	v_mov_b32_e32 v7, s0
	v_mov_b32_e32 v8, s0
.LBB26_32:                              ; =>This Inner Loop Header: Depth=1
	v_add_co_u32_e32 v10, vcc, s10, v4
	v_addc_co_u32_e32 v11, vcc, v0, v1, vcc
	v_add_co_u32_e32 v12, vcc, s12, v4
	v_addc_co_u32_e32 v13, vcc, v5, v1, vcc
	;; [unrolled: 2-line block ×3, first 2 shown]
	global_load_dwordx2 v[16:17], v[12:13], off
	global_load_dwordx2 v[18:19], v[10:11], off
	global_load_dwordx2 v[20:21], v[14:15], off
	v_cmp_le_i64_e32 vcc, s[16:17], v[2:3]
	v_cmp_lt_u64_e64 s[0:1], s[6:7], v[2:3]
	v_add_co_u32_e64 v4, s[2:3], s8, v4
	v_addc_co_u32_e64 v1, s[2:3], v1, v7, s[2:3]
	s_or_b64 s[0:1], vcc, s[0:1]
	v_add_co_u32_e64 v2, s[2:3], s9, v2
	s_and_b64 s[0:1], exec, s[0:1]
	v_addc_co_u32_e64 v3, s[2:3], v3, v8, s[2:3]
	s_or_b64 s[4:5], s[0:1], s[4:5]
	s_waitcnt vmcnt(2)
	v_mul_lo_u16_e32 v9, s26, v16
	s_waitcnt vmcnt(1)
	v_lshrrev_b32_e32 v12, 16, v18
	s_waitcnt vmcnt(0)
	v_lshrrev_b32_e32 v13, 16, v20
	v_mul_lo_u16_sdwa v14, v16, s26 dst_sel:DWORD dst_unused:UNUSED_PAD src0_sel:WORD_1 src1_sel:DWORD
	v_mul_lo_u16_e32 v15, s26, v17
	v_lshrrev_b32_e32 v16, 16, v19
	v_lshrrev_b32_e32 v22, 16, v21
	v_mul_lo_u16_sdwa v17, v17, s26 dst_sel:DWORD dst_unused:UNUSED_PAD src0_sel:WORD_1 src1_sel:DWORD
	v_mul_lo_u16_e32 v9, v9, v20
	v_mad_legacy_u16 v12, v14, v13, v12
	v_mad_legacy_u16 v14, v17, v22, v16
	v_add_u16_e32 v9, v9, v18
	v_lshlrev_b32_e32 v12, 16, v12
	v_mad_legacy_u16 v13, v15, v21, v19
	v_lshlrev_b32_e32 v14, 16, v14
	v_or_b32_e32 v9, v12, v9
	v_or3_b32 v13, 0, v13, v14
	v_or3_b32 v12, v9, 0, 0
	global_store_dwordx2 v[10:11], v[12:13], off
	s_andn2_b64 exec, exec, s[4:5]
	s_cbranch_execnz .LBB26_32
.LBB26_33:
	s_endpgm
	.section	.rodata,"a",@progbits
	.p2align	6, 0x0
	.amdhsa_kernel _ZN2at6native12_GLOBAL__N_125multi_tensor_apply_kernelINS1_18TensorListMetadataILi3EEENS1_24PointwiseOpScalarFunctorIsLi3ELi3ELi0EEEJSt10multipliesIsEsEEEvT_T0_DpT1_
		.amdhsa_group_segment_fixed_size 0
		.amdhsa_private_segment_fixed_size 0
		.amdhsa_kernarg_size 3408
		.amdhsa_user_sgpr_count 6
		.amdhsa_user_sgpr_private_segment_buffer 1
		.amdhsa_user_sgpr_dispatch_ptr 0
		.amdhsa_user_sgpr_queue_ptr 0
		.amdhsa_user_sgpr_kernarg_segment_ptr 1
		.amdhsa_user_sgpr_dispatch_id 0
		.amdhsa_user_sgpr_flat_scratch_init 0
		.amdhsa_user_sgpr_kernarg_preload_length 0
		.amdhsa_user_sgpr_kernarg_preload_offset 0
		.amdhsa_user_sgpr_private_segment_size 0
		.amdhsa_uses_dynamic_stack 0
		.amdhsa_system_sgpr_private_segment_wavefront_offset 0
		.amdhsa_system_sgpr_workgroup_id_x 1
		.amdhsa_system_sgpr_workgroup_id_y 0
		.amdhsa_system_sgpr_workgroup_id_z 0
		.amdhsa_system_sgpr_workgroup_info 0
		.amdhsa_system_vgpr_workitem_id 0
		.amdhsa_next_free_vgpr 46
		.amdhsa_next_free_sgpr 30
		.amdhsa_accum_offset 48
		.amdhsa_reserve_vcc 1
		.amdhsa_reserve_flat_scratch 0
		.amdhsa_float_round_mode_32 0
		.amdhsa_float_round_mode_16_64 0
		.amdhsa_float_denorm_mode_32 3
		.amdhsa_float_denorm_mode_16_64 3
		.amdhsa_dx10_clamp 1
		.amdhsa_ieee_mode 1
		.amdhsa_fp16_overflow 0
		.amdhsa_tg_split 0
		.amdhsa_exception_fp_ieee_invalid_op 0
		.amdhsa_exception_fp_denorm_src 0
		.amdhsa_exception_fp_ieee_div_zero 0
		.amdhsa_exception_fp_ieee_overflow 0
		.amdhsa_exception_fp_ieee_underflow 0
		.amdhsa_exception_fp_ieee_inexact 0
		.amdhsa_exception_int_div_zero 0
	.end_amdhsa_kernel
	.section	.text._ZN2at6native12_GLOBAL__N_125multi_tensor_apply_kernelINS1_18TensorListMetadataILi3EEENS1_24PointwiseOpScalarFunctorIsLi3ELi3ELi0EEEJSt10multipliesIsEsEEEvT_T0_DpT1_,"axG",@progbits,_ZN2at6native12_GLOBAL__N_125multi_tensor_apply_kernelINS1_18TensorListMetadataILi3EEENS1_24PointwiseOpScalarFunctorIsLi3ELi3ELi0EEEJSt10multipliesIsEsEEEvT_T0_DpT1_,comdat
.Lfunc_end26:
	.size	_ZN2at6native12_GLOBAL__N_125multi_tensor_apply_kernelINS1_18TensorListMetadataILi3EEENS1_24PointwiseOpScalarFunctorIsLi3ELi3ELi0EEEJSt10multipliesIsEsEEEvT_T0_DpT1_, .Lfunc_end26-_ZN2at6native12_GLOBAL__N_125multi_tensor_apply_kernelINS1_18TensorListMetadataILi3EEENS1_24PointwiseOpScalarFunctorIsLi3ELi3ELi0EEEJSt10multipliesIsEsEEEvT_T0_DpT1_
                                        ; -- End function
	.section	.AMDGPU.csdata,"",@progbits
; Kernel info:
; codeLenInByte = 1808
; NumSgprs: 34
; NumVgprs: 46
; NumAgprs: 0
; TotalNumVgprs: 46
; ScratchSize: 0
; MemoryBound: 0
; FloatMode: 240
; IeeeMode: 1
; LDSByteSize: 0 bytes/workgroup (compile time only)
; SGPRBlocks: 4
; VGPRBlocks: 5
; NumSGPRsForWavesPerEU: 34
; NumVGPRsForWavesPerEU: 46
; AccumOffset: 48
; Occupancy: 8
; WaveLimiterHint : 0
; COMPUTE_PGM_RSRC2:SCRATCH_EN: 0
; COMPUTE_PGM_RSRC2:USER_SGPR: 6
; COMPUTE_PGM_RSRC2:TRAP_HANDLER: 0
; COMPUTE_PGM_RSRC2:TGID_X_EN: 1
; COMPUTE_PGM_RSRC2:TGID_Y_EN: 0
; COMPUTE_PGM_RSRC2:TGID_Z_EN: 0
; COMPUTE_PGM_RSRC2:TIDIG_COMP_CNT: 0
; COMPUTE_PGM_RSRC3_GFX90A:ACCUM_OFFSET: 11
; COMPUTE_PGM_RSRC3_GFX90A:TG_SPLIT: 0
	.section	.text._ZN2at6native12_GLOBAL__N_125multi_tensor_apply_kernelINS1_18TensorListMetadataILi3EEENS1_24PointwiseOpScalarFunctorIdLi3ELi3ELi0EEEJSt10multipliesIdEdEEEvT_T0_DpT1_,"axG",@progbits,_ZN2at6native12_GLOBAL__N_125multi_tensor_apply_kernelINS1_18TensorListMetadataILi3EEENS1_24PointwiseOpScalarFunctorIdLi3ELi3ELi0EEEJSt10multipliesIdEdEEEvT_T0_DpT1_,comdat
	.globl	_ZN2at6native12_GLOBAL__N_125multi_tensor_apply_kernelINS1_18TensorListMetadataILi3EEENS1_24PointwiseOpScalarFunctorIdLi3ELi3ELi0EEEJSt10multipliesIdEdEEEvT_T0_DpT1_ ; -- Begin function _ZN2at6native12_GLOBAL__N_125multi_tensor_apply_kernelINS1_18TensorListMetadataILi3EEENS1_24PointwiseOpScalarFunctorIdLi3ELi3ELi0EEEJSt10multipliesIdEdEEEvT_T0_DpT1_
	.p2align	8
	.type	_ZN2at6native12_GLOBAL__N_125multi_tensor_apply_kernelINS1_18TensorListMetadataILi3EEENS1_24PointwiseOpScalarFunctorIdLi3ELi3ELi0EEEJSt10multipliesIdEdEEEvT_T0_DpT1_,@function
_ZN2at6native12_GLOBAL__N_125multi_tensor_apply_kernelINS1_18TensorListMetadataILi3EEENS1_24PointwiseOpScalarFunctorIdLi3ELi3ELi0EEEJSt10multipliesIdEdEEEvT_T0_DpT1_: ; @_ZN2at6native12_GLOBAL__N_125multi_tensor_apply_kernelINS1_18TensorListMetadataILi3EEENS1_24PointwiseOpScalarFunctorIdLi3ELi3ELi0EEEJSt10multipliesIdEdEEEvT_T0_DpT1_
; %bb.0:
	v_mov_b32_e32 v1, s6
	global_load_ubyte v1, v1, s[4:5] offset:1536
	s_add_u32 s0, s4, s6
	s_mul_hi_u32 s1, s6, 3
	s_mul_i32 s6, s6, 3
	s_addc_u32 s2, s5, 0
	s_add_u32 s0, s0, s6
	s_addc_u32 s1, s2, s1
	s_load_dword s10, s[0:1], 0x740
	s_load_dwordx2 s[12:13], s[4:5], 0xc50
	s_mov_b32 s1, 0
	s_mov_b32 s19, s1
	s_waitcnt lgkmcnt(0)
	s_ashr_i32 s11, s10, 31
	s_lshl_b64 s[16:17], s[10:11], 19
	s_waitcnt vmcnt(0)
	v_readfirstlane_b32 s0, v1
	s_lshl_b32 s0, s0, 3
	s_load_dwordx2 s[8:9], s[4:5], s0 offset:0x0
	s_load_dwordx2 s[6:7], s[4:5], s0 offset:0x180
	;; [unrolled: 1-line block ×4, first 2 shown]
	s_waitcnt lgkmcnt(0)
	s_add_u32 s24, s8, s16
	s_addc_u32 s25, s9, s17
	s_and_b32 s0, s24, 31
	s_add_u32 s26, s6, s16
	s_addc_u32 s27, s7, s17
	s_add_u32 s28, s2, s16
	s_addc_u32 s29, s3, s17
	s_or_b32 s14, s28, s26
	s_and_b32 s14, s14, 31
	s_cmp_eq_u32 s14, 0
	s_cselect_b64 s[22:23], -1, 0
	s_lshl_b64 s[10:11], s[10:11], 16
	s_sub_u32 s14, s20, s10
	s_subb_u32 s15, s21, s11
	s_and_b32 s18, s20, 3
	s_or_b64 s[0:1], s[0:1], s[18:19]
	s_cmp_eq_u64 s[0:1], 0
	s_cselect_b64 s[0:1], -1, 0
	s_and_b64 s[10:11], s[22:23], s[0:1]
	s_mov_b64 s[0:1], -1
	s_and_b64 vcc, exec, s[10:11]
	s_cbranch_vccnz .LBB27_29
; %bb.1:
	v_cmp_lt_i64_e64 s[0:1], s[14:15], 1
	s_and_b64 vcc, exec, s[0:1]
	s_cbranch_vccnz .LBB27_28
; %bb.2:
	s_load_dword s0, s[4:5], 0xc64
	v_mov_b32_e32 v2, 0x10000
	v_mov_b32_e32 v3, 0
	v_cmp_lt_u64_e32 vcc, s[14:15], v[2:3]
	v_lshlrev_b32_e32 v14, 3, v0
	s_waitcnt lgkmcnt(0)
	s_and_b32 s20, s0, 0xffff
	s_and_b64 s[0:1], vcc, exec
	v_mov_b32_e32 v19, s9
	v_add_co_u32_e32 v2, vcc, s8, v14
	v_addc_co_u32_e32 v1, vcc, 0, v19, vcc
	v_mov_b32_e32 v21, s7
	v_add_co_u32_e32 v4, vcc, s6, v14
	v_addc_co_u32_e32 v3, vcc, 0, v21, vcc
	v_mov_b32_e32 v15, 0
	v_mov_b32_e32 v23, s3
	v_add_co_u32_e32 v6, vcc, s2, v14
	v_addc_co_u32_e32 v5, vcc, 0, v23, vcc
	v_mad_u64_u32 v[12:13], s[10:11], s20, 24, v[14:15]
	v_add_co_u32_e32 v8, vcc, s8, v12
	v_addc_co_u32_e32 v7, vcc, v19, v13, vcc
	v_add_co_u32_e32 v10, vcc, s6, v12
	v_addc_co_u32_e32 v9, vcc, v21, v13, vcc
	v_add_co_u32_e32 v12, vcc, s2, v12
	s_mul_i32 s22, s20, 3
	v_addc_co_u32_e32 v11, vcc, v23, v13, vcc
	s_cselect_b32 s19, s15, 0
	s_cselect_b32 s18, s14, 0x10000
	v_add_co_u32_e32 v25, vcc, s22, v0
	s_lshl_b32 s3, s20, 4
	v_addc_co_u32_e64 v50, s[10:11], 0, 0, vcc
	v_add_co_u32_e32 v17, vcc, s3, v14
	v_addc_co_u32_e64 v20, s[10:11], 0, 0, vcc
	v_add_co_u32_e32 v14, vcc, s8, v17
	v_addc_co_u32_e32 v13, vcc, v19, v20, vcc
	v_add_co_u32_e32 v16, vcc, s6, v17
	v_addc_co_u32_e32 v15, vcc, v21, v20, vcc
	v_add_co_u32_e32 v18, vcc, s2, v17
	s_lshl_b32 s21, s20, 1
	v_addc_co_u32_e32 v17, vcc, v23, v20, vcc
	v_add_co_u32_e32 v51, vcc, s21, v0
	v_addc_co_u32_e64 v52, s[10:11], 0, 0, vcc
	v_add_co_u32_e32 v53, vcc, s20, v0
	v_lshlrev_b32_e32 v24, 3, v53
	v_addc_co_u32_e64 v54, s[10:11], 0, 0, vcc
	v_add_co_u32_e32 v20, vcc, s8, v24
	v_addc_co_u32_e32 v19, vcc, 0, v19, vcc
	v_add_co_u32_e32 v22, vcc, s6, v24
	v_addc_co_u32_e32 v21, vcc, 0, v21, vcc
	v_add_co_u32_e32 v24, vcc, s2, v24
	s_mov_b32 s30, 0
	v_cmp_eq_f64_e64 s[0:1], s[12:13], 1.0
	s_lshl_b32 s31, s20, 2
	s_lshl_b32 s33, s20, 5
	v_addc_co_u32_e32 v23, vcc, 0, v23, vcc
	s_mov_b64 s[20:21], 0
	s_branch .LBB27_4
.LBB27_3:                               ;   in Loop: Header=BB27_4 Depth=1
	s_or_b64 exec, exec, s[2:3]
	s_add_u32 s20, s20, s31
	s_addc_u32 s21, s21, 0
	s_waitcnt vmcnt(0)
	v_pk_mov_b32 v[26:27], s[14:15], s[14:15] op_sel:[0,1]
	v_cmp_lt_i64_e32 vcc, s[20:21], v[26:27]
	v_mov_b32_e32 v26, 0x10000
	v_mov_b32_e32 v27, 0
	v_cmp_lt_u64_e64 s[2:3], s[20:21], v[26:27]
	s_and_b64 s[2:3], vcc, s[2:3]
	v_mov_b32_e32 v26, s30
	v_add_co_u32_e32 v2, vcc, s33, v2
	v_addc_co_u32_e32 v1, vcc, v1, v26, vcc
	v_add_co_u32_e32 v4, vcc, s33, v4
	v_addc_co_u32_e32 v3, vcc, v3, v26, vcc
	;; [unrolled: 2-line block ×12, first 2 shown]
	s_and_b64 vcc, exec, s[2:3]
	s_cbranch_vccz .LBB27_28
.LBB27_4:                               ; =>This Inner Loop Header: Depth=1
	v_mov_b32_e32 v27, s21
	v_add_co_u32_e32 v26, vcc, s20, v0
	v_addc_co_u32_e32 v27, vcc, 0, v27, vcc
	v_cmp_gt_u64_e32 vcc, s[18:19], v[26:27]
	v_pk_mov_b32 v[26:27], 0, 0
	v_pk_mov_b32 v[28:29], v[26:27], v[26:27] op_sel:[0,1]
	v_pk_mov_b32 v[30:31], v[26:27], v[26:27] op_sel:[0,1]
	s_and_saveexec_b64 s[6:7], vcc
	s_cbranch_execz .LBB27_6
; %bb.5:                                ;   in Loop: Header=BB27_4 Depth=1
	v_mov_b32_e32 v28, s17
	v_add_co_u32_e64 v32, s[2:3], s16, v2
	v_addc_co_u32_e64 v33, s[2:3], v1, v28, s[2:3]
	v_add_co_u32_e64 v34, s[2:3], s16, v4
	v_addc_co_u32_e64 v35, s[2:3], v3, v28, s[2:3]
	global_load_dwordx2 v[28:29], v[32:33], off
	global_load_dwordx2 v[30:31], v[34:35], off
.LBB27_6:                               ;   in Loop: Header=BB27_4 Depth=1
	s_or_b64 exec, exec, s[6:7]
	s_and_saveexec_b64 s[6:7], vcc
	s_cbranch_execz .LBB27_8
; %bb.7:                                ;   in Loop: Header=BB27_4 Depth=1
	v_mov_b32_e32 v27, s17
	v_add_co_u32_e64 v26, s[2:3], s16, v6
	v_addc_co_u32_e64 v27, s[2:3], v5, v27, s[2:3]
	global_load_dwordx2 v[26:27], v[26:27], off
.LBB27_8:                               ;   in Loop: Header=BB27_4 Depth=1
	s_or_b64 exec, exec, s[6:7]
	v_mov_b32_e32 v33, s21
	v_add_co_u32_e64 v32, s[2:3], s20, v53
	v_addc_co_u32_e64 v33, s[2:3], v54, v33, s[2:3]
	v_cmp_gt_u64_e64 s[2:3], s[18:19], v[32:33]
	v_pk_mov_b32 v[32:33], 0, 0
	v_pk_mov_b32 v[34:35], v[32:33], v[32:33] op_sel:[0,1]
	v_pk_mov_b32 v[36:37], v[32:33], v[32:33] op_sel:[0,1]
	s_and_saveexec_b64 s[8:9], s[2:3]
	s_cbranch_execz .LBB27_10
; %bb.9:                                ;   in Loop: Header=BB27_4 Depth=1
	v_mov_b32_e32 v34, s17
	v_add_co_u32_e64 v38, s[6:7], s16, v20
	v_addc_co_u32_e64 v39, s[6:7], v19, v34, s[6:7]
	v_add_co_u32_e64 v40, s[6:7], s16, v22
	v_addc_co_u32_e64 v41, s[6:7], v21, v34, s[6:7]
	global_load_dwordx2 v[34:35], v[38:39], off
	global_load_dwordx2 v[36:37], v[40:41], off
.LBB27_10:                              ;   in Loop: Header=BB27_4 Depth=1
	s_or_b64 exec, exec, s[8:9]
	s_and_saveexec_b64 s[8:9], s[2:3]
	s_cbranch_execz .LBB27_12
; %bb.11:                               ;   in Loop: Header=BB27_4 Depth=1
	v_mov_b32_e32 v33, s17
	v_add_co_u32_e64 v32, s[6:7], s16, v24
	v_addc_co_u32_e64 v33, s[6:7], v23, v33, s[6:7]
	global_load_dwordx2 v[32:33], v[32:33], off
.LBB27_12:                              ;   in Loop: Header=BB27_4 Depth=1
	s_or_b64 exec, exec, s[8:9]
	v_mov_b32_e32 v39, s21
	v_add_co_u32_e64 v38, s[6:7], s20, v51
	v_addc_co_u32_e64 v39, s[6:7], v52, v39, s[6:7]
	v_cmp_gt_u64_e64 s[6:7], s[18:19], v[38:39]
	v_pk_mov_b32 v[38:39], 0, 0
	v_pk_mov_b32 v[40:41], v[38:39], v[38:39] op_sel:[0,1]
	v_pk_mov_b32 v[42:43], v[38:39], v[38:39] op_sel:[0,1]
	s_and_saveexec_b64 s[10:11], s[6:7]
	s_cbranch_execz .LBB27_14
; %bb.13:                               ;   in Loop: Header=BB27_4 Depth=1
	v_mov_b32_e32 v40, s17
	v_add_co_u32_e64 v44, s[8:9], s16, v14
	v_addc_co_u32_e64 v45, s[8:9], v13, v40, s[8:9]
	v_add_co_u32_e64 v46, s[8:9], s16, v16
	v_addc_co_u32_e64 v47, s[8:9], v15, v40, s[8:9]
	global_load_dwordx2 v[40:41], v[44:45], off
	global_load_dwordx2 v[42:43], v[46:47], off
.LBB27_14:                              ;   in Loop: Header=BB27_4 Depth=1
	s_or_b64 exec, exec, s[10:11]
	s_and_saveexec_b64 s[10:11], s[6:7]
	s_cbranch_execz .LBB27_16
; %bb.15:                               ;   in Loop: Header=BB27_4 Depth=1
	v_mov_b32_e32 v39, s17
	v_add_co_u32_e64 v38, s[8:9], s16, v18
	v_addc_co_u32_e64 v39, s[8:9], v17, v39, s[8:9]
	global_load_dwordx2 v[38:39], v[38:39], off
.LBB27_16:                              ;   in Loop: Header=BB27_4 Depth=1
	s_or_b64 exec, exec, s[10:11]
	v_mov_b32_e32 v45, s21
	v_add_co_u32_e64 v44, s[8:9], s20, v25
	v_addc_co_u32_e64 v45, s[8:9], v50, v45, s[8:9]
	v_cmp_gt_u64_e64 s[8:9], s[18:19], v[44:45]
	v_pk_mov_b32 v[44:45], 0, 0
	v_pk_mov_b32 v[46:47], v[44:45], v[44:45] op_sel:[0,1]
	v_pk_mov_b32 v[48:49], v[44:45], v[44:45] op_sel:[0,1]
	s_and_saveexec_b64 s[22:23], s[8:9]
	s_cbranch_execnz .LBB27_22
; %bb.17:                               ;   in Loop: Header=BB27_4 Depth=1
	s_or_b64 exec, exec, s[22:23]
	s_and_saveexec_b64 s[22:23], s[8:9]
	s_cbranch_execnz .LBB27_23
.LBB27_18:                              ;   in Loop: Header=BB27_4 Depth=1
	s_or_b64 exec, exec, s[22:23]
	s_and_saveexec_b64 s[10:11], vcc
	s_cbranch_execnz .LBB27_24
.LBB27_19:                              ;   in Loop: Header=BB27_4 Depth=1
	s_or_b64 exec, exec, s[10:11]
	s_and_saveexec_b64 s[10:11], s[2:3]
	s_cbranch_execnz .LBB27_25
.LBB27_20:                              ;   in Loop: Header=BB27_4 Depth=1
	s_or_b64 exec, exec, s[10:11]
	s_and_saveexec_b64 s[2:3], s[6:7]
	s_cbranch_execnz .LBB27_26
.LBB27_21:                              ;   in Loop: Header=BB27_4 Depth=1
	s_or_b64 exec, exec, s[2:3]
	s_and_saveexec_b64 s[2:3], s[8:9]
	s_cbranch_execz .LBB27_3
	s_branch .LBB27_27
.LBB27_22:                              ;   in Loop: Header=BB27_4 Depth=1
	v_mov_b32_e32 v46, s17
	v_add_co_u32_e64 v56, s[10:11], s16, v8
	v_addc_co_u32_e64 v57, s[10:11], v7, v46, s[10:11]
	v_add_co_u32_e64 v58, s[10:11], s16, v10
	v_addc_co_u32_e64 v59, s[10:11], v9, v46, s[10:11]
	global_load_dwordx2 v[46:47], v[56:57], off
	global_load_dwordx2 v[48:49], v[58:59], off
	s_or_b64 exec, exec, s[22:23]
	s_and_saveexec_b64 s[22:23], s[8:9]
	s_cbranch_execz .LBB27_18
.LBB27_23:                              ;   in Loop: Header=BB27_4 Depth=1
	v_mov_b32_e32 v45, s17
	v_add_co_u32_e64 v44, s[10:11], s16, v12
	v_addc_co_u32_e64 v45, s[10:11], v11, v45, s[10:11]
	global_load_dwordx2 v[44:45], v[44:45], off
	s_or_b64 exec, exec, s[22:23]
	s_and_saveexec_b64 s[10:11], vcc
	s_cbranch_execz .LBB27_19
.LBB27_24:                              ;   in Loop: Header=BB27_4 Depth=1
	s_waitcnt vmcnt(0)
	v_fma_f64 v[56:57], v[30:31], v[26:27], v[28:29]
	v_mul_f64 v[26:27], v[30:31], v[26:27]
	v_fmac_f64_e32 v[28:29], s[12:13], v[26:27]
	v_cndmask_b32_e64 v27, v29, v57, s[0:1]
	v_cndmask_b32_e64 v26, v28, v56, s[0:1]
	v_mov_b32_e32 v29, s17
	v_add_co_u32_e32 v28, vcc, s16, v2
	v_addc_co_u32_e32 v29, vcc, v1, v29, vcc
	global_store_dwordx2 v[28:29], v[26:27], off
	s_or_b64 exec, exec, s[10:11]
	s_and_saveexec_b64 s[10:11], s[2:3]
	s_cbranch_execz .LBB27_20
.LBB27_25:                              ;   in Loop: Header=BB27_4 Depth=1
	s_waitcnt vmcnt(0)
	v_mul_f64 v[28:29], v[36:37], v[32:33]
	v_fma_f64 v[26:27], v[36:37], v[32:33], v[34:35]
	v_fmac_f64_e32 v[34:35], s[12:13], v[28:29]
	v_mov_b32_e32 v29, s17
	v_add_co_u32_e32 v28, vcc, s16, v20
	v_cndmask_b32_e64 v27, v35, v27, s[0:1]
	v_cndmask_b32_e64 v26, v34, v26, s[0:1]
	v_addc_co_u32_e32 v29, vcc, v19, v29, vcc
	global_store_dwordx2 v[28:29], v[26:27], off
	s_or_b64 exec, exec, s[10:11]
	s_and_saveexec_b64 s[2:3], s[6:7]
	s_cbranch_execz .LBB27_21
.LBB27_26:                              ;   in Loop: Header=BB27_4 Depth=1
	s_waitcnt vmcnt(0)
	v_mul_f64 v[28:29], v[42:43], v[38:39]
	v_fma_f64 v[26:27], v[42:43], v[38:39], v[40:41]
	v_fmac_f64_e32 v[40:41], s[12:13], v[28:29]
	v_mov_b32_e32 v29, s17
	v_add_co_u32_e32 v28, vcc, s16, v14
	v_cndmask_b32_e64 v27, v41, v27, s[0:1]
	v_cndmask_b32_e64 v26, v40, v26, s[0:1]
	v_addc_co_u32_e32 v29, vcc, v13, v29, vcc
	global_store_dwordx2 v[28:29], v[26:27], off
	s_or_b64 exec, exec, s[2:3]
	s_and_saveexec_b64 s[2:3], s[8:9]
	s_cbranch_execz .LBB27_3
.LBB27_27:                              ;   in Loop: Header=BB27_4 Depth=1
	s_waitcnt vmcnt(0)
	v_mul_f64 v[28:29], v[48:49], v[44:45]
	v_fma_f64 v[26:27], v[48:49], v[44:45], v[46:47]
	v_fmac_f64_e32 v[46:47], s[12:13], v[28:29]
	v_mov_b32_e32 v29, s17
	v_add_co_u32_e32 v28, vcc, s16, v8
	v_cndmask_b32_e64 v27, v47, v27, s[0:1]
	v_cndmask_b32_e64 v26, v46, v26, s[0:1]
	v_addc_co_u32_e32 v29, vcc, v7, v29, vcc
	global_store_dwordx2 v[28:29], v[26:27], off
	s_branch .LBB27_3
.LBB27_28:
	s_mov_b64 s[0:1], 0
.LBB27_29:
	s_andn2_b64 vcc, exec, s[0:1]
	s_cbranch_vccnz .LBB27_33
; %bb.30:
	v_mov_b32_e32 v3, 0
	v_lshlrev_b32_e32 v2, 2, v0
	s_mov_b32 s0, 0
	v_cmp_gt_i64_e32 vcc, s[14:15], v[2:3]
	s_and_saveexec_b64 s[2:3], vcc
	s_cbranch_execz .LBB27_33
; %bb.31:
	s_load_dword s1, s[4:5], 0xc64
	v_cmp_eq_f64_e64 vcc, s[12:13], 1.0
	v_lshlrev_b32_e32 v4, 5, v0
	s_mov_b64 s[6:7], 0
	s_mov_b64 s[8:9], 0xffff
	s_waitcnt lgkmcnt(0)
	s_and_b32 s1, s1, 0xffff
	v_add_lshl_u32 v2, v0, s1, 2
	s_lshl_b32 s10, s1, 2
	s_lshl_b32 s11, s1, 5
	v_mov_b32_e32 v0, s0
.LBB27_32:                              ; =>This Inner Loop Header: Depth=1
	v_mov_b32_e32 v1, s25
	v_add_co_u32_e64 v34, s[4:5], s24, v4
	v_mov_b32_e32 v5, s27
	v_add_co_u32_e64 v30, s[0:1], s26, v4
	;; [unrolled: 2-line block ×3, first 2 shown]
	v_addc_co_u32_e64 v35, s[4:5], 0, v1, s[4:5]
	v_addc_co_u32_e64 v31, s[0:1], 0, v5, s[0:1]
	;; [unrolled: 1-line block ×3, first 2 shown]
	global_load_dwordx4 v[6:9], v[34:35], off
	global_load_dwordx4 v[10:13], v[30:31], off
	;; [unrolled: 1-line block ×3, first 2 shown]
	global_load_dwordx4 v[18:21], v[30:31], off offset:16
	global_load_dwordx4 v[22:25], v[32:33], off offset:16
	;; [unrolled: 1-line block ×3, first 2 shown]
	v_cmp_le_i64_e64 s[0:1], s[14:15], v[2:3]
	v_cmp_lt_u64_e64 s[2:3], s[8:9], v[2:3]
	s_or_b64 s[0:1], s[0:1], s[2:3]
	s_add_u32 s24, s24, s11
	s_addc_u32 s25, s25, 0
	s_add_u32 s28, s28, s11
	s_addc_u32 s29, s29, 0
	;; [unrolled: 2-line block ×3, first 2 shown]
	v_add_co_u32_e64 v2, s[4:5], s10, v2
	s_and_b64 s[0:1], exec, s[0:1]
	v_addc_co_u32_e64 v3, s[4:5], v3, v0, s[4:5]
	s_or_b64 s[6:7], s[0:1], s[6:7]
	s_waitcnt vmcnt(3)
	v_fma_f64 v[30:31], v[10:11], v[14:15], v[6:7]
	v_mul_f64 v[10:11], v[10:11], v[14:15]
	v_fma_f64 v[14:15], v[12:13], v[16:17], v[8:9]
	v_mul_f64 v[12:13], v[12:13], v[16:17]
	s_waitcnt vmcnt(0)
	v_fma_f64 v[16:17], v[18:19], v[22:23], v[26:27]
	v_mul_f64 v[18:19], v[18:19], v[22:23]
	v_fma_f64 v[22:23], v[20:21], v[24:25], v[28:29]
	v_mul_f64 v[20:21], v[20:21], v[24:25]
	v_fmac_f64_e32 v[6:7], s[12:13], v[10:11]
	v_fmac_f64_e32 v[8:9], s[12:13], v[12:13]
	;; [unrolled: 1-line block ×4, first 2 shown]
	v_cndmask_b32_e32 v7, v7, v31, vcc
	v_cndmask_b32_e32 v6, v6, v30, vcc
	;; [unrolled: 1-line block ×8, first 2 shown]
	global_store_dwordx4 v[34:35], v[6:9], off
	global_store_dwordx4 v[34:35], v[10:13], off offset:16
	s_andn2_b64 exec, exec, s[6:7]
	s_cbranch_execnz .LBB27_32
.LBB27_33:
	s_endpgm
	.section	.rodata,"a",@progbits
	.p2align	6, 0x0
	.amdhsa_kernel _ZN2at6native12_GLOBAL__N_125multi_tensor_apply_kernelINS1_18TensorListMetadataILi3EEENS1_24PointwiseOpScalarFunctorIdLi3ELi3ELi0EEEJSt10multipliesIdEdEEEvT_T0_DpT1_
		.amdhsa_group_segment_fixed_size 0
		.amdhsa_private_segment_fixed_size 0
		.amdhsa_kernarg_size 3416
		.amdhsa_user_sgpr_count 6
		.amdhsa_user_sgpr_private_segment_buffer 1
		.amdhsa_user_sgpr_dispatch_ptr 0
		.amdhsa_user_sgpr_queue_ptr 0
		.amdhsa_user_sgpr_kernarg_segment_ptr 1
		.amdhsa_user_sgpr_dispatch_id 0
		.amdhsa_user_sgpr_flat_scratch_init 0
		.amdhsa_user_sgpr_kernarg_preload_length 0
		.amdhsa_user_sgpr_kernarg_preload_offset 0
		.amdhsa_user_sgpr_private_segment_size 0
		.amdhsa_uses_dynamic_stack 0
		.amdhsa_system_sgpr_private_segment_wavefront_offset 0
		.amdhsa_system_sgpr_workgroup_id_x 1
		.amdhsa_system_sgpr_workgroup_id_y 0
		.amdhsa_system_sgpr_workgroup_id_z 0
		.amdhsa_system_sgpr_workgroup_info 0
		.amdhsa_system_vgpr_workitem_id 0
		.amdhsa_next_free_vgpr 60
		.amdhsa_next_free_sgpr 34
		.amdhsa_accum_offset 60
		.amdhsa_reserve_vcc 1
		.amdhsa_reserve_flat_scratch 0
		.amdhsa_float_round_mode_32 0
		.amdhsa_float_round_mode_16_64 0
		.amdhsa_float_denorm_mode_32 3
		.amdhsa_float_denorm_mode_16_64 3
		.amdhsa_dx10_clamp 1
		.amdhsa_ieee_mode 1
		.amdhsa_fp16_overflow 0
		.amdhsa_tg_split 0
		.amdhsa_exception_fp_ieee_invalid_op 0
		.amdhsa_exception_fp_denorm_src 0
		.amdhsa_exception_fp_ieee_div_zero 0
		.amdhsa_exception_fp_ieee_overflow 0
		.amdhsa_exception_fp_ieee_underflow 0
		.amdhsa_exception_fp_ieee_inexact 0
		.amdhsa_exception_int_div_zero 0
	.end_amdhsa_kernel
	.section	.text._ZN2at6native12_GLOBAL__N_125multi_tensor_apply_kernelINS1_18TensorListMetadataILi3EEENS1_24PointwiseOpScalarFunctorIdLi3ELi3ELi0EEEJSt10multipliesIdEdEEEvT_T0_DpT1_,"axG",@progbits,_ZN2at6native12_GLOBAL__N_125multi_tensor_apply_kernelINS1_18TensorListMetadataILi3EEENS1_24PointwiseOpScalarFunctorIdLi3ELi3ELi0EEEJSt10multipliesIdEdEEEvT_T0_DpT1_,comdat
.Lfunc_end27:
	.size	_ZN2at6native12_GLOBAL__N_125multi_tensor_apply_kernelINS1_18TensorListMetadataILi3EEENS1_24PointwiseOpScalarFunctorIdLi3ELi3ELi0EEEJSt10multipliesIdEdEEEvT_T0_DpT1_, .Lfunc_end27-_ZN2at6native12_GLOBAL__N_125multi_tensor_apply_kernelINS1_18TensorListMetadataILi3EEENS1_24PointwiseOpScalarFunctorIdLi3ELi3ELi0EEEJSt10multipliesIdEdEEEvT_T0_DpT1_
                                        ; -- End function
	.section	.AMDGPU.csdata,"",@progbits
; Kernel info:
; codeLenInByte = 2040
; NumSgprs: 38
; NumVgprs: 60
; NumAgprs: 0
; TotalNumVgprs: 60
; ScratchSize: 0
; MemoryBound: 0
; FloatMode: 240
; IeeeMode: 1
; LDSByteSize: 0 bytes/workgroup (compile time only)
; SGPRBlocks: 4
; VGPRBlocks: 7
; NumSGPRsForWavesPerEU: 38
; NumVGPRsForWavesPerEU: 60
; AccumOffset: 60
; Occupancy: 8
; WaveLimiterHint : 0
; COMPUTE_PGM_RSRC2:SCRATCH_EN: 0
; COMPUTE_PGM_RSRC2:USER_SGPR: 6
; COMPUTE_PGM_RSRC2:TRAP_HANDLER: 0
; COMPUTE_PGM_RSRC2:TGID_X_EN: 1
; COMPUTE_PGM_RSRC2:TGID_Y_EN: 0
; COMPUTE_PGM_RSRC2:TGID_Z_EN: 0
; COMPUTE_PGM_RSRC2:TIDIG_COMP_CNT: 0
; COMPUTE_PGM_RSRC3_GFX90A:ACCUM_OFFSET: 14
; COMPUTE_PGM_RSRC3_GFX90A:TG_SPLIT: 0
	.section	.text._ZN2at6native12_GLOBAL__N_125multi_tensor_apply_kernelINS1_18TensorListMetadataILi3EEENS1_24PointwiseOpScalarFunctorIfLi3ELi3ELi0EEEJSt10multipliesIfEfEEEvT_T0_DpT1_,"axG",@progbits,_ZN2at6native12_GLOBAL__N_125multi_tensor_apply_kernelINS1_18TensorListMetadataILi3EEENS1_24PointwiseOpScalarFunctorIfLi3ELi3ELi0EEEJSt10multipliesIfEfEEEvT_T0_DpT1_,comdat
	.globl	_ZN2at6native12_GLOBAL__N_125multi_tensor_apply_kernelINS1_18TensorListMetadataILi3EEENS1_24PointwiseOpScalarFunctorIfLi3ELi3ELi0EEEJSt10multipliesIfEfEEEvT_T0_DpT1_ ; -- Begin function _ZN2at6native12_GLOBAL__N_125multi_tensor_apply_kernelINS1_18TensorListMetadataILi3EEENS1_24PointwiseOpScalarFunctorIfLi3ELi3ELi0EEEJSt10multipliesIfEfEEEvT_T0_DpT1_
	.p2align	8
	.type	_ZN2at6native12_GLOBAL__N_125multi_tensor_apply_kernelINS1_18TensorListMetadataILi3EEENS1_24PointwiseOpScalarFunctorIfLi3ELi3ELi0EEEJSt10multipliesIfEfEEEvT_T0_DpT1_,@function
_ZN2at6native12_GLOBAL__N_125multi_tensor_apply_kernelINS1_18TensorListMetadataILi3EEENS1_24PointwiseOpScalarFunctorIfLi3ELi3ELi0EEEJSt10multipliesIfEfEEEvT_T0_DpT1_: ; @_ZN2at6native12_GLOBAL__N_125multi_tensor_apply_kernelINS1_18TensorListMetadataILi3EEENS1_24PointwiseOpScalarFunctorIfLi3ELi3ELi0EEEJSt10multipliesIfEfEEEvT_T0_DpT1_
; %bb.0:
	v_mov_b32_e32 v1, s6
	global_load_ubyte v1, v1, s[4:5] offset:1536
	s_add_u32 s0, s4, s6
	s_mul_hi_u32 s1, s6, 3
	s_mul_i32 s6, s6, 3
	s_addc_u32 s2, s5, 0
	s_add_u32 s0, s0, s6
	s_addc_u32 s1, s2, s1
	s_load_dword s8, s[0:1], 0x740
	s_load_dword s24, s[4:5], 0xc4c
	s_mov_b32 s11, 0
	s_mov_b32 s17, s11
	s_waitcnt lgkmcnt(0)
	s_ashr_i32 s9, s8, 31
	s_lshl_b64 s[14:15], s[8:9], 18
	s_waitcnt vmcnt(0)
	v_readfirstlane_b32 s0, v1
	s_lshl_b32 s10, s0, 3
	s_load_dwordx2 s[6:7], s[4:5], s10 offset:0x0
	s_load_dwordx2 s[2:3], s[4:5], s10 offset:0x180
	;; [unrolled: 1-line block ×4, first 2 shown]
	s_waitcnt lgkmcnt(0)
	s_add_u32 s25, s6, s14
	s_addc_u32 s26, s7, s15
	s_and_b32 s10, s25, 15
	s_add_u32 s27, s2, s14
	s_addc_u32 s28, s3, s15
	s_add_u32 s29, s0, s14
	s_addc_u32 s30, s1, s15
	s_or_b32 s12, s29, s27
	s_and_b32 s12, s12, 15
	s_cmp_eq_u32 s12, 0
	s_cselect_b64 s[20:21], -1, 0
	s_lshl_b64 s[8:9], s[8:9], 16
	s_sub_u32 s12, s18, s8
	s_subb_u32 s13, s19, s9
	s_and_b32 s16, s18, 3
	s_or_b64 s[8:9], s[10:11], s[16:17]
	s_cmp_eq_u64 s[8:9], 0
	s_cselect_b64 s[8:9], -1, 0
	s_and_b64 s[10:11], s[20:21], s[8:9]
	s_mov_b64 s[8:9], -1
	s_and_b64 vcc, exec, s[10:11]
	s_cbranch_vccnz .LBB28_45
; %bb.1:
	v_cmp_lt_i64_e64 s[8:9], s[12:13], 1
	s_and_b64 vcc, exec, s[8:9]
	s_cbranch_vccnz .LBB28_44
; %bb.2:
	s_load_dword s8, s[4:5], 0xc5c
	v_mov_b32_e32 v2, 0x10000
	v_mov_b32_e32 v3, 0
	v_cmp_lt_u64_e32 vcc, s[12:13], v[2:3]
	v_lshlrev_b32_e32 v14, 2, v0
	s_waitcnt lgkmcnt(0)
	s_and_b32 s10, s8, 0xffff
	s_and_b64 s[8:9], vcc, exec
	v_mov_b32_e32 v19, s7
	v_add_co_u32_e32 v2, vcc, s6, v14
	v_addc_co_u32_e32 v1, vcc, 0, v19, vcc
	v_mov_b32_e32 v21, s3
	v_add_co_u32_e32 v4, vcc, s2, v14
	v_addc_co_u32_e32 v3, vcc, 0, v21, vcc
	v_mov_b32_e32 v15, 0
	v_mov_b32_e32 v23, s1
	v_add_co_u32_e32 v6, vcc, s0, v14
	v_addc_co_u32_e32 v5, vcc, 0, v23, vcc
	v_mad_u64_u32 v[12:13], s[8:9], s10, 12, v[14:15]
	v_add_co_u32_e32 v8, vcc, s6, v12
	v_addc_co_u32_e32 v7, vcc, v19, v13, vcc
	v_add_co_u32_e32 v10, vcc, s2, v12
	v_addc_co_u32_e32 v9, vcc, v21, v13, vcc
	v_add_co_u32_e32 v12, vcc, s0, v12
	s_mul_i32 s20, s10, 3
	v_addc_co_u32_e32 v11, vcc, v23, v13, vcc
	s_cselect_b32 s17, s13, 0
	s_cselect_b32 s16, s12, 0x10000
	v_add_co_u32_e32 v25, vcc, s20, v0
	s_lshl_b32 s1, s10, 3
	v_addc_co_u32_e64 v26, s[8:9], 0, 0, vcc
	v_add_co_u32_e32 v17, vcc, s1, v14
	v_addc_co_u32_e64 v20, s[8:9], 0, 0, vcc
	v_add_co_u32_e32 v14, vcc, s6, v17
	v_addc_co_u32_e32 v13, vcc, v19, v20, vcc
	v_add_co_u32_e32 v16, vcc, s2, v17
	v_addc_co_u32_e32 v15, vcc, v21, v20, vcc
	v_add_co_u32_e32 v18, vcc, s0, v17
	s_lshl_b32 s11, s10, 1
	v_addc_co_u32_e32 v17, vcc, v23, v20, vcc
	v_add_co_u32_e32 v27, vcc, s11, v0
	v_addc_co_u32_e64 v28, s[8:9], 0, 0, vcc
	v_add_co_u32_e32 v29, vcc, s10, v0
	v_lshlrev_b32_e32 v24, 2, v29
	v_addc_co_u32_e64 v30, s[8:9], 0, 0, vcc
	v_add_co_u32_e32 v20, vcc, s6, v24
	v_addc_co_u32_e32 v19, vcc, 0, v19, vcc
	v_add_co_u32_e32 v22, vcc, s2, v24
	v_addc_co_u32_e32 v21, vcc, 0, v21, vcc
	v_add_co_u32_e32 v24, vcc, s0, v24
	s_mov_b32 s31, 0
	v_cmp_neq_f32_e64 s[18:19], s24, 1.0
	s_lshl_b32 s33, s10, 2
	s_lshl_b32 s34, s10, 4
	v_addc_co_u32_e32 v23, vcc, 0, v23, vcc
	s_mov_b64 s[20:21], 0
	s_branch .LBB28_4
.LBB28_3:                               ;   in Loop: Header=BB28_4 Depth=1
	s_or_b64 exec, exec, s[0:1]
	s_add_u32 s20, s20, s33
	s_addc_u32 s21, s21, 0
	s_waitcnt vmcnt(0)
	v_pk_mov_b32 v[32:33], s[12:13], s[12:13] op_sel:[0,1]
	v_cmp_ge_i64_e32 vcc, s[20:21], v[32:33]
	v_mov_b32_e32 v32, 0xffff
	v_mov_b32_e32 v33, 0
	v_cmp_gt_u64_e64 s[0:1], s[20:21], v[32:33]
	s_or_b64 s[0:1], vcc, s[0:1]
	v_mov_b32_e32 v31, s31
	v_add_co_u32_e32 v2, vcc, s34, v2
	v_addc_co_u32_e32 v1, vcc, v1, v31, vcc
	v_add_co_u32_e32 v4, vcc, s34, v4
	v_addc_co_u32_e32 v3, vcc, v3, v31, vcc
	;; [unrolled: 2-line block ×12, first 2 shown]
	s_and_b64 vcc, exec, s[0:1]
	s_cbranch_vccnz .LBB28_44
.LBB28_4:                               ; =>This Inner Loop Header: Depth=1
	v_mov_b32_e32 v31, s21
	v_add_co_u32_e32 v32, vcc, s20, v0
	v_addc_co_u32_e32 v33, vcc, 0, v31, vcc
	v_cmp_gt_u64_e64 s[0:1], s[16:17], v[32:33]
	v_mov_b32_e32 v32, 0
	v_mov_b32_e32 v33, 0
	s_and_saveexec_b64 s[2:3], s[0:1]
	s_cbranch_execz .LBB28_6
; %bb.5:                                ;   in Loop: Header=BB28_4 Depth=1
	v_mov_b32_e32 v31, s15
	v_add_co_u32_e32 v34, vcc, s14, v2
	v_addc_co_u32_e32 v35, vcc, v1, v31, vcc
	v_add_co_u32_e32 v36, vcc, s14, v4
	v_addc_co_u32_e32 v37, vcc, v3, v31, vcc
	global_load_dword v32, v[34:35], off
	global_load_dword v33, v[36:37], off
.LBB28_6:                               ;   in Loop: Header=BB28_4 Depth=1
	s_or_b64 exec, exec, s[2:3]
	v_mov_b32_e32 v31, 0
	v_mov_b32_e32 v35, 0
	s_and_saveexec_b64 s[2:3], s[0:1]
	s_cbranch_execz .LBB28_8
; %bb.7:                                ;   in Loop: Header=BB28_4 Depth=1
	v_mov_b32_e32 v35, s15
	v_add_co_u32_e32 v34, vcc, s14, v6
	v_addc_co_u32_e32 v35, vcc, v5, v35, vcc
	global_load_dword v35, v[34:35], off
.LBB28_8:                               ;   in Loop: Header=BB28_4 Depth=1
	s_or_b64 exec, exec, s[2:3]
	v_mov_b32_e32 v34, s21
	v_add_co_u32_e32 v36, vcc, s20, v29
	v_addc_co_u32_e32 v37, vcc, v30, v34, vcc
	v_cmp_gt_u64_e64 s[2:3], s[16:17], v[36:37]
	v_mov_b32_e32 v36, 0
	s_and_saveexec_b64 s[6:7], s[2:3]
	s_cbranch_execz .LBB28_10
; %bb.9:                                ;   in Loop: Header=BB28_4 Depth=1
	v_mov_b32_e32 v31, s15
	v_add_co_u32_e32 v38, vcc, s14, v20
	v_addc_co_u32_e32 v39, vcc, v19, v31, vcc
	v_add_co_u32_e32 v40, vcc, s14, v22
	v_addc_co_u32_e32 v41, vcc, v21, v31, vcc
	global_load_dword v31, v[38:39], off
	global_load_dword v36, v[40:41], off
.LBB28_10:                              ;   in Loop: Header=BB28_4 Depth=1
	s_or_b64 exec, exec, s[6:7]
	v_mov_b32_e32 v34, 0
	v_mov_b32_e32 v37, 0
	s_and_saveexec_b64 s[6:7], s[2:3]
	s_cbranch_execz .LBB28_12
; %bb.11:                               ;   in Loop: Header=BB28_4 Depth=1
	v_mov_b32_e32 v37, s15
	v_add_co_u32_e32 v38, vcc, s14, v24
	v_addc_co_u32_e32 v39, vcc, v23, v37, vcc
	global_load_dword v37, v[38:39], off
.LBB28_12:                              ;   in Loop: Header=BB28_4 Depth=1
	s_or_b64 exec, exec, s[6:7]
	v_mov_b32_e32 v39, s21
	v_add_co_u32_e32 v38, vcc, s20, v27
	v_addc_co_u32_e32 v39, vcc, v28, v39, vcc
	v_cmp_gt_u64_e64 s[6:7], s[16:17], v[38:39]
	v_mov_b32_e32 v39, 0
	s_and_saveexec_b64 s[8:9], s[6:7]
	s_cbranch_execz .LBB28_14
; %bb.13:                               ;   in Loop: Header=BB28_4 Depth=1
	v_mov_b32_e32 v34, s15
	v_add_co_u32_e32 v40, vcc, s14, v14
	v_addc_co_u32_e32 v41, vcc, v13, v34, vcc
	v_add_co_u32_e32 v42, vcc, s14, v16
	v_addc_co_u32_e32 v43, vcc, v15, v34, vcc
	global_load_dword v34, v[40:41], off
	global_load_dword v39, v[42:43], off
.LBB28_14:                              ;   in Loop: Header=BB28_4 Depth=1
	s_or_b64 exec, exec, s[8:9]
	v_mov_b32_e32 v38, 0
	v_mov_b32_e32 v40, 0
	s_and_saveexec_b64 s[8:9], s[6:7]
	s_cbranch_execz .LBB28_16
; %bb.15:                               ;   in Loop: Header=BB28_4 Depth=1
	v_mov_b32_e32 v41, s15
	v_add_co_u32_e32 v40, vcc, s14, v18
	v_addc_co_u32_e32 v41, vcc, v17, v41, vcc
	global_load_dword v40, v[40:41], off
.LBB28_16:                              ;   in Loop: Header=BB28_4 Depth=1
	s_or_b64 exec, exec, s[8:9]
	v_mov_b32_e32 v41, s21
	v_add_co_u32_e32 v42, vcc, s20, v25
	v_addc_co_u32_e32 v43, vcc, v26, v41, vcc
	v_cmp_gt_u64_e64 s[8:9], s[16:17], v[42:43]
	v_mov_b32_e32 v41, 0
	s_and_saveexec_b64 s[10:11], s[8:9]
	s_cbranch_execnz .LBB28_34
; %bb.17:                               ;   in Loop: Header=BB28_4 Depth=1
	s_or_b64 exec, exec, s[10:11]
	v_mov_b32_e32 v42, 0
	s_and_saveexec_b64 s[10:11], s[8:9]
	s_cbranch_execnz .LBB28_35
.LBB28_18:                              ;   in Loop: Header=BB28_4 Depth=1
	s_or_b64 exec, exec, s[10:11]
	s_and_b64 vcc, exec, s[18:19]
	s_cbranch_vccz .LBB28_36
.LBB28_19:                              ;   in Loop: Header=BB28_4 Depth=1
	s_waitcnt vmcnt(0)
	v_mul_f32_e32 v43, v33, v35
	v_fma_f32 v43, s24, v43, v32
	s_cbranch_execnz .LBB28_21
.LBB28_20:                              ;   in Loop: Header=BB28_4 Depth=1
	s_waitcnt vmcnt(0)
	v_fmac_f32_e32 v32, v33, v35
	v_mov_b32_e32 v43, v32
.LBB28_21:                              ;   in Loop: Header=BB28_4 Depth=1
	s_waitcnt vmcnt(1)
	v_cndmask_b32_e64 v32, 0, 1, s[18:19]
	v_cmp_ne_u32_e64 s[10:11], 1, v32
	s_andn2_b64 vcc, exec, s[18:19]
	s_cbranch_vccnz .LBB28_41
; %bb.22:                               ;   in Loop: Header=BB28_4 Depth=1
	s_waitcnt vmcnt(0)
	v_mul_f32_e32 v32, v36, v37
	v_fma_f32 v32, s24, v32, v31
	s_cbranch_execnz .LBB28_24
.LBB28_23:                              ;   in Loop: Header=BB28_4 Depth=1
	s_waitcnt vmcnt(0)
	v_fmac_f32_e32 v31, v36, v37
	v_mov_b32_e32 v32, v31
.LBB28_24:                              ;   in Loop: Header=BB28_4 Depth=1
	s_and_b64 vcc, exec, s[10:11]
	s_cbranch_vccnz .LBB28_42
; %bb.25:                               ;   in Loop: Header=BB28_4 Depth=1
	s_waitcnt vmcnt(0)
	v_mul_f32_e32 v31, v39, v40
	v_fma_f32 v31, s24, v31, v34
	s_cbranch_execnz .LBB28_27
.LBB28_26:                              ;   in Loop: Header=BB28_4 Depth=1
	s_waitcnt vmcnt(0)
	v_fmac_f32_e32 v34, v39, v40
	v_mov_b32_e32 v31, v34
.LBB28_27:                              ;   in Loop: Header=BB28_4 Depth=1
	s_and_b64 vcc, exec, s[10:11]
	s_cbranch_vccnz .LBB28_43
; %bb.28:                               ;   in Loop: Header=BB28_4 Depth=1
	s_waitcnt vmcnt(0)
	v_mul_f32_e32 v33, v41, v42
	v_fma_f32 v33, s24, v33, v38
	s_cbranch_execnz .LBB28_30
.LBB28_29:                              ;   in Loop: Header=BB28_4 Depth=1
	s_waitcnt vmcnt(0)
	v_fmac_f32_e32 v38, v41, v42
	v_mov_b32_e32 v33, v38
.LBB28_30:                              ;   in Loop: Header=BB28_4 Depth=1
	s_and_saveexec_b64 s[10:11], s[0:1]
	s_xor_b64 s[0:1], exec, s[10:11]
	s_cbranch_execnz .LBB28_37
; %bb.31:                               ;   in Loop: Header=BB28_4 Depth=1
	s_or_b64 exec, exec, s[0:1]
	s_and_saveexec_b64 s[0:1], s[2:3]
	s_cbranch_execnz .LBB28_38
.LBB28_32:                              ;   in Loop: Header=BB28_4 Depth=1
	s_or_b64 exec, exec, s[0:1]
	s_and_saveexec_b64 s[0:1], s[6:7]
	s_cbranch_execnz .LBB28_39
.LBB28_33:                              ;   in Loop: Header=BB28_4 Depth=1
	s_or_b64 exec, exec, s[0:1]
	s_and_saveexec_b64 s[0:1], s[8:9]
	s_cbranch_execz .LBB28_3
	s_branch .LBB28_40
.LBB28_34:                              ;   in Loop: Header=BB28_4 Depth=1
	v_mov_b32_e32 v38, s15
	v_add_co_u32_e32 v42, vcc, s14, v8
	v_addc_co_u32_e32 v43, vcc, v7, v38, vcc
	v_add_co_u32_e32 v44, vcc, s14, v10
	v_addc_co_u32_e32 v45, vcc, v9, v38, vcc
	global_load_dword v38, v[42:43], off
	global_load_dword v41, v[44:45], off
	s_or_b64 exec, exec, s[10:11]
	v_mov_b32_e32 v42, 0
	s_and_saveexec_b64 s[10:11], s[8:9]
	s_cbranch_execz .LBB28_18
.LBB28_35:                              ;   in Loop: Header=BB28_4 Depth=1
	v_mov_b32_e32 v43, s15
	v_add_co_u32_e32 v42, vcc, s14, v12
	v_addc_co_u32_e32 v43, vcc, v11, v43, vcc
	global_load_dword v42, v[42:43], off
	s_or_b64 exec, exec, s[10:11]
	s_and_b64 vcc, exec, s[18:19]
	s_cbranch_vccnz .LBB28_19
.LBB28_36:                              ;   in Loop: Header=BB28_4 Depth=1
                                        ; implicit-def: $vgpr43
	s_branch .LBB28_20
.LBB28_37:                              ;   in Loop: Header=BB28_4 Depth=1
	s_waitcnt vmcnt(0)
	v_mov_b32_e32 v35, s15
	v_add_co_u32_e32 v34, vcc, s14, v2
	v_addc_co_u32_e32 v35, vcc, v1, v35, vcc
	global_store_dword v[34:35], v43, off
	s_or_b64 exec, exec, s[0:1]
	s_and_saveexec_b64 s[0:1], s[2:3]
	s_cbranch_execz .LBB28_32
.LBB28_38:                              ;   in Loop: Header=BB28_4 Depth=1
	s_waitcnt vmcnt(0)
	v_mov_b32_e32 v35, s15
	v_add_co_u32_e32 v34, vcc, s14, v20
	v_addc_co_u32_e32 v35, vcc, v19, v35, vcc
	global_store_dword v[34:35], v32, off
	s_or_b64 exec, exec, s[0:1]
	s_and_saveexec_b64 s[0:1], s[6:7]
	s_cbranch_execz .LBB28_33
.LBB28_39:                              ;   in Loop: Header=BB28_4 Depth=1
	v_mov_b32_e32 v32, s15
	v_add_co_u32_e32 v34, vcc, s14, v14
	s_waitcnt vmcnt(0)
	v_addc_co_u32_e32 v35, vcc, v13, v32, vcc
	global_store_dword v[34:35], v31, off
	s_or_b64 exec, exec, s[0:1]
	s_and_saveexec_b64 s[0:1], s[8:9]
	s_cbranch_execz .LBB28_3
.LBB28_40:                              ;   in Loop: Header=BB28_4 Depth=1
	v_mov_b32_e32 v31, s15
	v_add_co_u32_e32 v34, vcc, s14, v8
	s_waitcnt vmcnt(0)
	v_addc_co_u32_e32 v35, vcc, v7, v31, vcc
	global_store_dword v[34:35], v33, off
	s_branch .LBB28_3
.LBB28_41:                              ;   in Loop: Header=BB28_4 Depth=1
                                        ; implicit-def: $vgpr32
	s_branch .LBB28_23
.LBB28_42:                              ;   in Loop: Header=BB28_4 Depth=1
                                        ; implicit-def: $vgpr31
	s_branch .LBB28_26
.LBB28_43:                              ;   in Loop: Header=BB28_4 Depth=1
                                        ; implicit-def: $vgpr33
	s_branch .LBB28_29
.LBB28_44:
	s_mov_b64 s[8:9], 0
.LBB28_45:
	s_andn2_b64 vcc, exec, s[8:9]
	s_cbranch_vccnz .LBB28_65
; %bb.46:
	v_mov_b32_e32 v17, 0
	v_lshlrev_b32_e32 v16, 2, v0
	s_mov_b32 s2, 0
	v_cmp_gt_i64_e32 vcc, s[12:13], v[16:17]
	s_and_saveexec_b64 s[0:1], vcc
	s_cbranch_execz .LBB28_65
; %bb.47:
	s_load_dword s0, s[4:5], 0xc5c
	v_cmp_neq_f32_e64 s[6:7], s24, 1.0
	v_lshlrev_b32_e32 v18, 4, v0
	s_mov_b64 s[4:5], 0
	s_mov_b64 s[8:9], 0xffff
	s_waitcnt lgkmcnt(0)
	s_and_b32 s0, s0, 0xffff
	v_add_lshl_u32 v16, v0, s0, 2
	v_cndmask_b32_e64 v0, 0, 1, s[6:7]
	s_lshl_b32 s10, s0, 2
	s_lshl_b32 s11, s0, 4
	v_cmp_ne_u32_e64 s[0:1], 1, v0
	v_mov_b32_e32 v19, s2
	s_branch .LBB28_49
.LBB28_48:                              ;   in Loop: Header=BB28_49 Depth=1
	v_cmp_le_i64_e32 vcc, s[12:13], v[16:17]
	v_cmp_lt_u64_e64 s[2:3], s[8:9], v[16:17]
	s_or_b64 s[2:3], vcc, s[2:3]
	s_add_u32 s25, s25, s11
	s_addc_u32 s26, s26, 0
	s_add_u32 s29, s29, s11
	s_addc_u32 s30, s30, 0
	;; [unrolled: 2-line block ×3, first 2 shown]
	s_and_b64 s[2:3], exec, s[2:3]
	v_add_co_u32_e32 v16, vcc, s10, v16
	s_or_b64 s[4:5], s[2:3], s[4:5]
	v_addc_co_u32_e32 v17, vcc, v17, v19, vcc
	global_store_dwordx4 v[20:21], v[12:15], off
	s_andn2_b64 exec, exec, s[4:5]
	s_cbranch_execz .LBB28_65
.LBB28_49:                              ; =>This Inner Loop Header: Depth=1
	s_waitcnt vmcnt(3)
	v_mov_b32_e32 v0, s26
	v_add_co_u32_e32 v20, vcc, s25, v18
	v_addc_co_u32_e32 v21, vcc, 0, v0, vcc
	s_waitcnt vmcnt(2)
	v_mov_b32_e32 v5, s28
	v_add_co_u32_e32 v4, vcc, s27, v18
	v_addc_co_u32_e32 v5, vcc, 0, v5, vcc
	;; [unrolled: 4-line block ×3, first 2 shown]
	global_load_dwordx4 v[0:3], v[20:21], off
	s_and_b64 vcc, exec, s[6:7]
	global_load_dwordx4 v[4:7], v[4:5], off
	s_nop 0
	global_load_dwordx4 v[8:11], v[8:9], off
	s_cbranch_vccz .LBB28_60
; %bb.50:                               ;   in Loop: Header=BB28_49 Depth=1
	s_waitcnt vmcnt(0)
	v_mul_f32_e32 v12, v4, v8
	v_fma_f32 v12, s24, v12, v0
	s_cbranch_execnz .LBB28_52
.LBB28_51:                              ;   in Loop: Header=BB28_49 Depth=1
	s_waitcnt vmcnt(0)
	v_fma_f32 v12, v4, v8, v0
.LBB28_52:                              ;   in Loop: Header=BB28_49 Depth=1
	s_and_b64 vcc, exec, s[0:1]
	s_cbranch_vccnz .LBB28_61
; %bb.53:                               ;   in Loop: Header=BB28_49 Depth=1
	s_waitcnt vmcnt(0)
	v_mul_f32_e32 v0, v5, v9
	v_fma_f32 v13, s24, v0, v1
	s_cbranch_execnz .LBB28_55
.LBB28_54:                              ;   in Loop: Header=BB28_49 Depth=1
	s_waitcnt vmcnt(0)
	v_fma_f32 v13, v5, v9, v1
.LBB28_55:                              ;   in Loop: Header=BB28_49 Depth=1
	s_and_b64 vcc, exec, s[0:1]
	s_cbranch_vccnz .LBB28_62
; %bb.56:                               ;   in Loop: Header=BB28_49 Depth=1
	s_waitcnt vmcnt(0)
	v_mul_f32_e32 v0, v6, v10
	v_fma_f32 v14, s24, v0, v2
	s_cbranch_execnz .LBB28_58
.LBB28_57:                              ;   in Loop: Header=BB28_49 Depth=1
	s_waitcnt vmcnt(0)
	v_fma_f32 v14, v6, v10, v2
.LBB28_58:                              ;   in Loop: Header=BB28_49 Depth=1
	s_and_b64 vcc, exec, s[0:1]
	s_cbranch_vccnz .LBB28_63
; %bb.59:                               ;   in Loop: Header=BB28_49 Depth=1
	s_waitcnt vmcnt(0)
	v_mul_f32_e32 v0, v7, v11
	v_fma_f32 v15, s24, v0, v3
	s_cbranch_execnz .LBB28_48
	s_branch .LBB28_64
.LBB28_60:                              ;   in Loop: Header=BB28_49 Depth=1
                                        ; implicit-def: $vgpr12
	s_branch .LBB28_51
.LBB28_61:                              ;   in Loop: Header=BB28_49 Depth=1
	s_branch .LBB28_54
.LBB28_62:                              ;   in Loop: Header=BB28_49 Depth=1
	s_branch .LBB28_57
.LBB28_63:                              ;   in Loop: Header=BB28_49 Depth=1
.LBB28_64:                              ;   in Loop: Header=BB28_49 Depth=1
	s_waitcnt vmcnt(0)
	v_fmac_f32_e32 v3, v7, v11
	v_mov_b32_e32 v15, v3
	s_branch .LBB28_48
.LBB28_65:
	s_endpgm
	.section	.rodata,"a",@progbits
	.p2align	6, 0x0
	.amdhsa_kernel _ZN2at6native12_GLOBAL__N_125multi_tensor_apply_kernelINS1_18TensorListMetadataILi3EEENS1_24PointwiseOpScalarFunctorIfLi3ELi3ELi0EEEJSt10multipliesIfEfEEEvT_T0_DpT1_
		.amdhsa_group_segment_fixed_size 0
		.amdhsa_private_segment_fixed_size 0
		.amdhsa_kernarg_size 3408
		.amdhsa_user_sgpr_count 6
		.amdhsa_user_sgpr_private_segment_buffer 1
		.amdhsa_user_sgpr_dispatch_ptr 0
		.amdhsa_user_sgpr_queue_ptr 0
		.amdhsa_user_sgpr_kernarg_segment_ptr 1
		.amdhsa_user_sgpr_dispatch_id 0
		.amdhsa_user_sgpr_flat_scratch_init 0
		.amdhsa_user_sgpr_kernarg_preload_length 0
		.amdhsa_user_sgpr_kernarg_preload_offset 0
		.amdhsa_user_sgpr_private_segment_size 0
		.amdhsa_uses_dynamic_stack 0
		.amdhsa_system_sgpr_private_segment_wavefront_offset 0
		.amdhsa_system_sgpr_workgroup_id_x 1
		.amdhsa_system_sgpr_workgroup_id_y 0
		.amdhsa_system_sgpr_workgroup_id_z 0
		.amdhsa_system_sgpr_workgroup_info 0
		.amdhsa_system_vgpr_workitem_id 0
		.amdhsa_next_free_vgpr 46
		.amdhsa_next_free_sgpr 35
		.amdhsa_accum_offset 48
		.amdhsa_reserve_vcc 1
		.amdhsa_reserve_flat_scratch 0
		.amdhsa_float_round_mode_32 0
		.amdhsa_float_round_mode_16_64 0
		.amdhsa_float_denorm_mode_32 3
		.amdhsa_float_denorm_mode_16_64 3
		.amdhsa_dx10_clamp 1
		.amdhsa_ieee_mode 1
		.amdhsa_fp16_overflow 0
		.amdhsa_tg_split 0
		.amdhsa_exception_fp_ieee_invalid_op 0
		.amdhsa_exception_fp_denorm_src 0
		.amdhsa_exception_fp_ieee_div_zero 0
		.amdhsa_exception_fp_ieee_overflow 0
		.amdhsa_exception_fp_ieee_underflow 0
		.amdhsa_exception_fp_ieee_inexact 0
		.amdhsa_exception_int_div_zero 0
	.end_amdhsa_kernel
	.section	.text._ZN2at6native12_GLOBAL__N_125multi_tensor_apply_kernelINS1_18TensorListMetadataILi3EEENS1_24PointwiseOpScalarFunctorIfLi3ELi3ELi0EEEJSt10multipliesIfEfEEEvT_T0_DpT1_,"axG",@progbits,_ZN2at6native12_GLOBAL__N_125multi_tensor_apply_kernelINS1_18TensorListMetadataILi3EEENS1_24PointwiseOpScalarFunctorIfLi3ELi3ELi0EEEJSt10multipliesIfEfEEEvT_T0_DpT1_,comdat
.Lfunc_end28:
	.size	_ZN2at6native12_GLOBAL__N_125multi_tensor_apply_kernelINS1_18TensorListMetadataILi3EEENS1_24PointwiseOpScalarFunctorIfLi3ELi3ELi0EEEJSt10multipliesIfEfEEEvT_T0_DpT1_, .Lfunc_end28-_ZN2at6native12_GLOBAL__N_125multi_tensor_apply_kernelINS1_18TensorListMetadataILi3EEENS1_24PointwiseOpScalarFunctorIfLi3ELi3ELi0EEEJSt10multipliesIfEfEEEvT_T0_DpT1_
                                        ; -- End function
	.section	.AMDGPU.csdata,"",@progbits
; Kernel info:
; codeLenInByte = 1964
; NumSgprs: 39
; NumVgprs: 46
; NumAgprs: 0
; TotalNumVgprs: 46
; ScratchSize: 0
; MemoryBound: 1
; FloatMode: 240
; IeeeMode: 1
; LDSByteSize: 0 bytes/workgroup (compile time only)
; SGPRBlocks: 4
; VGPRBlocks: 5
; NumSGPRsForWavesPerEU: 39
; NumVGPRsForWavesPerEU: 46
; AccumOffset: 48
; Occupancy: 8
; WaveLimiterHint : 0
; COMPUTE_PGM_RSRC2:SCRATCH_EN: 0
; COMPUTE_PGM_RSRC2:USER_SGPR: 6
; COMPUTE_PGM_RSRC2:TRAP_HANDLER: 0
; COMPUTE_PGM_RSRC2:TGID_X_EN: 1
; COMPUTE_PGM_RSRC2:TGID_Y_EN: 0
; COMPUTE_PGM_RSRC2:TGID_Z_EN: 0
; COMPUTE_PGM_RSRC2:TIDIG_COMP_CNT: 0
; COMPUTE_PGM_RSRC3_GFX90A:ACCUM_OFFSET: 11
; COMPUTE_PGM_RSRC3_GFX90A:TG_SPLIT: 0
	.section	.text._ZN2at6native12_GLOBAL__N_125multi_tensor_apply_kernelINS1_18TensorListMetadataILi3EEENS1_24PointwiseOpScalarFunctorIN3c107complexIdEELi3ELi3ELi0EEEJSt10multipliesIS8_ES8_EEEvT_T0_DpT1_,"axG",@progbits,_ZN2at6native12_GLOBAL__N_125multi_tensor_apply_kernelINS1_18TensorListMetadataILi3EEENS1_24PointwiseOpScalarFunctorIN3c107complexIdEELi3ELi3ELi0EEEJSt10multipliesIS8_ES8_EEEvT_T0_DpT1_,comdat
	.globl	_ZN2at6native12_GLOBAL__N_125multi_tensor_apply_kernelINS1_18TensorListMetadataILi3EEENS1_24PointwiseOpScalarFunctorIN3c107complexIdEELi3ELi3ELi0EEEJSt10multipliesIS8_ES8_EEEvT_T0_DpT1_ ; -- Begin function _ZN2at6native12_GLOBAL__N_125multi_tensor_apply_kernelINS1_18TensorListMetadataILi3EEENS1_24PointwiseOpScalarFunctorIN3c107complexIdEELi3ELi3ELi0EEEJSt10multipliesIS8_ES8_EEEvT_T0_DpT1_
	.p2align	8
	.type	_ZN2at6native12_GLOBAL__N_125multi_tensor_apply_kernelINS1_18TensorListMetadataILi3EEENS1_24PointwiseOpScalarFunctorIN3c107complexIdEELi3ELi3ELi0EEEJSt10multipliesIS8_ES8_EEEvT_T0_DpT1_,@function
_ZN2at6native12_GLOBAL__N_125multi_tensor_apply_kernelINS1_18TensorListMetadataILi3EEENS1_24PointwiseOpScalarFunctorIN3c107complexIdEELi3ELi3ELi0EEEJSt10multipliesIS8_ES8_EEEvT_T0_DpT1_: ; @_ZN2at6native12_GLOBAL__N_125multi_tensor_apply_kernelINS1_18TensorListMetadataILi3EEENS1_24PointwiseOpScalarFunctorIN3c107complexIdEELi3ELi3ELi0EEEJSt10multipliesIS8_ES8_EEEvT_T0_DpT1_
; %bb.0:
	v_mov_b32_e32 v1, s6
	global_load_ubyte v1, v1, s[4:5] offset:1536
	s_add_u32 s0, s4, s6
	s_mul_hi_u32 s1, s6, 3
	s_mul_i32 s6, s6, 3
	s_addc_u32 s2, s5, 0
	s_add_u32 s0, s0, s6
	s_addc_u32 s1, s2, s1
	s_load_dword s10, s[0:1], 0x740
	s_load_dwordx4 s[12:15], s[4:5], 0xc50
	s_mov_b32 s1, 0
	s_mov_b32 s21, s1
	s_waitcnt lgkmcnt(0)
	s_ashr_i32 s11, s10, 31
	s_lshl_b64 s[18:19], s[10:11], 20
	s_waitcnt vmcnt(0)
	v_readfirstlane_b32 s0, v1
	s_lshl_b32 s0, s0, 3
	s_load_dwordx2 s[2:3], s[4:5], s0 offset:0x0
	s_load_dwordx2 s[6:7], s[4:5], s0 offset:0x180
	s_load_dwordx2 s[22:23], s[4:5], s0 offset:0x480
	s_load_dwordx2 s[8:9], s[4:5], s0 offset:0x300
	s_waitcnt lgkmcnt(0)
	s_add_u32 s28, s2, s18
	s_addc_u32 s29, s3, s19
	s_add_u32 s30, s6, s18
	s_addc_u32 s31, s7, s19
	;; [unrolled: 2-line block ×3, first 2 shown]
	s_or_b32 s16, s33, s30
	s_and_b32 s0, s28, 63
	s_and_b32 s16, s16, 63
	s_cmp_eq_u32 s16, 0
	s_cselect_b64 s[24:25], -1, 0
	s_lshl_b64 s[10:11], s[10:11], 16
	s_sub_u32 s16, s22, s10
	s_subb_u32 s17, s23, s11
	s_and_b32 s20, s22, 3
	s_or_b64 s[0:1], s[0:1], s[20:21]
	s_cmp_eq_u64 s[0:1], 0
	s_cselect_b64 s[0:1], -1, 0
	s_and_b64 s[10:11], s[24:25], s[0:1]
	s_mov_b64 s[0:1], -1
	s_and_b64 vcc, exec, s[10:11]
	s_cbranch_vccnz .LBB29_29
; %bb.1:
	v_cmp_lt_i64_e64 s[0:1], s[16:17], 1
	s_and_b64 vcc, exec, s[0:1]
	s_cbranch_vccnz .LBB29_28
; %bb.2:
	s_load_dword s0, s[4:5], 0xc6c
	v_mov_b32_e32 v2, 0x10000
	v_mov_b32_e32 v3, 0
	v_lshlrev_b32_e32 v4, 4, v0
	v_cmp_lt_u64_e32 vcc, s[16:17], v[2:3]
	s_waitcnt lgkmcnt(0)
	s_and_b32 s36, s0, 0xffff
	v_or_b32_e32 v2, 8, v4
	s_and_b64 s[0:1], vcc, exec
	v_mov_b32_e32 v5, s7
	v_add_co_u32_e32 v50, vcc, s6, v2
	v_addc_co_u32_e32 v51, vcc, 0, v5, vcc
	v_mov_b32_e32 v6, s3
	v_add_co_u32_e32 v52, vcc, s2, v2
	v_addc_co_u32_e32 v53, vcc, 0, v6, vcc
	v_add_lshl_u32 v7, v0, s36, 4
	v_mov_b32_e32 v8, s9
	v_add_co_u32_e32 v54, vcc, s8, v7
	v_addc_co_u32_e32 v55, vcc, 0, v8, vcc
	v_add_co_u32_e32 v56, vcc, s8, v2
	v_mov_b32_e32 v1, 0
	v_addc_co_u32_e32 v57, vcc, 0, v8, vcc
	v_cmp_eq_f64_e64 s[0:1], s[12:13], 1.0
	v_cmp_eq_f64_e64 s[10:11], s[14:15], 0
	v_mov_b32_e32 v3, v1
	v_add_co_u32_e32 v58, vcc, s2, v7
	s_cselect_b32 s21, s17, 0
	s_cselect_b32 s20, s16, 0x10000
	s_and_b64 s[0:1], s[0:1], s[10:11]
	v_addc_co_u32_e32 v59, vcc, 0, v6, vcc
	v_mad_u64_u32 v[2:3], s[10:11], s36, 48, v[2:3]
	v_add_co_u32_e32 v60, vcc, s6, v2
	v_addc_co_u32_e32 v61, vcc, v5, v3, vcc
	v_add_co_u32_e32 v62, vcc, s6, v7
	v_addc_co_u32_e32 v63, vcc, 0, v5, vcc
	;; [unrolled: 2-line block ×4, first 2 shown]
	s_lshl_b32 s3, s36, 5
	v_add_co_u32_e32 v2, vcc, s3, v4
	v_addc_co_u32_e64 v3, s[10:11], 0, 0, vcc
	v_add_co_u32_e32 v68, vcc, s8, v2
	v_addc_co_u32_e32 v69, vcc, v8, v3, vcc
	v_or_b32_e32 v2, 8, v2
	v_add_co_u32_e32 v70, vcc, s6, v2
	s_mov_b32 s35, 0
	v_addc_co_u32_e32 v71, vcc, v5, v3, vcc
	s_lshl_b32 s22, s36, 2
	s_mov_b32 s23, s35
	v_add_co_u32_e32 v72, vcc, s2, v2
	s_lshl_b32 s37, s36, 1
	s_mov_b32 s38, s35
	s_mul_i32 s39, s36, 3
	s_mov_b32 s40, s35
	s_lshl_b32 s41, s36, 6
	s_mov_b32 s42, s35
	v_addc_co_u32_e32 v73, vcc, v6, v3, vcc
	v_pk_mov_b32 v[74:75], v[0:1], v[0:1] op_sel:[0,1]
	s_mov_b64 s[24:25], s[22:23]
	s_branch .LBB29_4
.LBB29_3:                               ;   in Loop: Header=BB29_4 Depth=1
	s_or_b64 exec, exec, s[2:3]
	s_waitcnt vmcnt(1)
	v_pk_mov_b32 v[2:3], s[16:17], s[16:17] op_sel:[0,1]
	v_cmp_lt_i64_e32 vcc, s[24:25], v[2:3]
	v_mov_b32_e32 v2, 0x10000
	v_mov_b32_e32 v3, 0
	v_cmp_lt_u64_e64 s[2:3], s[24:25], v[2:3]
	s_and_b64 s[2:3], vcc, s[2:3]
	v_mov_b32_e32 v1, s23
	v_add_co_u32_e32 v74, vcc, s22, v74
	v_addc_co_u32_e32 v75, vcc, v75, v1, vcc
	v_mov_b32_e32 v1, s42
	v_add_co_u32_e32 v50, vcc, s41, v50
	v_addc_co_u32_e32 v51, vcc, v51, v1, vcc
	v_add_co_u32_e32 v52, vcc, s41, v52
	v_addc_co_u32_e32 v53, vcc, v53, v1, vcc
	;; [unrolled: 2-line block ×11, first 2 shown]
	v_add_co_u32_e32 v72, vcc, s41, v72
	s_add_u32 s24, s24, s22
	v_addc_co_u32_e32 v73, vcc, v73, v1, vcc
	s_addc_u32 s25, s25, 0
	s_and_b64 vcc, exec, s[2:3]
	s_cbranch_vccz .LBB29_28
.LBB29_4:                               ; =>This Inner Loop Header: Depth=1
	s_waitcnt vmcnt(0)
	v_pk_mov_b32 v[8:9], 0, 0
	v_cmp_gt_u64_e32 vcc, s[20:21], v[74:75]
	v_pk_mov_b32 v[12:13], v[8:9], v[8:9] op_sel:[0,1]
	v_pk_mov_b32 v[10:11], v[8:9], v[8:9] op_sel:[0,1]
	;; [unrolled: 1-line block ×4, first 2 shown]
	s_and_saveexec_b64 s[6:7], vcc
	s_cbranch_execz .LBB29_6
; %bb.5:                                ;   in Loop: Header=BB29_4 Depth=1
	v_mov_b32_e32 v1, s19
	v_add_co_u32_e64 v6, s[2:3], s18, v50
	v_addc_co_u32_e64 v7, s[2:3], v51, v1, s[2:3]
	v_add_co_u32_e64 v14, s[2:3], s18, v52
	v_addc_co_u32_e64 v15, s[2:3], v53, v1, s[2:3]
	global_load_dwordx4 v[2:5], v[14:15], off offset:-8
	global_load_dwordx4 v[10:13], v[6:7], off offset:-8
.LBB29_6:                               ;   in Loop: Header=BB29_4 Depth=1
	s_or_b64 exec, exec, s[6:7]
	v_pk_mov_b32 v[6:7], v[8:9], v[8:9] op_sel:[0,1]
	s_and_saveexec_b64 s[6:7], vcc
	s_cbranch_execz .LBB29_8
; %bb.7:                                ;   in Loop: Header=BB29_4 Depth=1
	v_mov_b32_e32 v1, s19
	v_add_co_u32_e64 v6, s[2:3], s18, v56
	v_addc_co_u32_e64 v7, s[2:3], v57, v1, s[2:3]
	global_load_dwordx4 v[6:9], v[6:7], off offset:-8
.LBB29_8:                               ;   in Loop: Header=BB29_4 Depth=1
	s_or_b64 exec, exec, s[6:7]
	v_mov_b32_e32 v1, s35
	v_add_co_u32_e64 v14, s[2:3], s36, v74
	v_addc_co_u32_e64 v15, s[2:3], v1, v75, s[2:3]
	v_pk_mov_b32 v[20:21], 0, 0
	v_cmp_gt_u64_e64 s[2:3], s[20:21], v[14:15]
	v_pk_mov_b32 v[24:25], v[20:21], v[20:21] op_sel:[0,1]
	v_pk_mov_b32 v[22:23], v[20:21], v[20:21] op_sel:[0,1]
	;; [unrolled: 1-line block ×4, first 2 shown]
	s_and_saveexec_b64 s[8:9], s[2:3]
	s_cbranch_execz .LBB29_10
; %bb.9:                                ;   in Loop: Header=BB29_4 Depth=1
	v_mov_b32_e32 v1, s19
	v_add_co_u32_e64 v18, s[6:7], s18, v62
	v_addc_co_u32_e64 v19, s[6:7], v63, v1, s[6:7]
	v_add_co_u32_e64 v26, s[6:7], s18, v58
	v_addc_co_u32_e64 v27, s[6:7], v59, v1, s[6:7]
	global_load_dwordx4 v[14:17], v[26:27], off
	global_load_dwordx4 v[22:25], v[18:19], off
.LBB29_10:                              ;   in Loop: Header=BB29_4 Depth=1
	s_or_b64 exec, exec, s[8:9]
	v_pk_mov_b32 v[18:19], v[20:21], v[20:21] op_sel:[0,1]
	s_and_saveexec_b64 s[8:9], s[2:3]
	s_cbranch_execz .LBB29_12
; %bb.11:                               ;   in Loop: Header=BB29_4 Depth=1
	v_mov_b32_e32 v1, s19
	v_add_co_u32_e64 v18, s[6:7], s18, v54
	v_addc_co_u32_e64 v19, s[6:7], v55, v1, s[6:7]
	global_load_dwordx4 v[18:21], v[18:19], off
.LBB29_12:                              ;   in Loop: Header=BB29_4 Depth=1
	s_or_b64 exec, exec, s[8:9]
	v_mov_b32_e32 v1, s38
	v_add_co_u32_e64 v26, s[6:7], s37, v74
	v_addc_co_u32_e64 v27, s[6:7], v1, v75, s[6:7]
	v_pk_mov_b32 v[32:33], 0, 0
	v_cmp_gt_u64_e64 s[6:7], s[20:21], v[26:27]
	v_pk_mov_b32 v[36:37], v[32:33], v[32:33] op_sel:[0,1]
	v_pk_mov_b32 v[34:35], v[32:33], v[32:33] op_sel:[0,1]
	;; [unrolled: 1-line block ×4, first 2 shown]
	s_and_saveexec_b64 s[10:11], s[6:7]
	s_cbranch_execz .LBB29_14
; %bb.13:                               ;   in Loop: Header=BB29_4 Depth=1
	v_mov_b32_e32 v1, s19
	v_add_co_u32_e64 v30, s[8:9], s18, v70
	v_addc_co_u32_e64 v31, s[8:9], v71, v1, s[8:9]
	v_add_co_u32_e64 v38, s[8:9], s18, v72
	v_addc_co_u32_e64 v39, s[8:9], v73, v1, s[8:9]
	global_load_dwordx4 v[26:29], v[38:39], off offset:-8
	global_load_dwordx4 v[34:37], v[30:31], off offset:-8
.LBB29_14:                              ;   in Loop: Header=BB29_4 Depth=1
	s_or_b64 exec, exec, s[10:11]
	v_pk_mov_b32 v[30:31], v[32:33], v[32:33] op_sel:[0,1]
	s_and_saveexec_b64 s[10:11], s[6:7]
	s_cbranch_execz .LBB29_16
; %bb.15:                               ;   in Loop: Header=BB29_4 Depth=1
	v_mov_b32_e32 v1, s19
	v_add_co_u32_e64 v30, s[8:9], s18, v68
	v_addc_co_u32_e64 v31, s[8:9], v69, v1, s[8:9]
	global_load_dwordx4 v[30:33], v[30:31], off
.LBB29_16:                              ;   in Loop: Header=BB29_4 Depth=1
	s_or_b64 exec, exec, s[10:11]
	v_mov_b32_e32 v1, s40
	v_add_co_u32_e64 v38, s[8:9], s39, v74
	v_addc_co_u32_e64 v39, s[8:9], v1, v75, s[8:9]
	v_pk_mov_b32 v[44:45], 0, 0
	v_cmp_gt_u64_e64 s[8:9], s[20:21], v[38:39]
	v_pk_mov_b32 v[48:49], v[44:45], v[44:45] op_sel:[0,1]
	v_pk_mov_b32 v[46:47], v[44:45], v[44:45] op_sel:[0,1]
	;; [unrolled: 1-line block ×4, first 2 shown]
	s_and_saveexec_b64 s[26:27], s[8:9]
	s_cbranch_execnz .LBB29_22
; %bb.17:                               ;   in Loop: Header=BB29_4 Depth=1
	s_or_b64 exec, exec, s[26:27]
	v_pk_mov_b32 v[42:43], v[44:45], v[44:45] op_sel:[0,1]
	s_and_saveexec_b64 s[26:27], s[8:9]
	s_cbranch_execnz .LBB29_23
.LBB29_18:                              ;   in Loop: Header=BB29_4 Depth=1
	s_or_b64 exec, exec, s[26:27]
	s_and_saveexec_b64 s[10:11], vcc
	s_cbranch_execnz .LBB29_24
.LBB29_19:                              ;   in Loop: Header=BB29_4 Depth=1
	s_or_b64 exec, exec, s[10:11]
	s_and_saveexec_b64 s[10:11], s[2:3]
	s_cbranch_execnz .LBB29_25
.LBB29_20:                              ;   in Loop: Header=BB29_4 Depth=1
	s_or_b64 exec, exec, s[10:11]
	s_and_saveexec_b64 s[2:3], s[6:7]
	s_cbranch_execnz .LBB29_26
.LBB29_21:                              ;   in Loop: Header=BB29_4 Depth=1
	s_or_b64 exec, exec, s[2:3]
	s_and_saveexec_b64 s[2:3], s[8:9]
	s_cbranch_execz .LBB29_3
	s_branch .LBB29_27
.LBB29_22:                              ;   in Loop: Header=BB29_4 Depth=1
	v_mov_b32_e32 v1, s19
	v_add_co_u32_e64 v42, s[10:11], s18, v60
	v_addc_co_u32_e64 v43, s[10:11], v61, v1, s[10:11]
	v_add_co_u32_e64 v76, s[10:11], s18, v64
	v_addc_co_u32_e64 v77, s[10:11], v65, v1, s[10:11]
	global_load_dwordx4 v[38:41], v[76:77], off offset:-8
	global_load_dwordx4 v[46:49], v[42:43], off offset:-8
	s_or_b64 exec, exec, s[26:27]
	v_pk_mov_b32 v[42:43], v[44:45], v[44:45] op_sel:[0,1]
	s_and_saveexec_b64 s[26:27], s[8:9]
	s_cbranch_execz .LBB29_18
.LBB29_23:                              ;   in Loop: Header=BB29_4 Depth=1
	v_mov_b32_e32 v1, s19
	v_add_co_u32_e64 v42, s[10:11], s18, v66
	v_addc_co_u32_e64 v43, s[10:11], v67, v1, s[10:11]
	global_load_dwordx4 v[42:45], v[42:43], off offset:-8
	s_or_b64 exec, exec, s[26:27]
	s_and_saveexec_b64 s[10:11], vcc
	s_cbranch_execz .LBB29_19
.LBB29_24:                              ;   in Loop: Header=BB29_4 Depth=1
	s_waitcnt vmcnt(0)
	v_mul_f64 v[76:77], v[12:13], v[8:9]
	v_fma_f64 v[76:77], v[10:11], v[6:7], -v[76:77]
	v_mul_f64 v[6:7], v[12:13], v[6:7]
	v_fmac_f64_e32 v[6:7], v[10:11], v[8:9]
	v_mul_f64 v[8:9], s[14:15], v[6:7]
	v_fma_f64 v[8:9], s[12:13], v[76:77], -v[8:9]
	v_cndmask_b32_e64 v9, v9, v77, s[0:1]
	v_cndmask_b32_e64 v8, v8, v76, s[0:1]
	v_add_f64 v[2:3], v[2:3], v[8:9]
	v_mul_f64 v[8:9], s[14:15], v[76:77]
	v_fmac_f64_e32 v[8:9], s[12:13], v[6:7]
	v_cndmask_b32_e64 v7, v9, v7, s[0:1]
	v_cndmask_b32_e64 v6, v8, v6, s[0:1]
	v_add_f64 v[4:5], v[4:5], v[6:7]
	v_mov_b32_e32 v1, s19
	v_add_co_u32_e32 v6, vcc, s18, v52
	v_addc_co_u32_e32 v7, vcc, v53, v1, vcc
	global_store_dwordx4 v[6:7], v[2:5], off offset:-8
	s_or_b64 exec, exec, s[10:11]
	s_and_saveexec_b64 s[10:11], s[2:3]
	s_cbranch_execz .LBB29_20
.LBB29_25:                              ;   in Loop: Header=BB29_4 Depth=1
	s_waitcnt vmcnt(0)
	v_mul_f64 v[2:3], v[24:25], v[20:21]
	v_mul_f64 v[4:5], v[24:25], v[18:19]
	v_fma_f64 v[2:3], v[22:23], v[18:19], -v[2:3]
	v_fmac_f64_e32 v[4:5], v[22:23], v[20:21]
	v_mul_f64 v[6:7], s[14:15], v[4:5]
	v_mul_f64 v[8:9], s[14:15], v[2:3]
	v_fma_f64 v[6:7], s[12:13], v[2:3], -v[6:7]
	v_fmac_f64_e32 v[8:9], s[12:13], v[4:5]
	v_cndmask_b32_e64 v3, v7, v3, s[0:1]
	v_cndmask_b32_e64 v2, v6, v2, s[0:1]
	;; [unrolled: 1-line block ×4, first 2 shown]
	v_mov_b32_e32 v1, s19
	v_add_co_u32_e32 v6, vcc, s18, v58
	v_add_f64 v[4:5], v[16:17], v[4:5]
	v_add_f64 v[2:3], v[14:15], v[2:3]
	v_addc_co_u32_e32 v7, vcc, v59, v1, vcc
	global_store_dwordx4 v[6:7], v[2:5], off
	s_or_b64 exec, exec, s[10:11]
	s_and_saveexec_b64 s[2:3], s[6:7]
	s_cbranch_execz .LBB29_21
.LBB29_26:                              ;   in Loop: Header=BB29_4 Depth=1
	s_waitcnt vmcnt(0)
	v_mul_f64 v[2:3], v[36:37], v[32:33]
	v_mul_f64 v[4:5], v[36:37], v[30:31]
	v_fma_f64 v[2:3], v[34:35], v[30:31], -v[2:3]
	v_fmac_f64_e32 v[4:5], v[34:35], v[32:33]
	v_mul_f64 v[6:7], s[14:15], v[4:5]
	v_mul_f64 v[8:9], s[14:15], v[2:3]
	v_fma_f64 v[6:7], s[12:13], v[2:3], -v[6:7]
	v_fmac_f64_e32 v[8:9], s[12:13], v[4:5]
	v_cndmask_b32_e64 v3, v7, v3, s[0:1]
	v_cndmask_b32_e64 v2, v6, v2, s[0:1]
	v_cndmask_b32_e64 v5, v9, v5, s[0:1]
	v_cndmask_b32_e64 v4, v8, v4, s[0:1]
	v_mov_b32_e32 v1, s19
	v_add_co_u32_e32 v6, vcc, s18, v72
	v_add_f64 v[4:5], v[28:29], v[4:5]
	v_add_f64 v[2:3], v[26:27], v[2:3]
	v_addc_co_u32_e32 v7, vcc, v73, v1, vcc
	global_store_dwordx4 v[6:7], v[2:5], off offset:-8
	s_or_b64 exec, exec, s[2:3]
	s_and_saveexec_b64 s[2:3], s[8:9]
	s_cbranch_execz .LBB29_3
.LBB29_27:                              ;   in Loop: Header=BB29_4 Depth=1
	s_waitcnt vmcnt(0)
	v_mul_f64 v[2:3], v[48:49], v[44:45]
	v_mul_f64 v[4:5], v[48:49], v[42:43]
	v_fma_f64 v[2:3], v[46:47], v[42:43], -v[2:3]
	v_fmac_f64_e32 v[4:5], v[46:47], v[44:45]
	v_mul_f64 v[6:7], s[14:15], v[4:5]
	v_mul_f64 v[8:9], s[14:15], v[2:3]
	v_fma_f64 v[6:7], s[12:13], v[2:3], -v[6:7]
	v_fmac_f64_e32 v[8:9], s[12:13], v[4:5]
	v_cndmask_b32_e64 v3, v7, v3, s[0:1]
	v_cndmask_b32_e64 v2, v6, v2, s[0:1]
	;; [unrolled: 1-line block ×4, first 2 shown]
	v_mov_b32_e32 v1, s19
	v_add_co_u32_e32 v6, vcc, s18, v64
	v_add_f64 v[4:5], v[40:41], v[4:5]
	v_add_f64 v[2:3], v[38:39], v[2:3]
	v_addc_co_u32_e32 v7, vcc, v65, v1, vcc
	global_store_dwordx4 v[6:7], v[2:5], off offset:-8
	s_branch .LBB29_3
.LBB29_28:
	s_mov_b64 s[0:1], 0
.LBB29_29:
	s_andn2_b64 vcc, exec, s[0:1]
	s_cbranch_vccnz .LBB29_33
; %bb.30:
	v_mov_b32_e32 v3, 0
	v_lshlrev_b32_e32 v2, 2, v0
	s_mov_b32 s0, 0
	v_cmp_gt_i64_e32 vcc, s[16:17], v[2:3]
	s_and_saveexec_b64 s[2:3], vcc
	s_cbranch_execz .LBB29_33
; %bb.31:
	s_load_dword s1, s[4:5], 0xc6c
	v_cmp_eq_f64_e64 s[2:3], s[12:13], 1.0
	v_cmp_eq_f64_e64 s[4:5], s[14:15], 0
	s_mov_b64 s[6:7], 0
	s_and_b64 vcc, s[2:3], s[4:5]
	s_waitcnt lgkmcnt(0)
	s_and_b32 s1, s1, 0xffff
	v_add_lshl_u32 v2, v0, s1, 2
	s_lshl_b32 s10, s1, 2
	v_lshlrev_b32_e32 v0, 6, v0
	s_lshl_b32 s11, s1, 6
	s_mov_b64 s[8:9], 0xffff
	v_mov_b32_e32 v1, s0
.LBB29_32:                              ; =>This Inner Loop Header: Depth=1
	s_waitcnt vmcnt(0)
	v_mov_b32_e32 v6, s31
	v_add_co_u32_e64 v54, s[0:1], s30, v0
	v_mov_b32_e32 v7, s34
	v_add_co_u32_e64 v56, s[2:3], s33, v0
	;; [unrolled: 2-line block ×3, first 2 shown]
	v_addc_co_u32_e64 v55, s[0:1], 0, v6, s[0:1]
	v_addc_co_u32_e64 v57, s[0:1], 0, v7, s[2:3]
	v_addc_co_u32_e64 v5, s[4:5], 0, v5, s[4:5]
	global_load_dwordx4 v[6:9], v[56:57], off
	global_load_dwordx4 v[10:13], v[54:55], off
	global_load_dwordx4 v[14:17], v[54:55], off offset:16
	global_load_dwordx4 v[18:21], v[56:57], off offset:16
	;; [unrolled: 1-line block ×6, first 2 shown]
	global_load_dwordx4 v[38:41], v[4:5], off
	global_load_dwordx4 v[42:45], v[4:5], off offset:16
	global_load_dwordx4 v[46:49], v[4:5], off offset:32
	;; [unrolled: 1-line block ×3, first 2 shown]
	v_cmp_le_i64_e64 s[0:1], s[16:17], v[2:3]
	v_cmp_lt_u64_e64 s[2:3], s[8:9], v[2:3]
	s_or_b64 s[0:1], s[0:1], s[2:3]
	s_add_u32 s28, s28, s11
	s_addc_u32 s29, s29, 0
	s_add_u32 s33, s33, s11
	s_addc_u32 s34, s34, 0
	;; [unrolled: 2-line block ×3, first 2 shown]
	v_add_co_u32_e64 v2, s[4:5], s10, v2
	s_and_b64 s[0:1], exec, s[0:1]
	v_addc_co_u32_e64 v3, s[4:5], v3, v1, s[4:5]
	s_or_b64 s[6:7], s[0:1], s[6:7]
	s_waitcnt vmcnt(10)
	v_mul_f64 v[54:55], v[12:13], v[8:9]
	v_mul_f64 v[8:9], v[10:11], v[8:9]
	s_waitcnt vmcnt(8)
	v_mul_f64 v[56:57], v[16:17], v[20:21]
	v_mul_f64 v[20:21], v[14:15], v[20:21]
	;; [unrolled: 3-line block ×4, first 2 shown]
	v_fma_f64 v[10:11], v[10:11], v[6:7], -v[54:55]
	v_fmac_f64_e32 v[8:9], v[12:13], v[6:7]
	v_fma_f64 v[6:7], v[14:15], v[18:19], -v[56:57]
	v_fmac_f64_e32 v[20:21], v[16:17], v[18:19]
	;; [unrolled: 2-line block ×4, first 2 shown]
	v_mul_f64 v[16:17], s[14:15], v[8:9]
	v_mul_f64 v[18:19], s[14:15], v[10:11]
	;; [unrolled: 1-line block ×8, first 2 shown]
	v_fma_f64 v[16:17], s[12:13], v[10:11], -v[16:17]
	v_fmac_f64_e32 v[18:19], s[12:13], v[8:9]
	v_fma_f64 v[22:23], s[12:13], v[6:7], -v[22:23]
	v_fmac_f64_e32 v[26:27], s[12:13], v[20:21]
	;; [unrolled: 2-line block ×4, first 2 shown]
	v_cndmask_b32_e32 v11, v17, v11, vcc
	v_cndmask_b32_e32 v10, v16, v10, vcc
	;; [unrolled: 1-line block ×16, first 2 shown]
	s_waitcnt vmcnt(3)
	v_add_f64 v[8:9], v[40:41], v[8:9]
	v_add_f64 v[6:7], v[38:39], v[10:11]
	s_waitcnt vmcnt(2)
	v_add_f64 v[12:13], v[44:45], v[18:19]
	v_add_f64 v[10:11], v[42:43], v[16:17]
	;; [unrolled: 3-line block ×4, first 2 shown]
	global_store_dwordx4 v[4:5], v[6:9], off
	global_store_dwordx4 v[4:5], v[10:13], off offset:16
	global_store_dwordx4 v[4:5], v[14:17], off offset:32
	;; [unrolled: 1-line block ×3, first 2 shown]
	s_andn2_b64 exec, exec, s[6:7]
	s_cbranch_execnz .LBB29_32
.LBB29_33:
	s_endpgm
	.section	.rodata,"a",@progbits
	.p2align	6, 0x0
	.amdhsa_kernel _ZN2at6native12_GLOBAL__N_125multi_tensor_apply_kernelINS1_18TensorListMetadataILi3EEENS1_24PointwiseOpScalarFunctorIN3c107complexIdEELi3ELi3ELi0EEEJSt10multipliesIS8_ES8_EEEvT_T0_DpT1_
		.amdhsa_group_segment_fixed_size 0
		.amdhsa_private_segment_fixed_size 0
		.amdhsa_kernarg_size 3424
		.amdhsa_user_sgpr_count 6
		.amdhsa_user_sgpr_private_segment_buffer 1
		.amdhsa_user_sgpr_dispatch_ptr 0
		.amdhsa_user_sgpr_queue_ptr 0
		.amdhsa_user_sgpr_kernarg_segment_ptr 1
		.amdhsa_user_sgpr_dispatch_id 0
		.amdhsa_user_sgpr_flat_scratch_init 0
		.amdhsa_user_sgpr_kernarg_preload_length 0
		.amdhsa_user_sgpr_kernarg_preload_offset 0
		.amdhsa_user_sgpr_private_segment_size 0
		.amdhsa_uses_dynamic_stack 0
		.amdhsa_system_sgpr_private_segment_wavefront_offset 0
		.amdhsa_system_sgpr_workgroup_id_x 1
		.amdhsa_system_sgpr_workgroup_id_y 0
		.amdhsa_system_sgpr_workgroup_id_z 0
		.amdhsa_system_sgpr_workgroup_info 0
		.amdhsa_system_vgpr_workitem_id 0
		.amdhsa_next_free_vgpr 78
		.amdhsa_next_free_sgpr 43
		.amdhsa_accum_offset 80
		.amdhsa_reserve_vcc 1
		.amdhsa_reserve_flat_scratch 0
		.amdhsa_float_round_mode_32 0
		.amdhsa_float_round_mode_16_64 0
		.amdhsa_float_denorm_mode_32 3
		.amdhsa_float_denorm_mode_16_64 3
		.amdhsa_dx10_clamp 1
		.amdhsa_ieee_mode 1
		.amdhsa_fp16_overflow 0
		.amdhsa_tg_split 0
		.amdhsa_exception_fp_ieee_invalid_op 0
		.amdhsa_exception_fp_denorm_src 0
		.amdhsa_exception_fp_ieee_div_zero 0
		.amdhsa_exception_fp_ieee_overflow 0
		.amdhsa_exception_fp_ieee_underflow 0
		.amdhsa_exception_fp_ieee_inexact 0
		.amdhsa_exception_int_div_zero 0
	.end_amdhsa_kernel
	.section	.text._ZN2at6native12_GLOBAL__N_125multi_tensor_apply_kernelINS1_18TensorListMetadataILi3EEENS1_24PointwiseOpScalarFunctorIN3c107complexIdEELi3ELi3ELi0EEEJSt10multipliesIS8_ES8_EEEvT_T0_DpT1_,"axG",@progbits,_ZN2at6native12_GLOBAL__N_125multi_tensor_apply_kernelINS1_18TensorListMetadataILi3EEENS1_24PointwiseOpScalarFunctorIN3c107complexIdEELi3ELi3ELi0EEEJSt10multipliesIS8_ES8_EEEvT_T0_DpT1_,comdat
.Lfunc_end29:
	.size	_ZN2at6native12_GLOBAL__N_125multi_tensor_apply_kernelINS1_18TensorListMetadataILi3EEENS1_24PointwiseOpScalarFunctorIN3c107complexIdEELi3ELi3ELi0EEEJSt10multipliesIS8_ES8_EEEvT_T0_DpT1_, .Lfunc_end29-_ZN2at6native12_GLOBAL__N_125multi_tensor_apply_kernelINS1_18TensorListMetadataILi3EEENS1_24PointwiseOpScalarFunctorIN3c107complexIdEELi3ELi3ELi0EEEJSt10multipliesIS8_ES8_EEEvT_T0_DpT1_
                                        ; -- End function
	.section	.AMDGPU.csdata,"",@progbits
; Kernel info:
; codeLenInByte = 2780
; NumSgprs: 47
; NumVgprs: 78
; NumAgprs: 0
; TotalNumVgprs: 78
; ScratchSize: 0
; MemoryBound: 1
; FloatMode: 240
; IeeeMode: 1
; LDSByteSize: 0 bytes/workgroup (compile time only)
; SGPRBlocks: 5
; VGPRBlocks: 9
; NumSGPRsForWavesPerEU: 47
; NumVGPRsForWavesPerEU: 78
; AccumOffset: 80
; Occupancy: 6
; WaveLimiterHint : 0
; COMPUTE_PGM_RSRC2:SCRATCH_EN: 0
; COMPUTE_PGM_RSRC2:USER_SGPR: 6
; COMPUTE_PGM_RSRC2:TRAP_HANDLER: 0
; COMPUTE_PGM_RSRC2:TGID_X_EN: 1
; COMPUTE_PGM_RSRC2:TGID_Y_EN: 0
; COMPUTE_PGM_RSRC2:TGID_Z_EN: 0
; COMPUTE_PGM_RSRC2:TIDIG_COMP_CNT: 0
; COMPUTE_PGM_RSRC3_GFX90A:ACCUM_OFFSET: 19
; COMPUTE_PGM_RSRC3_GFX90A:TG_SPLIT: 0
	.section	.text._ZN2at6native12_GLOBAL__N_125multi_tensor_apply_kernelINS1_18TensorListMetadataILi3EEENS1_24PointwiseOpScalarFunctorIN3c107complexIfEELi3ELi3ELi0EEEJSt10multipliesIS8_ES8_EEEvT_T0_DpT1_,"axG",@progbits,_ZN2at6native12_GLOBAL__N_125multi_tensor_apply_kernelINS1_18TensorListMetadataILi3EEENS1_24PointwiseOpScalarFunctorIN3c107complexIfEELi3ELi3ELi0EEEJSt10multipliesIS8_ES8_EEEvT_T0_DpT1_,comdat
	.globl	_ZN2at6native12_GLOBAL__N_125multi_tensor_apply_kernelINS1_18TensorListMetadataILi3EEENS1_24PointwiseOpScalarFunctorIN3c107complexIfEELi3ELi3ELi0EEEJSt10multipliesIS8_ES8_EEEvT_T0_DpT1_ ; -- Begin function _ZN2at6native12_GLOBAL__N_125multi_tensor_apply_kernelINS1_18TensorListMetadataILi3EEENS1_24PointwiseOpScalarFunctorIN3c107complexIfEELi3ELi3ELi0EEEJSt10multipliesIS8_ES8_EEEvT_T0_DpT1_
	.p2align	8
	.type	_ZN2at6native12_GLOBAL__N_125multi_tensor_apply_kernelINS1_18TensorListMetadataILi3EEENS1_24PointwiseOpScalarFunctorIN3c107complexIfEELi3ELi3ELi0EEEJSt10multipliesIS8_ES8_EEEvT_T0_DpT1_,@function
_ZN2at6native12_GLOBAL__N_125multi_tensor_apply_kernelINS1_18TensorListMetadataILi3EEENS1_24PointwiseOpScalarFunctorIN3c107complexIfEELi3ELi3ELi0EEEJSt10multipliesIS8_ES8_EEEvT_T0_DpT1_: ; @_ZN2at6native12_GLOBAL__N_125multi_tensor_apply_kernelINS1_18TensorListMetadataILi3EEENS1_24PointwiseOpScalarFunctorIN3c107complexIfEELi3ELi3ELi0EEEJSt10multipliesIS8_ES8_EEEvT_T0_DpT1_
; %bb.0:
	v_mov_b32_e32 v1, s6
	global_load_ubyte v1, v1, s[4:5] offset:1536
	s_add_u32 s0, s4, s6
	s_mul_hi_u32 s1, s6, 3
	s_mul_i32 s6, s6, 3
	s_addc_u32 s2, s5, 0
	s_add_u32 s0, s0, s6
	s_addc_u32 s1, s2, s1
	s_load_dword s10, s[0:1], 0x740
	s_load_dwordx2 s[12:13], s[4:5], 0xc50
	s_mov_b32 s1, 0
	s_mov_b32 s19, s1
	s_waitcnt lgkmcnt(0)
	s_ashr_i32 s11, s10, 31
	s_lshl_b64 s[16:17], s[10:11], 19
	s_waitcnt vmcnt(0)
	v_readfirstlane_b32 s0, v1
	s_lshl_b32 s0, s0, 3
	s_load_dwordx2 s[8:9], s[4:5], s0 offset:0x0
	s_load_dwordx2 s[6:7], s[4:5], s0 offset:0x180
	;; [unrolled: 1-line block ×4, first 2 shown]
	s_waitcnt lgkmcnt(0)
	s_add_u32 s24, s8, s16
	s_addc_u32 s25, s9, s17
	s_add_u32 s26, s6, s16
	s_addc_u32 s27, s7, s17
	;; [unrolled: 2-line block ×3, first 2 shown]
	s_or_b32 s14, s28, s26
	s_and_b32 s0, s24, 31
	s_and_b32 s14, s14, 31
	s_cmp_eq_u32 s14, 0
	s_cselect_b64 s[22:23], -1, 0
	s_lshl_b64 s[10:11], s[10:11], 16
	s_sub_u32 s14, s20, s10
	s_subb_u32 s15, s21, s11
	s_and_b32 s18, s20, 3
	s_or_b64 s[0:1], s[0:1], s[18:19]
	s_cmp_eq_u64 s[0:1], 0
	s_cselect_b64 s[0:1], -1, 0
	s_and_b64 s[10:11], s[22:23], s[0:1]
	s_mov_b64 s[0:1], -1
	s_and_b64 vcc, exec, s[10:11]
	s_cbranch_vccnz .LBB30_29
; %bb.1:
	v_cmp_lt_i64_e64 s[0:1], s[14:15], 1
	s_and_b64 vcc, exec, s[0:1]
	s_cbranch_vccnz .LBB30_28
; %bb.2:
	s_load_dword s0, s[4:5], 0xc64
	v_mov_b32_e32 v2, 0x10000
	v_mov_b32_e32 v3, 0
	v_cmp_lt_u64_e32 vcc, s[14:15], v[2:3]
	v_lshlrev_b32_e32 v14, 3, v0
	s_waitcnt lgkmcnt(0)
	s_and_b32 s20, s0, 0xffff
	s_and_b64 s[0:1], vcc, exec
	v_mov_b32_e32 v19, s9
	v_add_co_u32_e32 v2, vcc, s8, v14
	v_addc_co_u32_e32 v1, vcc, 0, v19, vcc
	s_cselect_b32 s19, s15, 0
	s_cselect_b32 s18, s14, 0x10000
	s_lshl_b32 s21, s20, 1
	s_and_b32 s10, s13, 0x7fffffff
	v_mov_b32_e32 v21, s7
	v_add_co_u32_e32 v4, vcc, s6, v14
	s_cmp_eq_u32 s10, 0
	v_addc_co_u32_e32 v3, vcc, 0, v21, vcc
	v_mov_b32_e32 v15, 0
	v_cmp_eq_f32_e64 s[0:1], s12, 1.0
	s_cselect_b64 s[10:11], -1, 0
	v_mov_b32_e32 v23, s3
	v_add_co_u32_e32 v6, vcc, s2, v14
	s_and_b64 s[0:1], s[0:1], s[10:11]
	v_addc_co_u32_e32 v5, vcc, 0, v23, vcc
	v_mad_u64_u32 v[12:13], s[10:11], s20, 24, v[14:15]
	v_add_co_u32_e32 v8, vcc, s8, v12
	v_addc_co_u32_e32 v7, vcc, v19, v13, vcc
	v_add_co_u32_e32 v10, vcc, s6, v12
	v_addc_co_u32_e32 v9, vcc, v21, v13, vcc
	v_add_co_u32_e32 v12, vcc, s2, v12
	s_mul_i32 s22, s20, 3
	v_addc_co_u32_e32 v11, vcc, v23, v13, vcc
	v_add_co_u32_e32 v25, vcc, s22, v0
	s_lshl_b32 s3, s20, 4
	v_addc_co_u32_e64 v50, s[10:11], 0, 0, vcc
	v_add_co_u32_e32 v17, vcc, s3, v14
	v_addc_co_u32_e64 v20, s[10:11], 0, 0, vcc
	v_add_co_u32_e32 v14, vcc, s8, v17
	v_addc_co_u32_e32 v13, vcc, v19, v20, vcc
	v_add_co_u32_e32 v16, vcc, s6, v17
	v_addc_co_u32_e32 v15, vcc, v21, v20, vcc
	;; [unrolled: 2-line block ×3, first 2 shown]
	v_add_co_u32_e32 v51, vcc, s21, v0
	v_addc_co_u32_e64 v52, s[10:11], 0, 0, vcc
	v_add_co_u32_e32 v53, vcc, s20, v0
	v_lshlrev_b32_e32 v24, 3, v53
	v_addc_co_u32_e64 v54, s[10:11], 0, 0, vcc
	v_add_co_u32_e32 v20, vcc, s8, v24
	v_addc_co_u32_e32 v19, vcc, 0, v19, vcc
	v_add_co_u32_e32 v22, vcc, s6, v24
	v_addc_co_u32_e32 v21, vcc, 0, v21, vcc
	v_add_co_u32_e32 v24, vcc, s2, v24
	s_mov_b32 s30, 0
	s_lshl_b32 s31, s20, 2
	s_lshl_b32 s33, s20, 5
	v_addc_co_u32_e32 v23, vcc, 0, v23, vcc
	s_mov_b64 s[20:21], 0
	s_branch .LBB30_4
.LBB30_3:                               ;   in Loop: Header=BB30_4 Depth=1
	s_or_b64 exec, exec, s[2:3]
	s_add_u32 s20, s20, s31
	s_addc_u32 s21, s21, 0
	s_waitcnt vmcnt(1)
	v_pk_mov_b32 v[26:27], s[14:15], s[14:15] op_sel:[0,1]
	v_cmp_lt_i64_e32 vcc, s[20:21], v[26:27]
	v_mov_b32_e32 v26, 0x10000
	v_mov_b32_e32 v27, 0
	v_cmp_lt_u64_e64 s[2:3], s[20:21], v[26:27]
	s_and_b64 s[2:3], vcc, s[2:3]
	v_mov_b32_e32 v26, s30
	v_add_co_u32_e32 v2, vcc, s33, v2
	v_addc_co_u32_e32 v1, vcc, v1, v26, vcc
	v_add_co_u32_e32 v4, vcc, s33, v4
	v_addc_co_u32_e32 v3, vcc, v3, v26, vcc
	;; [unrolled: 2-line block ×12, first 2 shown]
	s_and_b64 vcc, exec, s[2:3]
	s_cbranch_vccz .LBB30_28
.LBB30_4:                               ; =>This Inner Loop Header: Depth=1
	v_mov_b32_e32 v27, s21
	v_add_co_u32_e32 v26, vcc, s20, v0
	v_addc_co_u32_e32 v27, vcc, 0, v27, vcc
	v_cmp_gt_u64_e32 vcc, s[18:19], v[26:27]
	s_waitcnt vmcnt(0)
	v_mov_b32_e32 v29, 0
	v_mov_b32_e32 v28, 0
	;; [unrolled: 1-line block ×4, first 2 shown]
	s_and_saveexec_b64 s[6:7], vcc
	s_cbranch_execz .LBB30_6
; %bb.5:                                ;   in Loop: Header=BB30_4 Depth=1
	v_mov_b32_e32 v29, s17
	v_add_co_u32_e64 v26, s[2:3], s16, v2
	v_addc_co_u32_e64 v27, s[2:3], v1, v29, s[2:3]
	v_add_co_u32_e64 v28, s[2:3], s16, v4
	v_addc_co_u32_e64 v29, s[2:3], v3, v29, s[2:3]
	global_load_dwordx2 v[26:27], v[26:27], off
	s_nop 0
	global_load_dwordx2 v[28:29], v[28:29], off
.LBB30_6:                               ;   in Loop: Header=BB30_4 Depth=1
	s_or_b64 exec, exec, s[6:7]
	v_mov_b32_e32 v31, 0
	v_mov_b32_e32 v35, 0
	;; [unrolled: 1-line block ×3, first 2 shown]
	s_and_saveexec_b64 s[6:7], vcc
	s_cbranch_execz .LBB30_8
; %bb.7:                                ;   in Loop: Header=BB30_4 Depth=1
	v_mov_b32_e32 v30, s17
	v_add_co_u32_e64 v32, s[2:3], s16, v6
	v_addc_co_u32_e64 v33, s[2:3], v5, v30, s[2:3]
	global_load_dwordx2 v[34:35], v[32:33], off
.LBB30_8:                               ;   in Loop: Header=BB30_4 Depth=1
	s_or_b64 exec, exec, s[6:7]
	v_mov_b32_e32 v30, s21
	v_add_co_u32_e64 v32, s[2:3], s20, v53
	v_addc_co_u32_e64 v33, s[2:3], v54, v30, s[2:3]
	v_cmp_gt_u64_e64 s[2:3], s[18:19], v[32:33]
	v_mov_b32_e32 v30, 0
	v_mov_b32_e32 v33, 0
	v_mov_b32_e32 v32, 0
	s_and_saveexec_b64 s[8:9], s[2:3]
	s_cbranch_execz .LBB30_10
; %bb.9:                                ;   in Loop: Header=BB30_4 Depth=1
	v_mov_b32_e32 v36, s17
	v_add_co_u32_e64 v30, s[6:7], s16, v20
	v_addc_co_u32_e64 v31, s[6:7], v19, v36, s[6:7]
	global_load_dwordx2 v[32:33], v[30:31], off
	v_add_co_u32_e64 v30, s[6:7], s16, v22
	v_addc_co_u32_e64 v31, s[6:7], v21, v36, s[6:7]
	global_load_dwordx2 v[30:31], v[30:31], off
.LBB30_10:                              ;   in Loop: Header=BB30_4 Depth=1
	s_or_b64 exec, exec, s[8:9]
	v_mov_b32_e32 v37, 0
	v_mov_b32_e32 v41, 0
	;; [unrolled: 1-line block ×3, first 2 shown]
	s_and_saveexec_b64 s[8:9], s[2:3]
	s_cbranch_execz .LBB30_12
; %bb.11:                               ;   in Loop: Header=BB30_4 Depth=1
	v_mov_b32_e32 v36, s17
	v_add_co_u32_e64 v38, s[6:7], s16, v24
	v_addc_co_u32_e64 v39, s[6:7], v23, v36, s[6:7]
	global_load_dwordx2 v[40:41], v[38:39], off
.LBB30_12:                              ;   in Loop: Header=BB30_4 Depth=1
	s_or_b64 exec, exec, s[8:9]
	v_mov_b32_e32 v36, s21
	v_add_co_u32_e64 v38, s[6:7], s20, v51
	v_addc_co_u32_e64 v39, s[6:7], v52, v36, s[6:7]
	v_cmp_gt_u64_e64 s[6:7], s[18:19], v[38:39]
	v_mov_b32_e32 v36, 0
	v_mov_b32_e32 v39, 0
	;; [unrolled: 1-line block ×3, first 2 shown]
	s_and_saveexec_b64 s[10:11], s[6:7]
	s_cbranch_execz .LBB30_14
; %bb.13:                               ;   in Loop: Header=BB30_4 Depth=1
	v_mov_b32_e32 v42, s17
	v_add_co_u32_e64 v36, s[8:9], s16, v14
	v_addc_co_u32_e64 v37, s[8:9], v13, v42, s[8:9]
	global_load_dwordx2 v[38:39], v[36:37], off
	v_add_co_u32_e64 v36, s[8:9], s16, v16
	v_addc_co_u32_e64 v37, s[8:9], v15, v42, s[8:9]
	global_load_dwordx2 v[36:37], v[36:37], off
.LBB30_14:                              ;   in Loop: Header=BB30_4 Depth=1
	s_or_b64 exec, exec, s[10:11]
	v_mov_b32_e32 v43, 0
	v_mov_b32_e32 v47, 0
	;; [unrolled: 1-line block ×3, first 2 shown]
	s_and_saveexec_b64 s[10:11], s[6:7]
	s_cbranch_execz .LBB30_16
; %bb.15:                               ;   in Loop: Header=BB30_4 Depth=1
	v_mov_b32_e32 v42, s17
	v_add_co_u32_e64 v44, s[8:9], s16, v18
	v_addc_co_u32_e64 v45, s[8:9], v17, v42, s[8:9]
	global_load_dwordx2 v[46:47], v[44:45], off
.LBB30_16:                              ;   in Loop: Header=BB30_4 Depth=1
	s_or_b64 exec, exec, s[10:11]
	v_mov_b32_e32 v42, s21
	v_add_co_u32_e64 v44, s[8:9], s20, v25
	v_addc_co_u32_e64 v45, s[8:9], v50, v42, s[8:9]
	v_cmp_gt_u64_e64 s[8:9], s[18:19], v[44:45]
	v_mov_b32_e32 v42, 0
	v_mov_b32_e32 v44, 0
	;; [unrolled: 1-line block ×3, first 2 shown]
	s_and_saveexec_b64 s[22:23], s[8:9]
	s_cbranch_execz .LBB30_18
; %bb.17:                               ;   in Loop: Header=BB30_4 Depth=1
	v_mov_b32_e32 v48, s17
	v_add_co_u32_e64 v42, s[10:11], s16, v8
	v_addc_co_u32_e64 v43, s[10:11], v7, v48, s[10:11]
	global_load_dwordx2 v[44:45], v[42:43], off
	v_add_co_u32_e64 v42, s[10:11], s16, v10
	v_addc_co_u32_e64 v43, s[10:11], v9, v48, s[10:11]
	global_load_dwordx2 v[42:43], v[42:43], off
.LBB30_18:                              ;   in Loop: Header=BB30_4 Depth=1
	s_or_b64 exec, exec, s[22:23]
	v_mov_b32_e32 v48, 0
	v_mov_b32_e32 v49, 0
	s_and_saveexec_b64 s[22:23], s[8:9]
	s_cbranch_execnz .LBB30_23
; %bb.19:                               ;   in Loop: Header=BB30_4 Depth=1
	s_or_b64 exec, exec, s[22:23]
	s_and_saveexec_b64 s[10:11], vcc
	s_cbranch_execnz .LBB30_24
.LBB30_20:                              ;   in Loop: Header=BB30_4 Depth=1
	s_or_b64 exec, exec, s[10:11]
	s_and_saveexec_b64 s[10:11], s[2:3]
	s_cbranch_execnz .LBB30_25
.LBB30_21:                              ;   in Loop: Header=BB30_4 Depth=1
	s_or_b64 exec, exec, s[10:11]
	s_and_saveexec_b64 s[2:3], s[6:7]
	s_cbranch_execnz .LBB30_26
.LBB30_22:                              ;   in Loop: Header=BB30_4 Depth=1
	s_or_b64 exec, exec, s[2:3]
	s_and_saveexec_b64 s[2:3], s[8:9]
	s_cbranch_execz .LBB30_3
	s_branch .LBB30_27
.LBB30_23:                              ;   in Loop: Header=BB30_4 Depth=1
	v_mov_b32_e32 v49, s17
	v_add_co_u32_e64 v48, s[10:11], s16, v12
	v_addc_co_u32_e64 v49, s[10:11], v11, v49, s[10:11]
	global_load_dwordx2 v[48:49], v[48:49], off
	s_or_b64 exec, exec, s[22:23]
	s_and_saveexec_b64 s[10:11], vcc
	s_cbranch_execz .LBB30_20
.LBB30_24:                              ;   in Loop: Header=BB30_4 Depth=1
	s_waitcnt vmcnt(0)
	v_mul_f32_e32 v55, v29, v34
	v_mul_f32_e32 v29, v29, v35
	v_fmac_f32_e32 v55, v28, v35
	v_fma_f32 v28, v28, v34, -v29
	v_mul_f32_e32 v29, s13, v28
	v_fmac_f32_e32 v29, s12, v55
	v_cndmask_b32_e64 v29, v29, v55, s[0:1]
	v_add_f32_e32 v27, v27, v29
	v_mul_f32_e32 v29, s13, v55
	v_fma_f32 v29, v28, s12, -v29
	v_cndmask_b32_e64 v28, v29, v28, s[0:1]
	v_add_f32_e32 v26, v26, v28
	v_mov_b32_e32 v29, s17
	v_add_co_u32_e32 v28, vcc, s16, v2
	v_addc_co_u32_e32 v29, vcc, v1, v29, vcc
	global_store_dwordx2 v[28:29], v[26:27], off
	s_or_b64 exec, exec, s[10:11]
	s_and_saveexec_b64 s[10:11], s[2:3]
	s_cbranch_execz .LBB30_21
.LBB30_25:                              ;   in Loop: Header=BB30_4 Depth=1
	s_waitcnt vmcnt(0)
	v_mul_f32_e32 v26, v31, v41
	v_mul_f32_e32 v27, v31, v40
	v_fma_f32 v26, v30, v40, -v26
	v_fmac_f32_e32 v27, v30, v41
	v_mul_f32_e32 v28, s13, v27
	v_mul_f32_e32 v29, s13, v26
	v_fma_f32 v28, v26, s12, -v28
	v_fmac_f32_e32 v29, s12, v27
	v_cndmask_b32_e64 v26, v28, v26, s[0:1]
	v_cndmask_b32_e64 v27, v29, v27, s[0:1]
	v_mov_b32_e32 v29, s17
	v_add_co_u32_e32 v28, vcc, s16, v20
	v_add_f32_e32 v26, v32, v26
	v_add_f32_e32 v27, v33, v27
	v_addc_co_u32_e32 v29, vcc, v19, v29, vcc
	global_store_dwordx2 v[28:29], v[26:27], off
	s_or_b64 exec, exec, s[10:11]
	s_and_saveexec_b64 s[2:3], s[6:7]
	s_cbranch_execz .LBB30_22
.LBB30_26:                              ;   in Loop: Header=BB30_4 Depth=1
	s_waitcnt vmcnt(0)
	v_mul_f32_e32 v26, v37, v47
	v_mul_f32_e32 v27, v37, v46
	v_fma_f32 v26, v36, v46, -v26
	v_fmac_f32_e32 v27, v36, v47
	v_mul_f32_e32 v28, s13, v27
	v_mul_f32_e32 v29, s13, v26
	v_fma_f32 v28, v26, s12, -v28
	v_fmac_f32_e32 v29, s12, v27
	v_cndmask_b32_e64 v26, v28, v26, s[0:1]
	v_cndmask_b32_e64 v27, v29, v27, s[0:1]
	v_mov_b32_e32 v29, s17
	v_add_co_u32_e32 v28, vcc, s16, v14
	v_add_f32_e32 v26, v38, v26
	v_add_f32_e32 v27, v39, v27
	v_addc_co_u32_e32 v29, vcc, v13, v29, vcc
	global_store_dwordx2 v[28:29], v[26:27], off
	s_or_b64 exec, exec, s[2:3]
	s_and_saveexec_b64 s[2:3], s[8:9]
	s_cbranch_execz .LBB30_3
.LBB30_27:                              ;   in Loop: Header=BB30_4 Depth=1
	s_waitcnt vmcnt(0)
	v_mov_b32_e32 v26, v43
	v_pk_mul_f32 v[26:27], v[26:27], v[48:49] op_sel_hi:[0,1]
	v_pk_fma_f32 v[28:29], v[42:43], v[48:49], v[26:27] op_sel:[0,0,1] op_sel_hi:[0,1,0] neg_lo:[0,0,1] neg_hi:[0,0,1]
	v_pk_fma_f32 v[26:27], v[42:43], v[48:49], v[26:27] op_sel:[0,0,1] op_sel_hi:[0,1,0]
	v_pk_mul_f32 v[30:31], v[26:27], s[12:13] op_sel:[1,0]
	v_pk_fma_f32 v[32:33], v[28:29], s[12:13], v[30:31] op_sel:[0,0,1] op_sel_hi:[1,1,0] neg_lo:[0,0,1] neg_hi:[0,0,1]
	v_pk_fma_f32 v[30:31], v[28:29], s[12:13], v[30:31] op_sel:[0,0,1] op_sel_hi:[0,1,0]
	v_cndmask_b32_e64 v27, v31, v27, s[0:1]
	v_cndmask_b32_e64 v26, v32, v28, s[0:1]
	v_mov_b32_e32 v29, s17
	v_add_co_u32_e32 v28, vcc, s16, v8
	v_pk_add_f32 v[26:27], v[44:45], v[26:27]
	v_addc_co_u32_e32 v29, vcc, v7, v29, vcc
	global_store_dwordx2 v[28:29], v[26:27], off
	s_branch .LBB30_3
.LBB30_28:
	s_mov_b64 s[0:1], 0
.LBB30_29:
	s_andn2_b64 vcc, exec, s[0:1]
	s_cbranch_vccnz .LBB30_33
; %bb.30:
	v_mov_b32_e32 v3, 0
	v_lshlrev_b32_e32 v2, 2, v0
	s_mov_b32 s0, 0
	v_cmp_gt_i64_e32 vcc, s[14:15], v[2:3]
	s_and_saveexec_b64 s[2:3], vcc
	s_cbranch_execz .LBB30_33
; %bb.31:
	s_load_dword s1, s[4:5], 0xc64
	s_and_b32 s4, s13, 0x7fffffff
	s_cmp_eq_u32 s4, 0
	v_cmp_eq_f32_e64 s[2:3], s12, 1.0
	s_cselect_b64 s[4:5], -1, 0
	s_waitcnt lgkmcnt(0)
	s_and_b32 s1, s1, 0xffff
	s_and_b64 vcc, s[2:3], s[4:5]
	v_add_lshl_u32 v2, v0, s1, 2
	s_lshl_b32 s10, s1, 2
	v_lshlrev_b32_e32 v0, 5, v0
	s_lshl_b32 s11, s1, 5
	s_mov_b64 s[6:7], 0
	s_mov_b64 s[8:9], 0xffff
	v_mov_b32_e32 v1, s0
.LBB30_32:                              ; =>This Inner Loop Header: Depth=1
	v_mov_b32_e32 v5, s27
	s_waitcnt vmcnt(0)
	v_add_co_u32_e64 v28, s[0:1], s26, v0
	v_mov_b32_e32 v4, s25
	v_mov_b32_e32 v6, s29
	v_add_co_u32_e64 v30, s[2:3], s28, v0
	v_add_co_u32_e64 v32, s[4:5], s24, v0
	v_addc_co_u32_e64 v29, s[0:1], 0, v5, s[0:1]
	v_addc_co_u32_e64 v33, s[4:5], 0, v4, s[4:5]
	;; [unrolled: 1-line block ×3, first 2 shown]
	global_load_dwordx4 v[4:7], v[28:29], off
	global_load_dwordx4 v[8:11], v[30:31], off
	global_load_dwordx4 v[12:15], v[28:29], off offset:16
	global_load_dwordx4 v[16:19], v[30:31], off offset:16
	global_load_dwordx4 v[20:23], v[32:33], off
	global_load_dwordx4 v[24:27], v[32:33], off offset:16
	v_cmp_le_i64_e64 s[0:1], s[14:15], v[2:3]
	v_cmp_lt_u64_e64 s[2:3], s[8:9], v[2:3]
	s_or_b64 s[0:1], s[0:1], s[2:3]
	s_add_u32 s24, s24, s11
	s_addc_u32 s25, s25, 0
	s_add_u32 s28, s28, s11
	s_addc_u32 s29, s29, 0
	;; [unrolled: 2-line block ×3, first 2 shown]
	v_add_co_u32_e64 v2, s[4:5], s10, v2
	s_and_b64 s[0:1], exec, s[0:1]
	v_addc_co_u32_e64 v3, s[4:5], v3, v1, s[4:5]
	s_or_b64 s[6:7], s[0:1], s[6:7]
	s_waitcnt vmcnt(4)
	v_mul_f32_e32 v28, v5, v9
	v_mul_f32_e32 v9, v4, v9
	;; [unrolled: 1-line block ×4, first 2 shown]
	s_waitcnt vmcnt(2)
	v_mul_f32_e32 v30, v13, v17
	v_mul_f32_e32 v17, v12, v17
	;; [unrolled: 1-line block ×4, first 2 shown]
	v_fma_f32 v4, v4, v8, -v28
	v_fmac_f32_e32 v9, v5, v8
	v_fma_f32 v5, v6, v10, -v29
	v_fmac_f32_e32 v11, v7, v10
	v_fma_f32 v6, v12, v16, -v30
	v_fmac_f32_e32 v17, v13, v16
	v_fma_f32 v7, v14, v18, -v31
	v_fmac_f32_e32 v19, v15, v18
	v_mul_f32_e32 v8, s13, v9
	v_mul_f32_e32 v10, s13, v4
	;; [unrolled: 1-line block ×8, first 2 shown]
	v_fma_f32 v8, v4, s12, -v8
	v_fmac_f32_e32 v10, s12, v9
	v_fma_f32 v12, v5, s12, -v12
	v_fmac_f32_e32 v13, s12, v11
	;; [unrolled: 2-line block ×4, first 2 shown]
	v_cndmask_b32_e32 v4, v8, v4, vcc
	v_cndmask_b32_e32 v8, v10, v9, vcc
	v_cndmask_b32_e32 v9, v12, v5, vcc
	v_cndmask_b32_e32 v10, v13, v11, vcc
	v_cndmask_b32_e32 v11, v14, v6, vcc
	v_cndmask_b32_e32 v12, v15, v17, vcc
	v_cndmask_b32_e32 v13, v16, v7, vcc
	v_cndmask_b32_e32 v14, v18, v19, vcc
	s_waitcnt vmcnt(1)
	v_add_f32_e32 v4, v20, v4
	v_add_f32_e32 v5, v21, v8
	;; [unrolled: 1-line block ×4, first 2 shown]
	s_waitcnt vmcnt(0)
	v_add_f32_e32 v8, v24, v11
	v_add_f32_e32 v9, v25, v12
	v_add_f32_e32 v10, v26, v13
	v_add_f32_e32 v11, v27, v14
	global_store_dwordx4 v[32:33], v[4:7], off
	global_store_dwordx4 v[32:33], v[8:11], off offset:16
	s_andn2_b64 exec, exec, s[6:7]
	s_cbranch_execnz .LBB30_32
.LBB30_33:
	s_endpgm
	.section	.rodata,"a",@progbits
	.p2align	6, 0x0
	.amdhsa_kernel _ZN2at6native12_GLOBAL__N_125multi_tensor_apply_kernelINS1_18TensorListMetadataILi3EEENS1_24PointwiseOpScalarFunctorIN3c107complexIfEELi3ELi3ELi0EEEJSt10multipliesIS8_ES8_EEEvT_T0_DpT1_
		.amdhsa_group_segment_fixed_size 0
		.amdhsa_private_segment_fixed_size 0
		.amdhsa_kernarg_size 3416
		.amdhsa_user_sgpr_count 6
		.amdhsa_user_sgpr_private_segment_buffer 1
		.amdhsa_user_sgpr_dispatch_ptr 0
		.amdhsa_user_sgpr_queue_ptr 0
		.amdhsa_user_sgpr_kernarg_segment_ptr 1
		.amdhsa_user_sgpr_dispatch_id 0
		.amdhsa_user_sgpr_flat_scratch_init 0
		.amdhsa_user_sgpr_kernarg_preload_length 0
		.amdhsa_user_sgpr_kernarg_preload_offset 0
		.amdhsa_user_sgpr_private_segment_size 0
		.amdhsa_uses_dynamic_stack 0
		.amdhsa_system_sgpr_private_segment_wavefront_offset 0
		.amdhsa_system_sgpr_workgroup_id_x 1
		.amdhsa_system_sgpr_workgroup_id_y 0
		.amdhsa_system_sgpr_workgroup_id_z 0
		.amdhsa_system_sgpr_workgroup_info 0
		.amdhsa_system_vgpr_workitem_id 0
		.amdhsa_next_free_vgpr 56
		.amdhsa_next_free_sgpr 34
		.amdhsa_accum_offset 56
		.amdhsa_reserve_vcc 1
		.amdhsa_reserve_flat_scratch 0
		.amdhsa_float_round_mode_32 0
		.amdhsa_float_round_mode_16_64 0
		.amdhsa_float_denorm_mode_32 3
		.amdhsa_float_denorm_mode_16_64 3
		.amdhsa_dx10_clamp 1
		.amdhsa_ieee_mode 1
		.amdhsa_fp16_overflow 0
		.amdhsa_tg_split 0
		.amdhsa_exception_fp_ieee_invalid_op 0
		.amdhsa_exception_fp_denorm_src 0
		.amdhsa_exception_fp_ieee_div_zero 0
		.amdhsa_exception_fp_ieee_overflow 0
		.amdhsa_exception_fp_ieee_underflow 0
		.amdhsa_exception_fp_ieee_inexact 0
		.amdhsa_exception_int_div_zero 0
	.end_amdhsa_kernel
	.section	.text._ZN2at6native12_GLOBAL__N_125multi_tensor_apply_kernelINS1_18TensorListMetadataILi3EEENS1_24PointwiseOpScalarFunctorIN3c107complexIfEELi3ELi3ELi0EEEJSt10multipliesIS8_ES8_EEEvT_T0_DpT1_,"axG",@progbits,_ZN2at6native12_GLOBAL__N_125multi_tensor_apply_kernelINS1_18TensorListMetadataILi3EEENS1_24PointwiseOpScalarFunctorIN3c107complexIfEELi3ELi3ELi0EEEJSt10multipliesIS8_ES8_EEEvT_T0_DpT1_,comdat
.Lfunc_end30:
	.size	_ZN2at6native12_GLOBAL__N_125multi_tensor_apply_kernelINS1_18TensorListMetadataILi3EEENS1_24PointwiseOpScalarFunctorIN3c107complexIfEELi3ELi3ELi0EEEJSt10multipliesIS8_ES8_EEEvT_T0_DpT1_, .Lfunc_end30-_ZN2at6native12_GLOBAL__N_125multi_tensor_apply_kernelINS1_18TensorListMetadataILi3EEENS1_24PointwiseOpScalarFunctorIN3c107complexIfEELi3ELi3ELi0EEEJSt10multipliesIS8_ES8_EEEvT_T0_DpT1_
                                        ; -- End function
	.section	.AMDGPU.csdata,"",@progbits
; Kernel info:
; codeLenInByte = 2324
; NumSgprs: 38
; NumVgprs: 56
; NumAgprs: 0
; TotalNumVgprs: 56
; ScratchSize: 0
; MemoryBound: 0
; FloatMode: 240
; IeeeMode: 1
; LDSByteSize: 0 bytes/workgroup (compile time only)
; SGPRBlocks: 4
; VGPRBlocks: 6
; NumSGPRsForWavesPerEU: 38
; NumVGPRsForWavesPerEU: 56
; AccumOffset: 56
; Occupancy: 8
; WaveLimiterHint : 0
; COMPUTE_PGM_RSRC2:SCRATCH_EN: 0
; COMPUTE_PGM_RSRC2:USER_SGPR: 6
; COMPUTE_PGM_RSRC2:TRAP_HANDLER: 0
; COMPUTE_PGM_RSRC2:TGID_X_EN: 1
; COMPUTE_PGM_RSRC2:TGID_Y_EN: 0
; COMPUTE_PGM_RSRC2:TGID_Z_EN: 0
; COMPUTE_PGM_RSRC2:TIDIG_COMP_CNT: 0
; COMPUTE_PGM_RSRC3_GFX90A:ACCUM_OFFSET: 13
; COMPUTE_PGM_RSRC3_GFX90A:TG_SPLIT: 0
	.section	.text._ZN2at6native12_GLOBAL__N_125multi_tensor_apply_kernelINS1_18TensorListMetadataILi3EEENS1_24PointwiseOpScalarFunctorIN3c104HalfELi3ELi3ELi0EEEJSt10multipliesIfEfEEEvT_T0_DpT1_,"axG",@progbits,_ZN2at6native12_GLOBAL__N_125multi_tensor_apply_kernelINS1_18TensorListMetadataILi3EEENS1_24PointwiseOpScalarFunctorIN3c104HalfELi3ELi3ELi0EEEJSt10multipliesIfEfEEEvT_T0_DpT1_,comdat
	.globl	_ZN2at6native12_GLOBAL__N_125multi_tensor_apply_kernelINS1_18TensorListMetadataILi3EEENS1_24PointwiseOpScalarFunctorIN3c104HalfELi3ELi3ELi0EEEJSt10multipliesIfEfEEEvT_T0_DpT1_ ; -- Begin function _ZN2at6native12_GLOBAL__N_125multi_tensor_apply_kernelINS1_18TensorListMetadataILi3EEENS1_24PointwiseOpScalarFunctorIN3c104HalfELi3ELi3ELi0EEEJSt10multipliesIfEfEEEvT_T0_DpT1_
	.p2align	8
	.type	_ZN2at6native12_GLOBAL__N_125multi_tensor_apply_kernelINS1_18TensorListMetadataILi3EEENS1_24PointwiseOpScalarFunctorIN3c104HalfELi3ELi3ELi0EEEJSt10multipliesIfEfEEEvT_T0_DpT1_,@function
_ZN2at6native12_GLOBAL__N_125multi_tensor_apply_kernelINS1_18TensorListMetadataILi3EEENS1_24PointwiseOpScalarFunctorIN3c104HalfELi3ELi3ELi0EEEJSt10multipliesIfEfEEEvT_T0_DpT1_: ; @_ZN2at6native12_GLOBAL__N_125multi_tensor_apply_kernelINS1_18TensorListMetadataILi3EEENS1_24PointwiseOpScalarFunctorIN3c104HalfELi3ELi3ELi0EEEJSt10multipliesIfEfEEEvT_T0_DpT1_
; %bb.0:
	v_mov_b32_e32 v1, s6
	global_load_ubyte v1, v1, s[4:5] offset:1536
	s_add_u32 s0, s4, s6
	s_mul_hi_u32 s1, s6, 3
	s_mul_i32 s6, s6, 3
	s_addc_u32 s2, s5, 0
	s_add_u32 s0, s0, s6
	s_addc_u32 s1, s2, s1
	s_load_dword s8, s[0:1], 0x740
	s_load_dword s24, s[4:5], 0xc4c
	s_mov_b32 s11, 0
	s_mov_b32 s17, s11
	s_waitcnt lgkmcnt(0)
	s_ashr_i32 s9, s8, 31
	s_lshl_b64 s[14:15], s[8:9], 17
	s_waitcnt vmcnt(0)
	v_readfirstlane_b32 s0, v1
	s_lshl_b32 s10, s0, 3
	s_load_dwordx2 s[6:7], s[4:5], s10 offset:0x0
	s_load_dwordx2 s[2:3], s[4:5], s10 offset:0x180
	;; [unrolled: 1-line block ×4, first 2 shown]
	s_waitcnt lgkmcnt(0)
	s_add_u32 s25, s6, s14
	s_addc_u32 s26, s7, s15
	s_and_b32 s10, s25, 7
	s_add_u32 s27, s2, s14
	s_addc_u32 s28, s3, s15
	s_add_u32 s29, s0, s14
	s_addc_u32 s30, s1, s15
	s_or_b32 s12, s29, s27
	s_and_b32 s12, s12, 7
	s_cmp_eq_u32 s12, 0
	s_cselect_b64 s[20:21], -1, 0
	s_lshl_b64 s[8:9], s[8:9], 16
	s_sub_u32 s12, s18, s8
	s_subb_u32 s13, s19, s9
	s_and_b32 s16, s18, 3
	s_or_b64 s[8:9], s[10:11], s[16:17]
	s_cmp_eq_u64 s[8:9], 0
	s_cselect_b64 s[8:9], -1, 0
	s_and_b64 s[10:11], s[20:21], s[8:9]
	s_mov_b64 s[8:9], -1
	s_and_b64 vcc, exec, s[10:11]
	s_cbranch_vccnz .LBB31_45
; %bb.1:
	v_cmp_lt_i64_e64 s[8:9], s[12:13], 1
	s_and_b64 vcc, exec, s[8:9]
	s_cbranch_vccnz .LBB31_44
; %bb.2:
	s_load_dword s8, s[4:5], 0xc5c
	v_mov_b32_e32 v2, 0x10000
	v_mov_b32_e32 v3, 0
	v_cmp_lt_u64_e32 vcc, s[12:13], v[2:3]
	v_lshlrev_b32_e32 v14, 1, v0
	s_waitcnt lgkmcnt(0)
	s_and_b32 s10, s8, 0xffff
	s_and_b64 s[8:9], vcc, exec
	v_mov_b32_e32 v19, s7
	v_add_co_u32_e32 v2, vcc, s6, v14
	v_addc_co_u32_e32 v1, vcc, 0, v19, vcc
	v_mov_b32_e32 v21, s3
	v_add_co_u32_e32 v4, vcc, s2, v14
	v_addc_co_u32_e32 v3, vcc, 0, v21, vcc
	v_mov_b32_e32 v15, 0
	v_mov_b32_e32 v23, s1
	v_add_co_u32_e32 v6, vcc, s0, v14
	v_addc_co_u32_e32 v5, vcc, 0, v23, vcc
	v_mad_u64_u32 v[12:13], s[8:9], s10, 6, v[14:15]
	v_add_co_u32_e32 v8, vcc, s6, v12
	v_addc_co_u32_e32 v7, vcc, v19, v13, vcc
	v_add_co_u32_e32 v10, vcc, s2, v12
	v_addc_co_u32_e32 v9, vcc, v21, v13, vcc
	v_add_co_u32_e32 v12, vcc, s0, v12
	s_mul_i32 s20, s10, 3
	v_addc_co_u32_e32 v11, vcc, v23, v13, vcc
	s_cselect_b32 s17, s13, 0
	s_cselect_b32 s16, s12, 0x10000
	s_lshl_b32 s33, s10, 2
	v_add_co_u32_e32 v25, vcc, s20, v0
	v_addc_co_u32_e64 v26, s[8:9], 0, 0, vcc
	v_add_co_u32_e32 v17, vcc, s33, v14
	v_addc_co_u32_e64 v20, s[8:9], 0, 0, vcc
	v_add_co_u32_e32 v14, vcc, s6, v17
	v_addc_co_u32_e32 v13, vcc, v19, v20, vcc
	v_add_co_u32_e32 v16, vcc, s2, v17
	v_addc_co_u32_e32 v15, vcc, v21, v20, vcc
	v_add_co_u32_e32 v18, vcc, s0, v17
	s_lshl_b32 s11, s10, 1
	v_addc_co_u32_e32 v17, vcc, v23, v20, vcc
	v_add_co_u32_e32 v27, vcc, s11, v0
	v_addc_co_u32_e64 v28, s[8:9], 0, 0, vcc
	v_add_co_u32_e32 v29, vcc, s10, v0
	v_lshlrev_b32_e32 v24, 1, v29
	v_addc_co_u32_e64 v30, s[8:9], 0, 0, vcc
	v_add_co_u32_e32 v20, vcc, s6, v24
	v_addc_co_u32_e32 v19, vcc, 0, v19, vcc
	v_add_co_u32_e32 v22, vcc, s2, v24
	v_addc_co_u32_e32 v21, vcc, 0, v21, vcc
	v_add_co_u32_e32 v24, vcc, s0, v24
	s_mov_b32 s31, 0
	v_cmp_neq_f32_e64 s[18:19], s24, 1.0
	s_lshl_b32 s34, s10, 3
	v_addc_co_u32_e32 v23, vcc, 0, v23, vcc
	s_mov_b64 s[20:21], 0
	s_branch .LBB31_4
.LBB31_3:                               ;   in Loop: Header=BB31_4 Depth=1
	s_or_b64 exec, exec, s[0:1]
	s_add_u32 s20, s20, s33
	s_addc_u32 s21, s21, 0
	v_pk_mov_b32 v[32:33], s[12:13], s[12:13] op_sel:[0,1]
	v_cmp_ge_i64_e32 vcc, s[20:21], v[32:33]
	v_mov_b32_e32 v32, 0xffff
	v_mov_b32_e32 v33, 0
	v_cmp_gt_u64_e64 s[0:1], s[20:21], v[32:33]
	s_or_b64 s[0:1], vcc, s[0:1]
	v_mov_b32_e32 v31, s31
	v_add_co_u32_e32 v2, vcc, s34, v2
	v_addc_co_u32_e32 v1, vcc, v1, v31, vcc
	v_add_co_u32_e32 v4, vcc, s34, v4
	v_addc_co_u32_e32 v3, vcc, v3, v31, vcc
	;; [unrolled: 2-line block ×12, first 2 shown]
	s_and_b64 vcc, exec, s[0:1]
	s_cbranch_vccnz .LBB31_44
.LBB31_4:                               ; =>This Inner Loop Header: Depth=1
	v_mov_b32_e32 v31, s21
	v_add_co_u32_e32 v32, vcc, s20, v0
	v_addc_co_u32_e32 v33, vcc, 0, v31, vcc
	v_cmp_gt_u64_e64 s[0:1], s[16:17], v[32:33]
	v_mov_b32_e32 v32, 0
	v_mov_b32_e32 v33, 0
	s_and_saveexec_b64 s[2:3], s[0:1]
	s_cbranch_execz .LBB31_6
; %bb.5:                                ;   in Loop: Header=BB31_4 Depth=1
	v_mov_b32_e32 v31, s15
	v_add_co_u32_e32 v34, vcc, s14, v2
	v_addc_co_u32_e32 v35, vcc, v1, v31, vcc
	v_add_co_u32_e32 v36, vcc, s14, v4
	v_addc_co_u32_e32 v37, vcc, v3, v31, vcc
	global_load_ushort v32, v[34:35], off
	global_load_ushort v33, v[36:37], off
.LBB31_6:                               ;   in Loop: Header=BB31_4 Depth=1
	s_or_b64 exec, exec, s[2:3]
	v_mov_b32_e32 v31, 0
	v_mov_b32_e32 v36, 0
	s_and_saveexec_b64 s[2:3], s[0:1]
	s_cbranch_execz .LBB31_8
; %bb.7:                                ;   in Loop: Header=BB31_4 Depth=1
	v_mov_b32_e32 v35, s15
	v_add_co_u32_e32 v34, vcc, s14, v6
	v_addc_co_u32_e32 v35, vcc, v5, v35, vcc
	global_load_ushort v36, v[34:35], off
.LBB31_8:                               ;   in Loop: Header=BB31_4 Depth=1
	s_or_b64 exec, exec, s[2:3]
	v_mov_b32_e32 v35, s21
	v_add_co_u32_e32 v34, vcc, s20, v29
	v_addc_co_u32_e32 v35, vcc, v30, v35, vcc
	v_cmp_gt_u64_e64 s[2:3], s[16:17], v[34:35]
	v_mov_b32_e32 v35, 0
	s_and_saveexec_b64 s[6:7], s[2:3]
	s_cbranch_execz .LBB31_10
; %bb.9:                                ;   in Loop: Header=BB31_4 Depth=1
	v_mov_b32_e32 v31, s15
	v_add_co_u32_e32 v38, vcc, s14, v20
	v_addc_co_u32_e32 v39, vcc, v19, v31, vcc
	v_add_co_u32_e32 v40, vcc, s14, v22
	v_addc_co_u32_e32 v41, vcc, v21, v31, vcc
	global_load_ushort v31, v[38:39], off
	global_load_ushort v35, v[40:41], off
.LBB31_10:                              ;   in Loop: Header=BB31_4 Depth=1
	s_or_b64 exec, exec, s[6:7]
	v_mov_b32_e32 v34, 0
	v_mov_b32_e32 v39, 0
	s_and_saveexec_b64 s[6:7], s[2:3]
	s_cbranch_execz .LBB31_12
; %bb.11:                               ;   in Loop: Header=BB31_4 Depth=1
	v_mov_b32_e32 v37, s15
	v_add_co_u32_e32 v38, vcc, s14, v24
	v_addc_co_u32_e32 v39, vcc, v23, v37, vcc
	global_load_ushort v39, v[38:39], off
.LBB31_12:                              ;   in Loop: Header=BB31_4 Depth=1
	s_or_b64 exec, exec, s[6:7]
	v_mov_b32_e32 v37, s21
	v_add_co_u32_e32 v40, vcc, s20, v27
	v_addc_co_u32_e32 v41, vcc, v28, v37, vcc
	v_cmp_gt_u64_e64 s[6:7], s[16:17], v[40:41]
	v_mov_b32_e32 v38, 0
	s_and_saveexec_b64 s[8:9], s[6:7]
	s_cbranch_execz .LBB31_14
; %bb.13:                               ;   in Loop: Header=BB31_4 Depth=1
	v_mov_b32_e32 v34, s15
	v_add_co_u32_e32 v40, vcc, s14, v14
	v_addc_co_u32_e32 v41, vcc, v13, v34, vcc
	v_add_co_u32_e32 v42, vcc, s14, v16
	v_addc_co_u32_e32 v43, vcc, v15, v34, vcc
	global_load_ushort v34, v[40:41], off
	global_load_ushort v38, v[42:43], off
.LBB31_14:                              ;   in Loop: Header=BB31_4 Depth=1
	s_or_b64 exec, exec, s[8:9]
	v_mov_b32_e32 v37, 0
	v_mov_b32_e32 v40, 0
	s_and_saveexec_b64 s[8:9], s[6:7]
	s_cbranch_execz .LBB31_16
; %bb.15:                               ;   in Loop: Header=BB31_4 Depth=1
	v_mov_b32_e32 v41, s15
	v_add_co_u32_e32 v40, vcc, s14, v18
	v_addc_co_u32_e32 v41, vcc, v17, v41, vcc
	global_load_ushort v40, v[40:41], off
.LBB31_16:                              ;   in Loop: Header=BB31_4 Depth=1
	s_or_b64 exec, exec, s[8:9]
	v_mov_b32_e32 v41, s21
	v_add_co_u32_e32 v42, vcc, s20, v25
	v_addc_co_u32_e32 v43, vcc, v26, v41, vcc
	v_cmp_gt_u64_e64 s[8:9], s[16:17], v[42:43]
	v_mov_b32_e32 v41, 0
	s_and_saveexec_b64 s[10:11], s[8:9]
	s_cbranch_execz .LBB31_18
; %bb.17:                               ;   in Loop: Header=BB31_4 Depth=1
	v_mov_b32_e32 v37, s15
	v_add_co_u32_e32 v42, vcc, s14, v8
	v_addc_co_u32_e32 v43, vcc, v7, v37, vcc
	v_add_co_u32_e32 v44, vcc, s14, v10
	v_addc_co_u32_e32 v45, vcc, v9, v37, vcc
	global_load_ushort v37, v[42:43], off
	global_load_ushort v41, v[44:45], off
.LBB31_18:                              ;   in Loop: Header=BB31_4 Depth=1
	s_or_b64 exec, exec, s[10:11]
	v_mov_b32_e32 v42, 0
	s_and_saveexec_b64 s[10:11], s[8:9]
	s_cbranch_execz .LBB31_20
; %bb.19:                               ;   in Loop: Header=BB31_4 Depth=1
	v_mov_b32_e32 v43, s15
	v_add_co_u32_e32 v42, vcc, s14, v12
	v_addc_co_u32_e32 v43, vcc, v11, v43, vcc
	global_load_ushort v42, v[42:43], off
.LBB31_20:                              ;   in Loop: Header=BB31_4 Depth=1
	s_or_b64 exec, exec, s[10:11]
	s_waitcnt vmcnt(1)
	v_cvt_f32_f16_e32 v43, v32
	s_waitcnt vmcnt(0)
	v_cvt_f32_f16_e32 v33, v33
	v_cvt_f32_f16_e32 v36, v36
	s_and_b64 vcc, exec, s[18:19]
	s_cbranch_vccz .LBB31_40
; %bb.21:                               ;   in Loop: Header=BB31_4 Depth=1
	v_mul_f32_e32 v32, v33, v36
	v_fma_f32 v32, s24, v32, v43
	s_cbranch_execnz .LBB31_23
.LBB31_22:                              ;   in Loop: Header=BB31_4 Depth=1
	v_fmac_f32_e32 v43, v33, v36
	v_mov_b32_e32 v32, v43
.LBB31_23:                              ;   in Loop: Header=BB31_4 Depth=1
	v_cvt_f32_f16_e32 v33, v31
	v_cvt_f32_f16_e32 v35, v35
	;; [unrolled: 1-line block ×3, first 2 shown]
	v_cndmask_b32_e64 v31, 0, 1, s[18:19]
	v_cmp_ne_u32_e64 s[10:11], 1, v31
	s_andn2_b64 vcc, exec, s[18:19]
	s_cbranch_vccnz .LBB31_41
; %bb.24:                               ;   in Loop: Header=BB31_4 Depth=1
	v_mul_f32_e32 v31, v35, v36
	v_fma_f32 v31, s24, v31, v33
	s_cbranch_execnz .LBB31_26
.LBB31_25:                              ;   in Loop: Header=BB31_4 Depth=1
	v_fmac_f32_e32 v33, v35, v36
	v_mov_b32_e32 v31, v33
.LBB31_26:                              ;   in Loop: Header=BB31_4 Depth=1
	v_cvt_f32_f16_e32 v34, v34
	v_cvt_f32_f16_e32 v35, v38
	;; [unrolled: 1-line block ×3, first 2 shown]
	s_and_b64 vcc, exec, s[10:11]
	s_cbranch_vccnz .LBB31_42
; %bb.27:                               ;   in Loop: Header=BB31_4 Depth=1
	v_mul_f32_e32 v33, v35, v36
	v_fma_f32 v33, s24, v33, v34
	s_cbranch_execnz .LBB31_29
.LBB31_28:                              ;   in Loop: Header=BB31_4 Depth=1
	v_fmac_f32_e32 v34, v35, v36
	v_mov_b32_e32 v33, v34
.LBB31_29:                              ;   in Loop: Header=BB31_4 Depth=1
	v_cvt_f32_f16_e32 v35, v37
	v_cvt_f32_f16_e32 v36, v41
	;; [unrolled: 1-line block ×3, first 2 shown]
	s_and_b64 vcc, exec, s[10:11]
	s_cbranch_vccnz .LBB31_43
; %bb.30:                               ;   in Loop: Header=BB31_4 Depth=1
	v_mul_f32_e32 v34, v36, v37
	v_fma_f32 v34, s24, v34, v35
	s_cbranch_execnz .LBB31_32
.LBB31_31:                              ;   in Loop: Header=BB31_4 Depth=1
	v_fmac_f32_e32 v35, v36, v37
	v_mov_b32_e32 v34, v35
.LBB31_32:                              ;   in Loop: Header=BB31_4 Depth=1
	s_and_saveexec_b64 s[10:11], s[0:1]
	s_xor_b64 s[0:1], exec, s[10:11]
	s_cbranch_execnz .LBB31_36
; %bb.33:                               ;   in Loop: Header=BB31_4 Depth=1
	s_or_b64 exec, exec, s[0:1]
	s_and_saveexec_b64 s[0:1], s[2:3]
	s_cbranch_execnz .LBB31_37
.LBB31_34:                              ;   in Loop: Header=BB31_4 Depth=1
	s_or_b64 exec, exec, s[0:1]
	s_and_saveexec_b64 s[0:1], s[6:7]
	s_cbranch_execnz .LBB31_38
.LBB31_35:                              ;   in Loop: Header=BB31_4 Depth=1
	s_or_b64 exec, exec, s[0:1]
	s_and_saveexec_b64 s[0:1], s[8:9]
	s_cbranch_execz .LBB31_3
	s_branch .LBB31_39
.LBB31_36:                              ;   in Loop: Header=BB31_4 Depth=1
	v_cvt_f16_f32_e32 v32, v32
	v_mov_b32_e32 v35, s15
	v_add_co_u32_e32 v36, vcc, s14, v2
	v_addc_co_u32_e32 v37, vcc, v1, v35, vcc
	global_store_short v[36:37], v32, off
	s_or_b64 exec, exec, s[0:1]
	s_and_saveexec_b64 s[0:1], s[2:3]
	s_cbranch_execz .LBB31_34
.LBB31_37:                              ;   in Loop: Header=BB31_4 Depth=1
	v_cvt_f16_f32_e32 v31, v31
	v_mov_b32_e32 v32, s15
	v_add_co_u32_e32 v36, vcc, s14, v20
	v_addc_co_u32_e32 v37, vcc, v19, v32, vcc
	global_store_short v[36:37], v31, off
	s_or_b64 exec, exec, s[0:1]
	s_and_saveexec_b64 s[0:1], s[6:7]
	s_cbranch_execz .LBB31_35
.LBB31_38:                              ;   in Loop: Header=BB31_4 Depth=1
	v_cvt_f16_f32_e32 v31, v33
	v_mov_b32_e32 v33, s15
	v_add_co_u32_e32 v32, vcc, s14, v14
	v_addc_co_u32_e32 v33, vcc, v13, v33, vcc
	global_store_short v[32:33], v31, off
	s_or_b64 exec, exec, s[0:1]
	s_and_saveexec_b64 s[0:1], s[8:9]
	s_cbranch_execz .LBB31_3
.LBB31_39:                              ;   in Loop: Header=BB31_4 Depth=1
	v_cvt_f16_f32_e32 v31, v34
	v_mov_b32_e32 v33, s15
	v_add_co_u32_e32 v32, vcc, s14, v8
	v_addc_co_u32_e32 v33, vcc, v7, v33, vcc
	global_store_short v[32:33], v31, off
	s_branch .LBB31_3
.LBB31_40:                              ;   in Loop: Header=BB31_4 Depth=1
                                        ; implicit-def: $vgpr32
	s_branch .LBB31_22
.LBB31_41:                              ;   in Loop: Header=BB31_4 Depth=1
                                        ; implicit-def: $vgpr31
	s_branch .LBB31_25
.LBB31_42:                              ;   in Loop: Header=BB31_4 Depth=1
                                        ; implicit-def: $vgpr33
	s_branch .LBB31_28
.LBB31_43:                              ;   in Loop: Header=BB31_4 Depth=1
                                        ; implicit-def: $vgpr34
	s_branch .LBB31_31
.LBB31_44:
	s_mov_b64 s[8:9], 0
.LBB31_45:
	s_andn2_b64 vcc, exec, s[8:9]
	s_cbranch_vccnz .LBB31_65
; %bb.46:
	v_mov_b32_e32 v3, 0
	v_lshlrev_b32_e32 v2, 2, v0
	s_mov_b32 s2, 0
	v_cmp_gt_i64_e32 vcc, s[12:13], v[2:3]
	s_and_saveexec_b64 s[0:1], vcc
	s_cbranch_execz .LBB31_65
; %bb.47:
	s_load_dword s0, s[4:5], 0xc5c
	v_cmp_neq_f32_e64 s[6:7], s24, 1.0
	v_lshlrev_b32_e32 v4, 3, v0
	s_mov_b64 s[4:5], 0
	s_mov_b64 s[8:9], 0xffff
	s_waitcnt lgkmcnt(0)
	s_and_b32 s0, s0, 0xffff
	v_add_lshl_u32 v2, v0, s0, 2
	v_cndmask_b32_e64 v0, 0, 1, s[6:7]
	s_lshl_b32 s10, s0, 3
	s_lshl_b32 s11, s0, 2
	v_cmp_ne_u32_e64 s[0:1], 1, v0
	v_mov_b32_e32 v5, s2
	s_branch .LBB31_49
.LBB31_48:                              ;   in Loop: Header=BB31_49 Depth=1
	v_cmp_le_i64_e32 vcc, s[12:13], v[2:3]
	v_cmp_lt_u64_e64 s[2:3], s[8:9], v[2:3]
	s_or_b64 s[2:3], vcc, s[2:3]
	s_add_u32 s25, s25, s10
	s_addc_u32 s26, s26, 0
	s_add_u32 s27, s27, s10
	v_cvt_f16_f32_e32 v7, v8
	v_cvt_f16_f32_e32 v6, v6
	;; [unrolled: 1-line block ×4, first 2 shown]
	s_addc_u32 s28, s28, 0
	s_add_u32 s29, s29, s10
	s_addc_u32 s30, s30, 0
	s_and_b64 s[2:3], exec, s[2:3]
	v_add_co_u32_e32 v2, vcc, s11, v2
	v_pack_b32_f16 v7, v7, v8
	v_pack_b32_f16 v6, v9, v6
	s_or_b64 s[4:5], s[2:3], s[4:5]
	v_addc_co_u32_e32 v3, vcc, v3, v5, vcc
	global_store_dwordx2 v[0:1], v[6:7], off
	s_andn2_b64 exec, exec, s[4:5]
	s_cbranch_execz .LBB31_65
.LBB31_49:                              ; =>This Inner Loop Header: Depth=1
	v_mov_b32_e32 v1, s26
	v_add_co_u32_e32 v0, vcc, s25, v4
	v_addc_co_u32_e32 v1, vcc, 0, v1, vcc
	v_mov_b32_e32 v9, s28
	v_add_co_u32_e32 v8, vcc, s27, v4
	v_addc_co_u32_e32 v9, vcc, 0, v9, vcc
	;; [unrolled: 3-line block ×3, first 2 shown]
	global_load_dwordx2 v[6:7], v[0:1], off
	s_and_b64 vcc, exec, s[6:7]
	global_load_dwordx2 v[8:9], v[8:9], off
	s_waitcnt vmcnt(1)
	v_cvt_f32_f16_e32 v13, v6
	global_load_dwordx2 v[10:11], v[10:11], off
	s_waitcnt vmcnt(1)
	v_cvt_f32_f16_e32 v14, v8
	s_waitcnt vmcnt(0)
	v_cvt_f32_f16_e32 v15, v10
	s_cbranch_vccz .LBB31_60
; %bb.50:                               ;   in Loop: Header=BB31_49 Depth=1
	v_mul_f32_e32 v12, v14, v15
	v_fma_f32 v12, s24, v12, v13
	s_cbranch_execnz .LBB31_52
.LBB31_51:                              ;   in Loop: Header=BB31_49 Depth=1
	v_fmac_f32_e32 v13, v14, v15
	v_mov_b32_e32 v12, v13
.LBB31_52:                              ;   in Loop: Header=BB31_49 Depth=1
	v_cvt_f32_f16_sdwa v13, v6 dst_sel:DWORD dst_unused:UNUSED_PAD src0_sel:WORD_1
	v_cvt_f32_f16_sdwa v8, v8 dst_sel:DWORD dst_unused:UNUSED_PAD src0_sel:WORD_1
	;; [unrolled: 1-line block ×3, first 2 shown]
	s_and_b64 vcc, exec, s[0:1]
	s_cbranch_vccnz .LBB31_61
; %bb.53:                               ;   in Loop: Header=BB31_49 Depth=1
	v_mul_f32_e32 v6, v8, v10
	v_fma_f32 v6, s24, v6, v13
	s_cbranch_execnz .LBB31_55
.LBB31_54:                              ;   in Loop: Header=BB31_49 Depth=1
	v_fmac_f32_e32 v13, v8, v10
	v_mov_b32_e32 v6, v13
.LBB31_55:                              ;   in Loop: Header=BB31_49 Depth=1
	v_cvt_f32_f16_e32 v10, v7
	v_cvt_f32_f16_e32 v13, v9
	;; [unrolled: 1-line block ×3, first 2 shown]
	s_and_b64 vcc, exec, s[0:1]
	s_cbranch_vccnz .LBB31_62
; %bb.56:                               ;   in Loop: Header=BB31_49 Depth=1
	v_mul_f32_e32 v8, v13, v14
	v_fma_f32 v8, s24, v8, v10
	s_cbranch_execnz .LBB31_58
.LBB31_57:                              ;   in Loop: Header=BB31_49 Depth=1
	v_fmac_f32_e32 v10, v13, v14
	v_mov_b32_e32 v8, v10
.LBB31_58:                              ;   in Loop: Header=BB31_49 Depth=1
	v_cvt_f32_f16_sdwa v7, v7 dst_sel:DWORD dst_unused:UNUSED_PAD src0_sel:WORD_1
	v_cvt_f32_f16_sdwa v9, v9 dst_sel:DWORD dst_unused:UNUSED_PAD src0_sel:WORD_1
	;; [unrolled: 1-line block ×3, first 2 shown]
	s_and_b64 vcc, exec, s[0:1]
	s_cbranch_vccnz .LBB31_63
; %bb.59:                               ;   in Loop: Header=BB31_49 Depth=1
	v_mul_f32_e32 v11, v9, v10
	v_fma_f32 v11, s24, v11, v7
	s_cbranch_execnz .LBB31_48
	s_branch .LBB31_64
.LBB31_60:                              ;   in Loop: Header=BB31_49 Depth=1
                                        ; implicit-def: $vgpr12
	s_branch .LBB31_51
.LBB31_61:                              ;   in Loop: Header=BB31_49 Depth=1
                                        ; implicit-def: $vgpr6
	s_branch .LBB31_54
.LBB31_62:                              ;   in Loop: Header=BB31_49 Depth=1
                                        ; implicit-def: $vgpr8
	s_branch .LBB31_57
.LBB31_63:                              ;   in Loop: Header=BB31_49 Depth=1
                                        ; implicit-def: $vgpr11
.LBB31_64:                              ;   in Loop: Header=BB31_49 Depth=1
	v_fmac_f32_e32 v7, v9, v10
	v_mov_b32_e32 v11, v7
	s_branch .LBB31_48
.LBB31_65:
	s_endpgm
	.section	.rodata,"a",@progbits
	.p2align	6, 0x0
	.amdhsa_kernel _ZN2at6native12_GLOBAL__N_125multi_tensor_apply_kernelINS1_18TensorListMetadataILi3EEENS1_24PointwiseOpScalarFunctorIN3c104HalfELi3ELi3ELi0EEEJSt10multipliesIfEfEEEvT_T0_DpT1_
		.amdhsa_group_segment_fixed_size 0
		.amdhsa_private_segment_fixed_size 0
		.amdhsa_kernarg_size 3408
		.amdhsa_user_sgpr_count 6
		.amdhsa_user_sgpr_private_segment_buffer 1
		.amdhsa_user_sgpr_dispatch_ptr 0
		.amdhsa_user_sgpr_queue_ptr 0
		.amdhsa_user_sgpr_kernarg_segment_ptr 1
		.amdhsa_user_sgpr_dispatch_id 0
		.amdhsa_user_sgpr_flat_scratch_init 0
		.amdhsa_user_sgpr_kernarg_preload_length 0
		.amdhsa_user_sgpr_kernarg_preload_offset 0
		.amdhsa_user_sgpr_private_segment_size 0
		.amdhsa_uses_dynamic_stack 0
		.amdhsa_system_sgpr_private_segment_wavefront_offset 0
		.amdhsa_system_sgpr_workgroup_id_x 1
		.amdhsa_system_sgpr_workgroup_id_y 0
		.amdhsa_system_sgpr_workgroup_id_z 0
		.amdhsa_system_sgpr_workgroup_info 0
		.amdhsa_system_vgpr_workitem_id 0
		.amdhsa_next_free_vgpr 46
		.amdhsa_next_free_sgpr 35
		.amdhsa_accum_offset 48
		.amdhsa_reserve_vcc 1
		.amdhsa_reserve_flat_scratch 0
		.amdhsa_float_round_mode_32 0
		.amdhsa_float_round_mode_16_64 0
		.amdhsa_float_denorm_mode_32 3
		.amdhsa_float_denorm_mode_16_64 3
		.amdhsa_dx10_clamp 1
		.amdhsa_ieee_mode 1
		.amdhsa_fp16_overflow 0
		.amdhsa_tg_split 0
		.amdhsa_exception_fp_ieee_invalid_op 0
		.amdhsa_exception_fp_denorm_src 0
		.amdhsa_exception_fp_ieee_div_zero 0
		.amdhsa_exception_fp_ieee_overflow 0
		.amdhsa_exception_fp_ieee_underflow 0
		.amdhsa_exception_fp_ieee_inexact 0
		.amdhsa_exception_int_div_zero 0
	.end_amdhsa_kernel
	.section	.text._ZN2at6native12_GLOBAL__N_125multi_tensor_apply_kernelINS1_18TensorListMetadataILi3EEENS1_24PointwiseOpScalarFunctorIN3c104HalfELi3ELi3ELi0EEEJSt10multipliesIfEfEEEvT_T0_DpT1_,"axG",@progbits,_ZN2at6native12_GLOBAL__N_125multi_tensor_apply_kernelINS1_18TensorListMetadataILi3EEENS1_24PointwiseOpScalarFunctorIN3c104HalfELi3ELi3ELi0EEEJSt10multipliesIfEfEEEvT_T0_DpT1_,comdat
.Lfunc_end31:
	.size	_ZN2at6native12_GLOBAL__N_125multi_tensor_apply_kernelINS1_18TensorListMetadataILi3EEENS1_24PointwiseOpScalarFunctorIN3c104HalfELi3ELi3ELi0EEEJSt10multipliesIfEfEEEvT_T0_DpT1_, .Lfunc_end31-_ZN2at6native12_GLOBAL__N_125multi_tensor_apply_kernelINS1_18TensorListMetadataILi3EEENS1_24PointwiseOpScalarFunctorIN3c104HalfELi3ELi3ELi0EEEJSt10multipliesIfEfEEEvT_T0_DpT1_
                                        ; -- End function
	.section	.AMDGPU.csdata,"",@progbits
; Kernel info:
; codeLenInByte = 2016
; NumSgprs: 39
; NumVgprs: 46
; NumAgprs: 0
; TotalNumVgprs: 46
; ScratchSize: 0
; MemoryBound: 0
; FloatMode: 240
; IeeeMode: 1
; LDSByteSize: 0 bytes/workgroup (compile time only)
; SGPRBlocks: 4
; VGPRBlocks: 5
; NumSGPRsForWavesPerEU: 39
; NumVGPRsForWavesPerEU: 46
; AccumOffset: 48
; Occupancy: 8
; WaveLimiterHint : 0
; COMPUTE_PGM_RSRC2:SCRATCH_EN: 0
; COMPUTE_PGM_RSRC2:USER_SGPR: 6
; COMPUTE_PGM_RSRC2:TRAP_HANDLER: 0
; COMPUTE_PGM_RSRC2:TGID_X_EN: 1
; COMPUTE_PGM_RSRC2:TGID_Y_EN: 0
; COMPUTE_PGM_RSRC2:TGID_Z_EN: 0
; COMPUTE_PGM_RSRC2:TIDIG_COMP_CNT: 0
; COMPUTE_PGM_RSRC3_GFX90A:ACCUM_OFFSET: 11
; COMPUTE_PGM_RSRC3_GFX90A:TG_SPLIT: 0
	.section	.text._ZN2at6native12_GLOBAL__N_125multi_tensor_apply_kernelINS1_18TensorListMetadataILi3EEENS1_24PointwiseOpScalarFunctorIN3c108BFloat16ELi3ELi3ELi0EEEJSt10multipliesIfEfEEEvT_T0_DpT1_,"axG",@progbits,_ZN2at6native12_GLOBAL__N_125multi_tensor_apply_kernelINS1_18TensorListMetadataILi3EEENS1_24PointwiseOpScalarFunctorIN3c108BFloat16ELi3ELi3ELi0EEEJSt10multipliesIfEfEEEvT_T0_DpT1_,comdat
	.globl	_ZN2at6native12_GLOBAL__N_125multi_tensor_apply_kernelINS1_18TensorListMetadataILi3EEENS1_24PointwiseOpScalarFunctorIN3c108BFloat16ELi3ELi3ELi0EEEJSt10multipliesIfEfEEEvT_T0_DpT1_ ; -- Begin function _ZN2at6native12_GLOBAL__N_125multi_tensor_apply_kernelINS1_18TensorListMetadataILi3EEENS1_24PointwiseOpScalarFunctorIN3c108BFloat16ELi3ELi3ELi0EEEJSt10multipliesIfEfEEEvT_T0_DpT1_
	.p2align	8
	.type	_ZN2at6native12_GLOBAL__N_125multi_tensor_apply_kernelINS1_18TensorListMetadataILi3EEENS1_24PointwiseOpScalarFunctorIN3c108BFloat16ELi3ELi3ELi0EEEJSt10multipliesIfEfEEEvT_T0_DpT1_,@function
_ZN2at6native12_GLOBAL__N_125multi_tensor_apply_kernelINS1_18TensorListMetadataILi3EEENS1_24PointwiseOpScalarFunctorIN3c108BFloat16ELi3ELi3ELi0EEEJSt10multipliesIfEfEEEvT_T0_DpT1_: ; @_ZN2at6native12_GLOBAL__N_125multi_tensor_apply_kernelINS1_18TensorListMetadataILi3EEENS1_24PointwiseOpScalarFunctorIN3c108BFloat16ELi3ELi3ELi0EEEJSt10multipliesIfEfEEEvT_T0_DpT1_
; %bb.0:
	v_mov_b32_e32 v1, s6
	global_load_ubyte v1, v1, s[4:5] offset:1536
	s_load_dword s30, s[4:5], 0xc4c
	s_add_u32 s0, s4, s6
	s_mul_hi_u32 s2, s6, 3
	s_mul_i32 s6, s6, 3
	s_addc_u32 s7, s5, 0
	s_add_u32 s6, s0, s6
	s_addc_u32 s7, s7, s2
	s_load_dword s6, s[6:7], 0x740
	s_mov_b32 s1, 0
	s_mov_b32 s3, s1
	s_waitcnt lgkmcnt(0)
	s_ashr_i32 s7, s6, 31
	s_lshl_b64 s[20:21], s[6:7], 17
	s_waitcnt vmcnt(0)
	v_readfirstlane_b32 s0, v1
	s_lshl_b32 s0, s0, 3
	s_load_dwordx2 s[12:13], s[4:5], s0 offset:0x0
	s_load_dwordx2 s[14:15], s[4:5], s0 offset:0x180
	;; [unrolled: 1-line block ×4, first 2 shown]
	s_waitcnt lgkmcnt(0)
	s_and_b32 s0, s12, 7
	s_add_u32 s2, s14, s20
	s_or_b32 s2, s16, s2
	s_and_b32 s2, s2, 7
	s_cmp_eq_u32 s2, 0
	s_cselect_b64 s[10:11], -1, 0
	s_lshl_b64 s[6:7], s[6:7], 16
	s_sub_u32 s18, s8, s6
	s_subb_u32 s19, s9, s7
	s_and_b32 s2, s8, 3
	s_or_b64 s[0:1], s[0:1], s[2:3]
	s_cmp_eq_u64 s[0:1], 0
	s_cselect_b64 s[0:1], -1, 0
	s_and_b64 s[2:3], s[10:11], s[0:1]
	s_mov_b64 s[0:1], -1
	s_and_b64 vcc, exec, s[2:3]
	s_cbranch_vccnz .LBB32_45
; %bb.1:
	v_cmp_lt_i64_e64 s[0:1], s[18:19], 1
	s_and_b64 vcc, exec, s[0:1]
	s_cbranch_vccnz .LBB32_44
; %bb.2:
	s_load_dword s0, s[4:5], 0xc5c
	v_mov_b32_e32 v2, 0x10000
	v_mov_b32_e32 v3, 0
	v_cmp_lt_u64_e32 vcc, s[18:19], v[2:3]
	v_lshlrev_b32_e32 v14, 1, v0
	s_waitcnt lgkmcnt(0)
	s_and_b32 s2, s0, 0xffff
	s_and_b64 s[0:1], vcc, exec
	v_mov_b32_e32 v19, s13
	v_add_co_u32_e32 v2, vcc, s12, v14
	v_addc_co_u32_e32 v1, vcc, 0, v19, vcc
	v_mov_b32_e32 v21, s15
	v_add_co_u32_e32 v4, vcc, s14, v14
	v_addc_co_u32_e32 v3, vcc, 0, v21, vcc
	v_mov_b32_e32 v15, 0
	v_mov_b32_e32 v23, s17
	v_add_co_u32_e32 v6, vcc, s16, v14
	v_addc_co_u32_e32 v5, vcc, 0, v23, vcc
	v_mad_u64_u32 v[12:13], s[0:1], s2, 6, v[14:15]
	v_add_co_u32_e32 v8, vcc, s12, v12
	v_addc_co_u32_e32 v7, vcc, v19, v13, vcc
	v_add_co_u32_e32 v10, vcc, s14, v12
	v_addc_co_u32_e32 v9, vcc, v21, v13, vcc
	v_add_co_u32_e32 v12, vcc, s16, v12
	s_mul_i32 s6, s2, 3
	v_addc_co_u32_e32 v11, vcc, v23, v13, vcc
	s_cselect_b32 s23, s19, 0
	s_cselect_b32 s22, s18, 0x10000
	s_lshl_b32 s33, s2, 2
	v_add_co_u32_e32 v25, vcc, s6, v0
	v_addc_co_u32_e64 v26, s[0:1], 0, 0, vcc
	v_add_co_u32_e32 v17, vcc, s33, v14
	v_addc_co_u32_e64 v20, s[0:1], 0, 0, vcc
	v_add_co_u32_e32 v14, vcc, s12, v17
	v_addc_co_u32_e32 v13, vcc, v19, v20, vcc
	v_add_co_u32_e32 v16, vcc, s14, v17
	v_addc_co_u32_e32 v15, vcc, v21, v20, vcc
	v_add_co_u32_e32 v18, vcc, s16, v17
	s_lshl_b32 s3, s2, 1
	v_addc_co_u32_e32 v17, vcc, v23, v20, vcc
	v_add_co_u32_e32 v27, vcc, s3, v0
	v_addc_co_u32_e64 v28, s[0:1], 0, 0, vcc
	v_add_co_u32_e32 v29, vcc, s2, v0
	v_lshlrev_b32_e32 v24, 1, v29
	v_addc_co_u32_e64 v30, s[0:1], 0, 0, vcc
	v_add_co_u32_e32 v20, vcc, s12, v24
	v_addc_co_u32_e32 v19, vcc, 0, v19, vcc
	v_add_co_u32_e32 v22, vcc, s14, v24
	v_addc_co_u32_e32 v21, vcc, 0, v21, vcc
	v_add_co_u32_e32 v24, vcc, s16, v24
	s_mov_b32 s31, 0
	v_cmp_neq_f32_e64 s[24:25], s30, 1.0
	s_lshl_b32 s34, s2, 3
	v_addc_co_u32_e32 v23, vcc, 0, v23, vcc
	s_mov_b64 s[26:27], 0
	s_movk_i32 s35, 0x7fff
	v_mov_b32_e32 v31, 0x7fc0
	s_branch .LBB32_4
.LBB32_3:                               ;   in Loop: Header=BB32_4 Depth=1
	s_or_b64 exec, exec, s[0:1]
	s_add_u32 s26, s26, s33
	s_addc_u32 s27, s27, 0
	v_pk_mov_b32 v[32:33], s[18:19], s[18:19] op_sel:[0,1]
	v_cmp_ge_i64_e32 vcc, s[26:27], v[32:33]
	v_mov_b32_e32 v32, 0xffff
	v_mov_b32_e32 v33, 0
	v_cmp_gt_u64_e64 s[0:1], s[26:27], v[32:33]
	s_or_b64 s[0:1], vcc, s[0:1]
	v_mov_b32_e32 v32, s31
	v_add_co_u32_e32 v2, vcc, s34, v2
	v_addc_co_u32_e32 v1, vcc, v1, v32, vcc
	v_add_co_u32_e32 v4, vcc, s34, v4
	v_addc_co_u32_e32 v3, vcc, v3, v32, vcc
	;; [unrolled: 2-line block ×12, first 2 shown]
	s_and_b64 vcc, exec, s[0:1]
	s_cbranch_vccnz .LBB32_44
.LBB32_4:                               ; =>This Inner Loop Header: Depth=1
	v_mov_b32_e32 v33, s27
	v_add_co_u32_e32 v32, vcc, s26, v0
	v_addc_co_u32_e32 v33, vcc, 0, v33, vcc
	v_cmp_gt_u64_e64 s[0:1], s[22:23], v[32:33]
	v_mov_b32_e32 v33, 0
	v_mov_b32_e32 v34, 0
	s_and_saveexec_b64 s[2:3], s[0:1]
	s_cbranch_execz .LBB32_6
; %bb.5:                                ;   in Loop: Header=BB32_4 Depth=1
	v_mov_b32_e32 v32, s21
	v_add_co_u32_e32 v36, vcc, s20, v2
	v_addc_co_u32_e32 v37, vcc, v1, v32, vcc
	v_add_co_u32_e32 v38, vcc, s20, v4
	v_addc_co_u32_e32 v39, vcc, v3, v32, vcc
	global_load_ushort v33, v[36:37], off
	global_load_ushort v34, v[38:39], off
.LBB32_6:                               ;   in Loop: Header=BB32_4 Depth=1
	s_or_b64 exec, exec, s[2:3]
	v_mov_b32_e32 v32, 0
	v_mov_b32_e32 v37, 0
	s_and_saveexec_b64 s[2:3], s[0:1]
	s_cbranch_execz .LBB32_8
; %bb.7:                                ;   in Loop: Header=BB32_4 Depth=1
	v_mov_b32_e32 v35, s21
	v_add_co_u32_e32 v36, vcc, s20, v6
	v_addc_co_u32_e32 v37, vcc, v5, v35, vcc
	global_load_ushort v37, v[36:37], off
.LBB32_8:                               ;   in Loop: Header=BB32_4 Depth=1
	s_or_b64 exec, exec, s[2:3]
	v_mov_b32_e32 v35, s27
	v_add_co_u32_e32 v38, vcc, s26, v29
	v_addc_co_u32_e32 v39, vcc, v30, v35, vcc
	v_cmp_gt_u64_e64 s[2:3], s[22:23], v[38:39]
	v_mov_b32_e32 v36, 0
	s_and_saveexec_b64 s[6:7], s[2:3]
	s_cbranch_execz .LBB32_10
; %bb.9:                                ;   in Loop: Header=BB32_4 Depth=1
	v_mov_b32_e32 v32, s21
	v_add_co_u32_e32 v38, vcc, s20, v22
	v_addc_co_u32_e32 v39, vcc, v21, v32, vcc
	v_add_co_u32_e32 v40, vcc, s20, v20
	v_addc_co_u32_e32 v41, vcc, v19, v32, vcc
	global_load_ushort v32, v[40:41], off
	global_load_ushort v36, v[38:39], off
.LBB32_10:                              ;   in Loop: Header=BB32_4 Depth=1
	s_or_b64 exec, exec, s[6:7]
	v_mov_b32_e32 v35, 0
	v_mov_b32_e32 v39, 0
	s_and_saveexec_b64 s[6:7], s[2:3]
	s_cbranch_execz .LBB32_12
; %bb.11:                               ;   in Loop: Header=BB32_4 Depth=1
	v_mov_b32_e32 v39, s21
	v_add_co_u32_e32 v38, vcc, s20, v24
	v_addc_co_u32_e32 v39, vcc, v23, v39, vcc
	global_load_ushort v39, v[38:39], off
.LBB32_12:                              ;   in Loop: Header=BB32_4 Depth=1
	s_or_b64 exec, exec, s[6:7]
	v_mov_b32_e32 v38, s27
	v_add_co_u32_e32 v40, vcc, s26, v27
	v_addc_co_u32_e32 v41, vcc, v28, v38, vcc
	v_cmp_gt_u64_e64 s[6:7], s[22:23], v[40:41]
	v_mov_b32_e32 v40, 0
	s_and_saveexec_b64 s[8:9], s[6:7]
	s_cbranch_execz .LBB32_14
; %bb.13:                               ;   in Loop: Header=BB32_4 Depth=1
	v_mov_b32_e32 v35, s21
	v_add_co_u32_e32 v42, vcc, s20, v16
	v_addc_co_u32_e32 v43, vcc, v15, v35, vcc
	v_add_co_u32_e32 v44, vcc, s20, v14
	v_addc_co_u32_e32 v45, vcc, v13, v35, vcc
	global_load_ushort v35, v[44:45], off
	global_load_ushort v40, v[42:43], off
.LBB32_14:                              ;   in Loop: Header=BB32_4 Depth=1
	s_or_b64 exec, exec, s[8:9]
	v_mov_b32_e32 v38, 0
	v_mov_b32_e32 v41, 0
	s_and_saveexec_b64 s[8:9], s[6:7]
	s_cbranch_execz .LBB32_16
; %bb.15:                               ;   in Loop: Header=BB32_4 Depth=1
	v_mov_b32_e32 v41, s21
	v_add_co_u32_e32 v42, vcc, s20, v18
	v_addc_co_u32_e32 v43, vcc, v17, v41, vcc
	global_load_ushort v41, v[42:43], off
.LBB32_16:                              ;   in Loop: Header=BB32_4 Depth=1
	s_or_b64 exec, exec, s[8:9]
	v_mov_b32_e32 v43, s27
	v_add_co_u32_e32 v42, vcc, s26, v25
	v_addc_co_u32_e32 v43, vcc, v26, v43, vcc
	v_cmp_gt_u64_e64 s[8:9], s[22:23], v[42:43]
	v_mov_b32_e32 v42, 0
	s_and_saveexec_b64 s[10:11], s[8:9]
	s_cbranch_execz .LBB32_18
; %bb.17:                               ;   in Loop: Header=BB32_4 Depth=1
	v_mov_b32_e32 v38, s21
	v_add_co_u32_e32 v44, vcc, s20, v10
	v_addc_co_u32_e32 v45, vcc, v9, v38, vcc
	v_add_co_u32_e32 v46, vcc, s20, v8
	v_addc_co_u32_e32 v47, vcc, v7, v38, vcc
	global_load_ushort v38, v[46:47], off
	global_load_ushort v42, v[44:45], off
.LBB32_18:                              ;   in Loop: Header=BB32_4 Depth=1
	s_or_b64 exec, exec, s[10:11]
	v_mov_b32_e32 v43, 0
	s_and_saveexec_b64 s[10:11], s[8:9]
	s_cbranch_execz .LBB32_20
; %bb.19:                               ;   in Loop: Header=BB32_4 Depth=1
	v_mov_b32_e32 v43, s21
	v_add_co_u32_e32 v44, vcc, s20, v12
	v_addc_co_u32_e32 v45, vcc, v11, v43, vcc
	global_load_ushort v43, v[44:45], off
.LBB32_20:                              ;   in Loop: Header=BB32_4 Depth=1
	s_or_b64 exec, exec, s[10:11]
	s_waitcnt vmcnt(1)
	v_lshlrev_b32_e32 v44, 16, v33
	s_waitcnt vmcnt(0)
	v_lshlrev_b32_e32 v34, 16, v34
	v_lshlrev_b32_e32 v37, 16, v37
	s_and_b64 vcc, exec, s[24:25]
	s_cbranch_vccz .LBB32_40
; %bb.21:                               ;   in Loop: Header=BB32_4 Depth=1
	v_mul_f32_e32 v33, v34, v37
	v_fma_f32 v33, s30, v33, v44
	s_cbranch_execnz .LBB32_23
.LBB32_22:                              ;   in Loop: Header=BB32_4 Depth=1
	v_fmac_f32_e32 v44, v34, v37
	v_mov_b32_e32 v33, v44
.LBB32_23:                              ;   in Loop: Header=BB32_4 Depth=1
	v_lshlrev_b32_e32 v34, 16, v32
	v_cndmask_b32_e64 v32, 0, 1, s[24:25]
	v_lshlrev_b32_e32 v36, 16, v36
	v_cmp_ne_u32_e64 s[10:11], 1, v32
	s_andn2_b64 vcc, exec, s[24:25]
	v_lshlrev_b32_e32 v37, 16, v39
	s_cbranch_vccnz .LBB32_41
; %bb.24:                               ;   in Loop: Header=BB32_4 Depth=1
	v_mul_f32_e32 v32, v36, v37
	v_fma_f32 v32, s30, v32, v34
	s_cbranch_execnz .LBB32_26
.LBB32_25:                              ;   in Loop: Header=BB32_4 Depth=1
	v_fmac_f32_e32 v34, v36, v37
	v_mov_b32_e32 v32, v34
.LBB32_26:                              ;   in Loop: Header=BB32_4 Depth=1
	v_lshlrev_b32_e32 v35, 16, v35
	v_lshlrev_b32_e32 v36, 16, v40
	s_and_b64 vcc, exec, s[10:11]
	v_lshlrev_b32_e32 v37, 16, v41
	s_cbranch_vccnz .LBB32_42
; %bb.27:                               ;   in Loop: Header=BB32_4 Depth=1
	v_mul_f32_e32 v34, v36, v37
	v_fma_f32 v34, s30, v34, v35
	s_cbranch_execnz .LBB32_29
.LBB32_28:                              ;   in Loop: Header=BB32_4 Depth=1
	v_fmac_f32_e32 v35, v36, v37
	v_mov_b32_e32 v34, v35
.LBB32_29:                              ;   in Loop: Header=BB32_4 Depth=1
	v_lshlrev_b32_e32 v36, 16, v38
	v_lshlrev_b32_e32 v37, 16, v42
	s_and_b64 vcc, exec, s[10:11]
	v_lshlrev_b32_e32 v38, 16, v43
	s_cbranch_vccnz .LBB32_43
; %bb.30:                               ;   in Loop: Header=BB32_4 Depth=1
	v_mul_f32_e32 v35, v37, v38
	v_fma_f32 v35, s30, v35, v36
	s_cbranch_execnz .LBB32_32
.LBB32_31:                              ;   in Loop: Header=BB32_4 Depth=1
	v_fmac_f32_e32 v36, v37, v38
	v_mov_b32_e32 v35, v36
.LBB32_32:                              ;   in Loop: Header=BB32_4 Depth=1
	s_and_saveexec_b64 s[10:11], s[0:1]
	s_xor_b64 s[0:1], exec, s[10:11]
	s_cbranch_execnz .LBB32_36
; %bb.33:                               ;   in Loop: Header=BB32_4 Depth=1
	s_or_b64 exec, exec, s[0:1]
	s_and_saveexec_b64 s[0:1], s[2:3]
	s_cbranch_execnz .LBB32_37
.LBB32_34:                              ;   in Loop: Header=BB32_4 Depth=1
	s_or_b64 exec, exec, s[0:1]
	s_and_saveexec_b64 s[0:1], s[6:7]
	s_cbranch_execnz .LBB32_38
.LBB32_35:                              ;   in Loop: Header=BB32_4 Depth=1
	s_or_b64 exec, exec, s[0:1]
	s_and_saveexec_b64 s[0:1], s[8:9]
	s_cbranch_execz .LBB32_3
	s_branch .LBB32_39
.LBB32_36:                              ;   in Loop: Header=BB32_4 Depth=1
	v_bfe_u32 v36, v33, 16, 1
	v_add3_u32 v36, v33, v36, s35
	v_lshrrev_b32_e32 v36, 16, v36
	v_cmp_o_f32_e32 vcc, v33, v33
	v_cndmask_b32_e32 v33, v31, v36, vcc
	v_mov_b32_e32 v37, s21
	v_add_co_u32_e32 v36, vcc, s20, v2
	v_addc_co_u32_e32 v37, vcc, v1, v37, vcc
	global_store_short v[36:37], v33, off
	s_or_b64 exec, exec, s[0:1]
	s_and_saveexec_b64 s[0:1], s[2:3]
	s_cbranch_execz .LBB32_34
.LBB32_37:                              ;   in Loop: Header=BB32_4 Depth=1
	v_bfe_u32 v33, v32, 16, 1
	v_mov_b32_e32 v37, s21
	v_add_co_u32_e32 v36, vcc, s20, v20
	v_add3_u32 v33, v32, v33, s35
	v_addc_co_u32_e32 v37, vcc, v19, v37, vcc
	v_lshrrev_b32_e32 v33, 16, v33
	v_cmp_o_f32_e32 vcc, v32, v32
	v_cndmask_b32_e32 v32, v31, v33, vcc
	global_store_short v[36:37], v32, off
	s_or_b64 exec, exec, s[0:1]
	s_and_saveexec_b64 s[0:1], s[6:7]
	s_cbranch_execz .LBB32_35
.LBB32_38:                              ;   in Loop: Header=BB32_4 Depth=1
	v_bfe_u32 v32, v34, 16, 1
	v_add3_u32 v32, v34, v32, s35
	v_lshrrev_b32_e32 v36, 16, v32
	v_mov_b32_e32 v33, s21
	v_add_co_u32_e32 v32, vcc, s20, v14
	v_addc_co_u32_e32 v33, vcc, v13, v33, vcc
	v_cmp_o_f32_e32 vcc, v34, v34
	v_cndmask_b32_e32 v34, v31, v36, vcc
	global_store_short v[32:33], v34, off
	s_or_b64 exec, exec, s[0:1]
	s_and_saveexec_b64 s[0:1], s[8:9]
	s_cbranch_execz .LBB32_3
.LBB32_39:                              ;   in Loop: Header=BB32_4 Depth=1
	v_bfe_u32 v32, v35, 16, 1
	v_add3_u32 v32, v35, v32, s35
	v_lshrrev_b32_e32 v34, 16, v32
	v_mov_b32_e32 v33, s21
	v_add_co_u32_e32 v32, vcc, s20, v8
	v_addc_co_u32_e32 v33, vcc, v7, v33, vcc
	v_cmp_o_f32_e32 vcc, v35, v35
	v_cndmask_b32_e32 v34, v31, v34, vcc
	global_store_short v[32:33], v34, off
	s_branch .LBB32_3
.LBB32_40:                              ;   in Loop: Header=BB32_4 Depth=1
                                        ; implicit-def: $vgpr33
	s_branch .LBB32_22
.LBB32_41:                              ;   in Loop: Header=BB32_4 Depth=1
                                        ; implicit-def: $vgpr32
	s_branch .LBB32_25
.LBB32_42:                              ;   in Loop: Header=BB32_4 Depth=1
                                        ; implicit-def: $vgpr34
	s_branch .LBB32_28
.LBB32_43:                              ;   in Loop: Header=BB32_4 Depth=1
                                        ; implicit-def: $vgpr35
	s_branch .LBB32_31
.LBB32_44:
	s_mov_b64 s[0:1], 0
.LBB32_45:
	s_andn2_b64 vcc, exec, s[0:1]
	s_cbranch_vccnz .LBB32_65
; %bb.46:
	v_mov_b32_e32 v3, 0
	v_lshlrev_b32_e32 v2, 2, v0
	s_mov_b32 s2, 0
	v_cmp_gt_i64_e32 vcc, s[18:19], v[2:3]
	s_and_saveexec_b64 s[0:1], vcc
	s_cbranch_execz .LBB32_65
; %bb.47:
	s_load_dword s0, s[4:5], 0xc5c
	v_lshlrev_b32_e32 v1, 3, v0
	v_cmp_neq_f32_e64 s[6:7], s30, 1.0
	v_mov_b32_e32 v2, s21
	v_add_co_u32_e32 v4, vcc, s20, v1
	s_waitcnt lgkmcnt(0)
	s_and_b32 s0, s0, 0xffff
	v_cndmask_b32_e64 v6, 0, 1, s[6:7]
	v_addc_co_u32_e32 v1, vcc, 0, v2, vcc
	s_lshl_b32 s10, s0, 3
	v_add_lshl_u32 v2, v0, s0, 2
	s_lshl_b32 s11, s0, 2
	s_mov_b64 s[4:5], 0
	v_mov_b32_e32 v0, s13
	v_mov_b32_e32 v5, s15
	;; [unrolled: 1-line block ×3, first 2 shown]
	v_cmp_ne_u32_e64 s[0:1], 1, v6
	s_movk_i32 s13, 0x7fff
	s_mov_b64 s[8:9], 0xffff
	v_mov_b32_e32 v15, 0x7fc0
	v_mov_b32_e32 v16, 0x7fc00000
	;; [unrolled: 1-line block ×4, first 2 shown]
	s_branch .LBB32_49
.LBB32_48:                              ;   in Loop: Header=BB32_49 Depth=1
	v_bfe_u32 v10, v19, 16, 1
	v_add3_u32 v10, v19, v10, s13
	v_bfe_u32 v11, v20, 16, 1
	v_lshrrev_b32_e32 v10, 16, v10
	v_cmp_o_f32_e32 vcc, v19, v19
	v_add3_u32 v11, v20, v11, s13
	v_cndmask_b32_e32 v10, v15, v10, vcc
	v_and_b32_e32 v11, 0xffff0000, v11
	v_cmp_o_f32_e32 vcc, v20, v20
	v_cndmask_b32_e32 v11, v16, v11, vcc
	v_or_b32_e32 v10, v11, v10
	v_bfe_u32 v11, v8, 16, 1
	v_add3_u32 v11, v8, v11, s13
	v_lshrrev_b32_e32 v11, 16, v11
	v_cmp_o_f32_e32 vcc, v8, v8
	v_cndmask_b32_e32 v8, v15, v11, vcc
	v_bfe_u32 v11, v9, 16, 1
	v_add3_u32 v11, v9, v11, s13
	v_and_b32_e32 v11, 0xffff0000, v11
	v_cmp_o_f32_e32 vcc, v9, v9
	v_cndmask_b32_e32 v9, v16, v11, vcc
	v_cmp_le_i64_e32 vcc, s[18:19], v[2:3]
	v_cmp_lt_u64_e64 s[2:3], s[8:9], v[2:3]
	s_or_b64 s[2:3], vcc, s[2:3]
	v_add_co_u32_e32 v4, vcc, s10, v4
	v_addc_co_u32_e32 v1, vcc, v1, v17, vcc
	s_and_b64 s[2:3], exec, s[2:3]
	v_add_co_u32_e32 v2, vcc, s11, v2
	v_or3_b32 v9, 0, v8, v9
	v_or3_b32 v8, v10, 0, 0
	s_or_b64 s[4:5], s[2:3], s[4:5]
	v_addc_co_u32_e32 v3, vcc, v3, v18, vcc
	global_store_dwordx2 v[6:7], v[8:9], off
	s_andn2_b64 exec, exec, s[4:5]
	s_cbranch_execz .LBB32_65
.LBB32_49:                              ; =>This Inner Loop Header: Depth=1
	v_add_co_u32_e32 v6, vcc, s12, v4
	v_addc_co_u32_e32 v7, vcc, v0, v1, vcc
	v_add_co_u32_e32 v10, vcc, s14, v4
	v_addc_co_u32_e32 v11, vcc, v5, v1, vcc
	v_add_co_u32_e32 v12, vcc, s16, v4
	v_addc_co_u32_e32 v13, vcc, v14, v1, vcc
	global_load_dwordx2 v[8:9], v[6:7], off
	s_and_b64 vcc, exec, s[6:7]
	global_load_dwordx2 v[10:11], v[10:11], off
	s_waitcnt vmcnt(1)
	v_lshlrev_b32_e32 v20, 16, v8
	global_load_dwordx2 v[12:13], v[12:13], off
	s_waitcnt vmcnt(1)
	v_lshlrev_b32_e32 v21, 16, v10
	s_waitcnt vmcnt(0)
	v_lshlrev_b32_e32 v22, 16, v12
	s_cbranch_vccz .LBB32_60
; %bb.50:                               ;   in Loop: Header=BB32_49 Depth=1
	v_mul_f32_e32 v19, v21, v22
	v_fma_f32 v19, s30, v19, v20
	s_cbranch_execnz .LBB32_52
.LBB32_51:                              ;   in Loop: Header=BB32_49 Depth=1
	v_fmac_f32_e32 v20, v21, v22
	v_mov_b32_e32 v19, v20
.LBB32_52:                              ;   in Loop: Header=BB32_49 Depth=1
	v_and_b32_e32 v21, 0xffff0000, v8
	v_and_b32_e32 v22, 0xffff0000, v10
	s_and_b64 vcc, exec, s[0:1]
	v_and_b32_e32 v23, 0xffff0000, v12
	s_cbranch_vccnz .LBB32_61
; %bb.53:                               ;   in Loop: Header=BB32_49 Depth=1
	v_mul_f32_e32 v20, v22, v23
	v_fma_f32 v20, s30, v20, v21
	s_cbranch_execnz .LBB32_55
.LBB32_54:                              ;   in Loop: Header=BB32_49 Depth=1
	v_fmac_f32_e32 v21, v22, v23
	v_mov_b32_e32 v20, v21
.LBB32_55:                              ;   in Loop: Header=BB32_49 Depth=1
	v_alignbit_b32 v8, v9, v8, 16
	v_and_b32_e32 v21, 0xffff0000, v8
	v_alignbit_b32 v8, v11, v10, 16
	v_and_b32_e32 v10, 0xffff0000, v8
	v_alignbit_b32 v8, v13, v12, 16
	s_and_b64 vcc, exec, s[0:1]
	v_and_b32_e32 v12, 0xffff0000, v8
	s_cbranch_vccnz .LBB32_62
; %bb.56:                               ;   in Loop: Header=BB32_49 Depth=1
	v_mul_f32_e32 v8, v10, v12
	v_fma_f32 v8, s30, v8, v21
	s_cbranch_execnz .LBB32_58
.LBB32_57:                              ;   in Loop: Header=BB32_49 Depth=1
	v_fmac_f32_e32 v21, v10, v12
	v_mov_b32_e32 v8, v21
.LBB32_58:                              ;   in Loop: Header=BB32_49 Depth=1
	v_and_b32_e32 v10, 0xffff0000, v9
	v_and_b32_e32 v11, 0xffff0000, v11
	s_and_b64 vcc, exec, s[0:1]
	v_and_b32_e32 v12, 0xffff0000, v13
	s_cbranch_vccnz .LBB32_63
; %bb.59:                               ;   in Loop: Header=BB32_49 Depth=1
	v_mul_f32_e32 v9, v11, v12
	v_fma_f32 v9, s30, v9, v10
	s_cbranch_execnz .LBB32_48
	s_branch .LBB32_64
.LBB32_60:                              ;   in Loop: Header=BB32_49 Depth=1
                                        ; implicit-def: $vgpr19
	s_branch .LBB32_51
.LBB32_61:                              ;   in Loop: Header=BB32_49 Depth=1
                                        ; implicit-def: $vgpr20
	s_branch .LBB32_54
.LBB32_62:                              ;   in Loop: Header=BB32_49 Depth=1
                                        ; implicit-def: $vgpr8
	s_branch .LBB32_57
.LBB32_63:                              ;   in Loop: Header=BB32_49 Depth=1
                                        ; implicit-def: $vgpr9
.LBB32_64:                              ;   in Loop: Header=BB32_49 Depth=1
	v_fmac_f32_e32 v10, v11, v12
	v_mov_b32_e32 v9, v10
	s_branch .LBB32_48
.LBB32_65:
	s_endpgm
	.section	.rodata,"a",@progbits
	.p2align	6, 0x0
	.amdhsa_kernel _ZN2at6native12_GLOBAL__N_125multi_tensor_apply_kernelINS1_18TensorListMetadataILi3EEENS1_24PointwiseOpScalarFunctorIN3c108BFloat16ELi3ELi3ELi0EEEJSt10multipliesIfEfEEEvT_T0_DpT1_
		.amdhsa_group_segment_fixed_size 0
		.amdhsa_private_segment_fixed_size 0
		.amdhsa_kernarg_size 3408
		.amdhsa_user_sgpr_count 6
		.amdhsa_user_sgpr_private_segment_buffer 1
		.amdhsa_user_sgpr_dispatch_ptr 0
		.amdhsa_user_sgpr_queue_ptr 0
		.amdhsa_user_sgpr_kernarg_segment_ptr 1
		.amdhsa_user_sgpr_dispatch_id 0
		.amdhsa_user_sgpr_flat_scratch_init 0
		.amdhsa_user_sgpr_kernarg_preload_length 0
		.amdhsa_user_sgpr_kernarg_preload_offset 0
		.amdhsa_user_sgpr_private_segment_size 0
		.amdhsa_uses_dynamic_stack 0
		.amdhsa_system_sgpr_private_segment_wavefront_offset 0
		.amdhsa_system_sgpr_workgroup_id_x 1
		.amdhsa_system_sgpr_workgroup_id_y 0
		.amdhsa_system_sgpr_workgroup_id_z 0
		.amdhsa_system_sgpr_workgroup_info 0
		.amdhsa_system_vgpr_workitem_id 0
		.amdhsa_next_free_vgpr 48
		.amdhsa_next_free_sgpr 36
		.amdhsa_accum_offset 48
		.amdhsa_reserve_vcc 1
		.amdhsa_reserve_flat_scratch 0
		.amdhsa_float_round_mode_32 0
		.amdhsa_float_round_mode_16_64 0
		.amdhsa_float_denorm_mode_32 3
		.amdhsa_float_denorm_mode_16_64 3
		.amdhsa_dx10_clamp 1
		.amdhsa_ieee_mode 1
		.amdhsa_fp16_overflow 0
		.amdhsa_tg_split 0
		.amdhsa_exception_fp_ieee_invalid_op 0
		.amdhsa_exception_fp_denorm_src 0
		.amdhsa_exception_fp_ieee_div_zero 0
		.amdhsa_exception_fp_ieee_overflow 0
		.amdhsa_exception_fp_ieee_underflow 0
		.amdhsa_exception_fp_ieee_inexact 0
		.amdhsa_exception_int_div_zero 0
	.end_amdhsa_kernel
	.section	.text._ZN2at6native12_GLOBAL__N_125multi_tensor_apply_kernelINS1_18TensorListMetadataILi3EEENS1_24PointwiseOpScalarFunctorIN3c108BFloat16ELi3ELi3ELi0EEEJSt10multipliesIfEfEEEvT_T0_DpT1_,"axG",@progbits,_ZN2at6native12_GLOBAL__N_125multi_tensor_apply_kernelINS1_18TensorListMetadataILi3EEENS1_24PointwiseOpScalarFunctorIN3c108BFloat16ELi3ELi3ELi0EEEJSt10multipliesIfEfEEEvT_T0_DpT1_,comdat
.Lfunc_end32:
	.size	_ZN2at6native12_GLOBAL__N_125multi_tensor_apply_kernelINS1_18TensorListMetadataILi3EEENS1_24PointwiseOpScalarFunctorIN3c108BFloat16ELi3ELi3ELi0EEEJSt10multipliesIfEfEEEvT_T0_DpT1_, .Lfunc_end32-_ZN2at6native12_GLOBAL__N_125multi_tensor_apply_kernelINS1_18TensorListMetadataILi3EEENS1_24PointwiseOpScalarFunctorIN3c108BFloat16ELi3ELi3ELi0EEEJSt10multipliesIfEfEEEvT_T0_DpT1_
                                        ; -- End function
	.section	.AMDGPU.csdata,"",@progbits
; Kernel info:
; codeLenInByte = 2268
; NumSgprs: 40
; NumVgprs: 48
; NumAgprs: 0
; TotalNumVgprs: 48
; ScratchSize: 0
; MemoryBound: 0
; FloatMode: 240
; IeeeMode: 1
; LDSByteSize: 0 bytes/workgroup (compile time only)
; SGPRBlocks: 4
; VGPRBlocks: 5
; NumSGPRsForWavesPerEU: 40
; NumVGPRsForWavesPerEU: 48
; AccumOffset: 48
; Occupancy: 8
; WaveLimiterHint : 0
; COMPUTE_PGM_RSRC2:SCRATCH_EN: 0
; COMPUTE_PGM_RSRC2:USER_SGPR: 6
; COMPUTE_PGM_RSRC2:TRAP_HANDLER: 0
; COMPUTE_PGM_RSRC2:TGID_X_EN: 1
; COMPUTE_PGM_RSRC2:TGID_Y_EN: 0
; COMPUTE_PGM_RSRC2:TGID_Z_EN: 0
; COMPUTE_PGM_RSRC2:TIDIG_COMP_CNT: 0
; COMPUTE_PGM_RSRC3_GFX90A:ACCUM_OFFSET: 11
; COMPUTE_PGM_RSRC3_GFX90A:TG_SPLIT: 0
	.section	.text._ZN2at6native12_GLOBAL__N_125multi_tensor_apply_kernelINS1_18TensorListMetadataILi3EEENS1_32PointwiseOpScalar0dTensorFunctorIhLi3ELi2ELi0EEEJSt10multipliesIhEhEEEvT_T0_DpT1_,"axG",@progbits,_ZN2at6native12_GLOBAL__N_125multi_tensor_apply_kernelINS1_18TensorListMetadataILi3EEENS1_32PointwiseOpScalar0dTensorFunctorIhLi3ELi2ELi0EEEJSt10multipliesIhEhEEEvT_T0_DpT1_,comdat
	.globl	_ZN2at6native12_GLOBAL__N_125multi_tensor_apply_kernelINS1_18TensorListMetadataILi3EEENS1_32PointwiseOpScalar0dTensorFunctorIhLi3ELi2ELi0EEEJSt10multipliesIhEhEEEvT_T0_DpT1_ ; -- Begin function _ZN2at6native12_GLOBAL__N_125multi_tensor_apply_kernelINS1_18TensorListMetadataILi3EEENS1_32PointwiseOpScalar0dTensorFunctorIhLi3ELi2ELi0EEEJSt10multipliesIhEhEEEvT_T0_DpT1_
	.p2align	8
	.type	_ZN2at6native12_GLOBAL__N_125multi_tensor_apply_kernelINS1_18TensorListMetadataILi3EEENS1_32PointwiseOpScalar0dTensorFunctorIhLi3ELi2ELi0EEEJSt10multipliesIhEhEEEvT_T0_DpT1_,@function
_ZN2at6native12_GLOBAL__N_125multi_tensor_apply_kernelINS1_18TensorListMetadataILi3EEENS1_32PointwiseOpScalar0dTensorFunctorIhLi3ELi2ELi0EEEJSt10multipliesIhEhEEEvT_T0_DpT1_: ; @_ZN2at6native12_GLOBAL__N_125multi_tensor_apply_kernelINS1_18TensorListMetadataILi3EEENS1_32PointwiseOpScalar0dTensorFunctorIhLi3ELi2ELi0EEEJSt10multipliesIhEhEEEvT_T0_DpT1_
; %bb.0:
	v_mov_b32_e32 v1, s6
	global_load_ubyte v1, v1, s[4:5] offset:1536
	s_load_dword s0, s[4:5], 0xc48
	s_mul_i32 s2, s6, 3
	s_mul_hi_u32 s1, s6, 3
	v_mov_b32_e32 v3, 0
	s_waitcnt lgkmcnt(0)
	s_lshr_b32 s20, s0, 16
	s_add_u32 s0, s4, s6
	s_addc_u32 s3, s5, 0
	s_add_u32 s0, s0, s2
	s_addc_u32 s1, s3, s1
	s_waitcnt vmcnt(0)
	v_readfirstlane_b32 s2, v1
	s_lshl_b32 s7, s2, 3
	s_load_dwordx2 s[2:3], s[4:5], s7 offset:0x180
	s_load_dwordx2 s[8:9], s[4:5], s7 offset:0x300
	s_waitcnt lgkmcnt(0)
	s_nop 0
	global_load_ubyte v1, v3, s[2:3]
	s_load_dword s6, s[0:1], 0x740
	s_load_dwordx2 s[10:11], s[4:5], s7 offset:0x0
	s_load_dwordx2 s[14:15], s[4:5], s7 offset:0x480
	s_mov_b32 s1, 0
	s_waitcnt lgkmcnt(0)
	s_ashr_i32 s7, s6, 31
	s_lshl_b64 s[12:13], s[6:7], 16
	s_add_u32 s6, s10, s12
	s_addc_u32 s7, s11, s13
	s_add_u32 s0, s2, s12
	s_add_u32 s22, s8, s12
	s_addc_u32 s18, s9, s13
	s_or_b32 s0, s22, s0
	s_and_b32 s0, s0, 3
	s_cmp_lg_u32 s0, 0
	s_cselect_b64 s[16:17], -1, 0
	s_sub_u32 s2, s14, s12
	s_subb_u32 s3, s15, s13
	s_or_b64 s[14:15], s[14:15], s[6:7]
	s_and_b32 s0, s14, 3
	s_cmp_lg_u64 s[0:1], 0
	s_cselect_b64 s[0:1], -1, 0
	s_or_b64 s[0:1], s[16:17], s[0:1]
	s_andn2_b64 vcc, exec, s[0:1]
	s_mov_b64 s[0:1], -1
	s_waitcnt vmcnt(0)
	v_readfirstlane_b32 s21, v1
	s_cbranch_vccz .LBB33_5
; %bb.1:
	v_lshlrev_b32_e32 v2, 2, v0
	v_cmp_gt_i64_e32 vcc, s[2:3], v[2:3]
	s_and_saveexec_b64 s[14:15], vcc
	s_cbranch_execz .LBB33_4
; %bb.2:
	s_load_dword s0, s[4:5], 0xc5c
	s_and_b32 s23, s21, 0xff
	s_and_b32 s1, s20, 0xff
	s_mov_b32 s19, 0
	s_mul_i32 s23, s23, s1
	s_waitcnt lgkmcnt(0)
	s_and_b32 s0, s0, 0xffff
	s_lshl_b32 s24, s0, 2
	s_mov_b64 s[16:17], 0
	v_mov_b32_e32 v1, s7
	v_mov_b32_e32 v4, s18
	s_mov_b32 s7, 0x6050400
	v_mov_b32_e32 v5, s19
	s_mov_b64 s[18:19], 0xffff
.LBB33_3:                               ; =>This Inner Loop Header: Depth=1
	v_add_co_u32_e32 v6, vcc, s6, v2
	v_addc_co_u32_e32 v7, vcc, v1, v3, vcc
	v_add_co_u32_e32 v8, vcc, s22, v2
	v_addc_co_u32_e32 v9, vcc, v4, v3, vcc
	global_load_dword v10, v[6:7], off
	global_load_dword v11, v[8:9], off
	v_add_co_u32_e32 v2, vcc, s24, v2
	v_addc_co_u32_e32 v3, vcc, v5, v3, vcc
	v_cmp_le_i64_e32 vcc, s[2:3], v[2:3]
	v_cmp_lt_u64_e64 s[0:1], s[18:19], v[2:3]
	s_or_b64 s[0:1], vcc, s[0:1]
	s_and_b64 s[0:1], exec, s[0:1]
	s_or_b64 s[16:17], s[0:1], s[16:17]
	s_waitcnt vmcnt(1)
	v_lshrrev_b32_e32 v9, 8, v10
	s_waitcnt vmcnt(0)
	v_lshrrev_b32_e32 v12, 8, v11
	v_lshrrev_b32_e32 v13, 16, v10
	;; [unrolled: 1-line block ×3, first 2 shown]
	v_mad_legacy_u16 v8, s23, v11, v10
	v_lshrrev_b32_e32 v10, 24, v10
	v_lshrrev_b32_e32 v11, 24, v11
	v_mad_legacy_u16 v9, s23, v12, v9
	v_mad_legacy_u16 v12, s23, v14, v13
	v_mad_legacy_u16 v10, s23, v11, v10
	v_and_b32_e32 v9, 0xff, v9
	v_and_b32_e32 v11, 0xff, v12
	v_lshlrev_b32_e32 v10, 24, v10
	v_perm_b32 v8, v9, v8, s7
	v_lshlrev_b32_e32 v9, 16, v11
	v_or3_b32 v8, v8, v9, v10
	global_store_dword v[6:7], v8, off
	s_andn2_b64 exec, exec, s[16:17]
	s_cbranch_execnz .LBB33_3
.LBB33_4:
	s_or_b64 exec, exec, s[14:15]
	s_mov_b64 s[0:1], 0
.LBB33_5:
	s_andn2_b64 vcc, exec, s[0:1]
	s_cbranch_vccnz .LBB33_25
; %bb.6:
	v_cmp_lt_i64_e64 s[0:1], s[2:3], 1
	s_and_b64 vcc, exec, s[0:1]
	s_cbranch_vccnz .LBB33_25
; %bb.7:
	s_load_dword s0, s[4:5], 0xc5c
	v_mov_b32_e32 v2, 0x10000
	v_mov_b32_e32 v3, 0
	s_and_b32 s14, s21, 0xff
	s_and_b32 s1, s20, 0xff
	s_waitcnt lgkmcnt(0)
	s_and_b32 s16, s0, 0xffff
	v_cmp_lt_u64_e32 vcc, s[2:3], v[2:3]
	s_mul_i32 s14, s14, s1
	s_and_b64 s[0:1], vcc, exec
	v_mov_b32_e32 v1, s13
	v_add_co_u32_e32 v2, vcc, s12, v0
	v_addc_co_u32_e32 v3, vcc, 0, v1, vcc
	v_mov_b32_e32 v4, s11
	v_add_co_u32_e32 v1, vcc, s10, v2
	s_cselect_b32 s7, s3, 0
	s_cselect_b32 s6, s2, 0x10000
	s_lshl_b32 s17, s16, 1
	s_mul_i32 s0, s16, 3
	s_lshl_b32 s15, s16, 2
	v_addc_co_u32_e32 v10, vcc, v4, v3, vcc
	v_mov_b32_e32 v5, s9
	v_add_co_u32_e32 v11, vcc, s8, v2
	s_add_u32 s1, s12, s0
	v_addc_co_u32_e32 v12, vcc, v5, v3, vcc
	s_addc_u32 s9, s13, 0
	v_mov_b32_e32 v6, s9
	v_add_co_u32_e32 v7, vcc, s1, v0
	v_addc_co_u32_e32 v6, vcc, 0, v6, vcc
	v_add_co_u32_e32 v13, vcc, s10, v7
	v_addc_co_u32_e32 v14, vcc, v4, v6, vcc
	;; [unrolled: 2-line block ×3, first 2 shown]
	v_add_co_u32_e32 v17, vcc, s0, v0
	v_addc_co_u32_e64 v18, s[0:1], 0, 0, vcc
	s_add_u32 s0, s12, s17
	s_addc_u32 s1, s13, 0
	v_mov_b32_e32 v6, s1
	v_add_co_u32_e32 v7, vcc, s0, v0
	v_addc_co_u32_e32 v6, vcc, 0, v6, vcc
	v_add_co_u32_e32 v19, vcc, s10, v7
	v_addc_co_u32_e32 v20, vcc, v4, v6, vcc
	;; [unrolled: 2-line block ×3, first 2 shown]
	v_add_co_u32_e32 v23, vcc, s17, v0
	v_addc_co_u32_e64 v24, s[0:1], 0, 0, vcc
	v_add_co_u32_e32 v2, vcc, s16, v2
	v_addc_co_u32_e32 v3, vcc, 0, v3, vcc
	v_add_co_u32_e32 v25, vcc, s10, v2
	v_addc_co_u32_e32 v26, vcc, v4, v3, vcc
	v_add_co_u32_e32 v27, vcc, s8, v2
	v_addc_co_u32_e32 v28, vcc, v5, v3, vcc
	v_add_co_u32_e32 v29, vcc, s16, v0
	s_mov_b64 s[4:5], 0x10000
	v_addc_co_u32_e64 v30, s[0:1], 0, 0, vcc
	s_mov_b64 s[8:9], 0
	s_branch .LBB33_9
.LBB33_8:                               ;   in Loop: Header=BB33_9 Depth=1
	s_or_b64 exec, exec, s[0:1]
	s_add_u32 s8, s8, s15
	s_addc_u32 s9, s9, 0
	v_pk_mov_b32 v[2:3], s[2:3], s[2:3] op_sel:[0,1]
	v_cmp_ge_i64_e32 vcc, s[8:9], v[2:3]
	v_mov_b32_e32 v2, 0xffff
	v_mov_b32_e32 v3, 0
	v_cmp_gt_u64_e64 s[0:1], s[8:9], v[2:3]
	s_or_b64 s[0:1], vcc, s[0:1]
	s_and_b64 vcc, exec, s[0:1]
	s_cbranch_vccnz .LBB33_25
.LBB33_9:                               ; =>This Inner Loop Header: Depth=1
	v_mov_b32_e32 v3, s9
	v_add_co_u32_e32 v2, vcc, s8, v0
	v_addc_co_u32_e32 v3, vcc, 0, v3, vcc
	v_cmp_gt_i64_e32 vcc, s[2:3], v[2:3]
	v_cmp_gt_u64_e64 s[0:1], s[4:5], v[2:3]
	s_and_b64 s[10:11], vcc, s[0:1]
	s_waitcnt vmcnt(0)
	v_mov_b32_e32 v31, 0
	v_mov_b32_e32 v32, 0
	s_and_saveexec_b64 s[0:1], s[10:11]
	s_cbranch_execz .LBB33_11
; %bb.10:                               ;   in Loop: Header=BB33_9 Depth=1
	v_mov_b32_e32 v7, s9
	v_add_co_u32_e32 v4, vcc, s8, v1
	v_addc_co_u32_e32 v5, vcc, v10, v7, vcc
	v_add_co_u32_e32 v6, vcc, s8, v11
	v_addc_co_u32_e32 v7, vcc, v12, v7, vcc
	global_load_ubyte v32, v[4:5], off
	global_load_ubyte v31, v[6:7], off
.LBB33_11:                              ;   in Loop: Header=BB33_9 Depth=1
	s_or_b64 exec, exec, s[0:1]
	v_mov_b32_e32 v5, s9
	v_add_co_u32_e32 v4, vcc, s8, v29
	v_addc_co_u32_e32 v5, vcc, v30, v5, vcc
	v_cmp_gt_i64_e32 vcc, s[2:3], v[4:5]
	v_cmp_gt_u64_e64 s[0:1], s[4:5], v[4:5]
	s_and_b64 s[10:11], vcc, s[0:1]
	s_and_saveexec_b64 s[0:1], s[10:11]
	s_cbranch_execz .LBB33_13
; %bb.12:                               ;   in Loop: Header=BB33_9 Depth=1
	v_mov_b32_e32 v9, s9
	v_add_co_u32_e32 v6, vcc, s8, v27
	v_addc_co_u32_e32 v7, vcc, v28, v9, vcc
	v_add_co_u32_e32 v8, vcc, s8, v25
	v_addc_co_u32_e32 v9, vcc, v26, v9, vcc
	global_load_ubyte v33, v[8:9], off
	global_load_ubyte v34, v[6:7], off
	s_waitcnt vmcnt(1)
	v_lshl_or_b32 v32, v33, 8, v32
	s_waitcnt vmcnt(0)
	v_lshl_or_b32 v31, v34, 8, v31
.LBB33_13:                              ;   in Loop: Header=BB33_9 Depth=1
	s_or_b64 exec, exec, s[0:1]
	v_mov_b32_e32 v7, s9
	v_add_co_u32_e32 v6, vcc, s8, v23
	v_addc_co_u32_e32 v7, vcc, v24, v7, vcc
	v_cmp_gt_i64_e32 vcc, s[2:3], v[6:7]
	v_cmp_gt_u64_e64 s[0:1], s[4:5], v[6:7]
	s_and_b64 s[10:11], vcc, s[0:1]
	s_and_saveexec_b64 s[0:1], s[10:11]
	s_cbranch_execz .LBB33_15
; %bb.14:                               ;   in Loop: Header=BB33_9 Depth=1
	v_mov_b32_e32 v33, s9
	v_add_co_u32_e32 v8, vcc, s8, v21
	v_addc_co_u32_e32 v9, vcc, v22, v33, vcc
	v_add_co_u32_e32 v34, vcc, s8, v19
	v_addc_co_u32_e32 v35, vcc, v20, v33, vcc
	global_load_ubyte v33, v[34:35], off
	global_load_ubyte v36, v[8:9], off
	s_waitcnt vmcnt(1)
	v_lshl_or_b32 v32, v33, 16, v32
	s_waitcnt vmcnt(0)
	v_lshl_or_b32 v31, v36, 16, v31
.LBB33_15:                              ;   in Loop: Header=BB33_9 Depth=1
	s_or_b64 exec, exec, s[0:1]
	v_mov_b32_e32 v9, s9
	v_add_co_u32_e32 v8, vcc, s8, v17
	v_addc_co_u32_e32 v9, vcc, v18, v9, vcc
	v_cmp_gt_i64_e32 vcc, s[2:3], v[8:9]
	v_cmp_gt_u64_e64 s[0:1], s[4:5], v[8:9]
	s_and_b64 s[10:11], vcc, s[0:1]
	s_and_saveexec_b64 s[0:1], s[10:11]
	s_cbranch_execnz .LBB33_20
; %bb.16:                               ;   in Loop: Header=BB33_9 Depth=1
	s_or_b64 exec, exec, s[0:1]
	v_cmp_gt_u64_e32 vcc, s[6:7], v[2:3]
	s_and_saveexec_b64 s[0:1], vcc
	s_cbranch_execnz .LBB33_21
.LBB33_17:                              ;   in Loop: Header=BB33_9 Depth=1
	s_or_b64 exec, exec, s[0:1]
	v_cmp_gt_u64_e32 vcc, s[6:7], v[4:5]
	s_and_saveexec_b64 s[0:1], vcc
	s_cbranch_execnz .LBB33_22
.LBB33_18:                              ;   in Loop: Header=BB33_9 Depth=1
	s_or_b64 exec, exec, s[0:1]
	v_cmp_gt_u64_e32 vcc, s[6:7], v[6:7]
	s_and_saveexec_b64 s[0:1], vcc
	s_cbranch_execnz .LBB33_23
.LBB33_19:                              ;   in Loop: Header=BB33_9 Depth=1
	s_or_b64 exec, exec, s[0:1]
	v_cmp_gt_u64_e32 vcc, s[6:7], v[8:9]
	s_and_saveexec_b64 s[0:1], vcc
	s_cbranch_execz .LBB33_8
	s_branch .LBB33_24
.LBB33_20:                              ;   in Loop: Header=BB33_9 Depth=1
	v_mov_b32_e32 v33, s9
	v_add_co_u32_e32 v34, vcc, s8, v15
	v_addc_co_u32_e32 v35, vcc, v16, v33, vcc
	v_add_co_u32_e32 v36, vcc, s8, v13
	v_addc_co_u32_e32 v37, vcc, v14, v33, vcc
	global_load_ubyte v33, v[36:37], off
	global_load_ubyte v38, v[34:35], off
	s_waitcnt vmcnt(1)
	v_lshl_or_b32 v32, v33, 24, v32
	s_waitcnt vmcnt(0)
	v_lshl_or_b32 v31, v38, 24, v31
	s_or_b64 exec, exec, s[0:1]
	v_cmp_gt_u64_e32 vcc, s[6:7], v[2:3]
	s_and_saveexec_b64 s[0:1], vcc
	s_cbranch_execz .LBB33_17
.LBB33_21:                              ;   in Loop: Header=BB33_9 Depth=1
	v_mov_b32_e32 v3, s9
	v_add_co_u32_e32 v2, vcc, s8, v1
	s_waitcnt vmcnt(0)
	v_mad_legacy_u16 v33, s14, v31, v32
	v_addc_co_u32_e32 v3, vcc, v10, v3, vcc
	global_store_byte v[2:3], v33, off
	s_or_b64 exec, exec, s[0:1]
	v_cmp_gt_u64_e32 vcc, s[6:7], v[4:5]
	s_and_saveexec_b64 s[0:1], vcc
	s_cbranch_execz .LBB33_18
.LBB33_22:                              ;   in Loop: Header=BB33_9 Depth=1
	s_waitcnt vmcnt(1)
	v_lshrrev_b32_e32 v2, 8, v32
	s_waitcnt vmcnt(0)
	v_lshrrev_b32_e32 v3, 8, v31
	v_mad_legacy_u16 v4, s14, v3, v2
	v_mov_b32_e32 v3, s9
	v_add_co_u32_e32 v2, vcc, s8, v25
	v_addc_co_u32_e32 v3, vcc, v26, v3, vcc
	global_store_byte v[2:3], v4, off
	s_or_b64 exec, exec, s[0:1]
	v_cmp_gt_u64_e32 vcc, s[6:7], v[6:7]
	s_and_saveexec_b64 s[0:1], vcc
	s_cbranch_execz .LBB33_19
.LBB33_23:                              ;   in Loop: Header=BB33_9 Depth=1
	s_waitcnt vmcnt(1)
	v_lshrrev_b32_e32 v2, 16, v32
	s_waitcnt vmcnt(0)
	v_lshrrev_b32_e32 v3, 16, v31
	v_mad_legacy_u16 v4, s14, v3, v2
	v_mov_b32_e32 v3, s9
	v_add_co_u32_e32 v2, vcc, s8, v19
	v_addc_co_u32_e32 v3, vcc, v20, v3, vcc
	global_store_byte v[2:3], v4, off
	s_or_b64 exec, exec, s[0:1]
	v_cmp_gt_u64_e32 vcc, s[6:7], v[8:9]
	s_and_saveexec_b64 s[0:1], vcc
	s_cbranch_execz .LBB33_8
.LBB33_24:                              ;   in Loop: Header=BB33_9 Depth=1
	s_waitcnt vmcnt(1)
	v_lshrrev_b32_e32 v2, 24, v32
	s_waitcnt vmcnt(0)
	v_lshrrev_b32_e32 v3, 24, v31
	v_mad_legacy_u16 v4, s14, v3, v2
	v_mov_b32_e32 v3, s9
	v_add_co_u32_e32 v2, vcc, s8, v13
	v_addc_co_u32_e32 v3, vcc, v14, v3, vcc
	global_store_byte v[2:3], v4, off
	s_branch .LBB33_8
.LBB33_25:
	s_endpgm
	.section	.rodata,"a",@progbits
	.p2align	6, 0x0
	.amdhsa_kernel _ZN2at6native12_GLOBAL__N_125multi_tensor_apply_kernelINS1_18TensorListMetadataILi3EEENS1_32PointwiseOpScalar0dTensorFunctorIhLi3ELi2ELi0EEEJSt10multipliesIhEhEEEvT_T0_DpT1_
		.amdhsa_group_segment_fixed_size 0
		.amdhsa_private_segment_fixed_size 0
		.amdhsa_kernarg_size 3408
		.amdhsa_user_sgpr_count 6
		.amdhsa_user_sgpr_private_segment_buffer 1
		.amdhsa_user_sgpr_dispatch_ptr 0
		.amdhsa_user_sgpr_queue_ptr 0
		.amdhsa_user_sgpr_kernarg_segment_ptr 1
		.amdhsa_user_sgpr_dispatch_id 0
		.amdhsa_user_sgpr_flat_scratch_init 0
		.amdhsa_user_sgpr_kernarg_preload_length 0
		.amdhsa_user_sgpr_kernarg_preload_offset 0
		.amdhsa_user_sgpr_private_segment_size 0
		.amdhsa_uses_dynamic_stack 0
		.amdhsa_system_sgpr_private_segment_wavefront_offset 0
		.amdhsa_system_sgpr_workgroup_id_x 1
		.amdhsa_system_sgpr_workgroup_id_y 0
		.amdhsa_system_sgpr_workgroup_id_z 0
		.amdhsa_system_sgpr_workgroup_info 0
		.amdhsa_system_vgpr_workitem_id 0
		.amdhsa_next_free_vgpr 39
		.amdhsa_next_free_sgpr 25
		.amdhsa_accum_offset 40
		.amdhsa_reserve_vcc 1
		.amdhsa_reserve_flat_scratch 0
		.amdhsa_float_round_mode_32 0
		.amdhsa_float_round_mode_16_64 0
		.amdhsa_float_denorm_mode_32 3
		.amdhsa_float_denorm_mode_16_64 3
		.amdhsa_dx10_clamp 1
		.amdhsa_ieee_mode 1
		.amdhsa_fp16_overflow 0
		.amdhsa_tg_split 0
		.amdhsa_exception_fp_ieee_invalid_op 0
		.amdhsa_exception_fp_denorm_src 0
		.amdhsa_exception_fp_ieee_div_zero 0
		.amdhsa_exception_fp_ieee_overflow 0
		.amdhsa_exception_fp_ieee_underflow 0
		.amdhsa_exception_fp_ieee_inexact 0
		.amdhsa_exception_int_div_zero 0
	.end_amdhsa_kernel
	.section	.text._ZN2at6native12_GLOBAL__N_125multi_tensor_apply_kernelINS1_18TensorListMetadataILi3EEENS1_32PointwiseOpScalar0dTensorFunctorIhLi3ELi2ELi0EEEJSt10multipliesIhEhEEEvT_T0_DpT1_,"axG",@progbits,_ZN2at6native12_GLOBAL__N_125multi_tensor_apply_kernelINS1_18TensorListMetadataILi3EEENS1_32PointwiseOpScalar0dTensorFunctorIhLi3ELi2ELi0EEEJSt10multipliesIhEhEEEvT_T0_DpT1_,comdat
.Lfunc_end33:
	.size	_ZN2at6native12_GLOBAL__N_125multi_tensor_apply_kernelINS1_18TensorListMetadataILi3EEENS1_32PointwiseOpScalar0dTensorFunctorIhLi3ELi2ELi0EEEJSt10multipliesIhEhEEEvT_T0_DpT1_, .Lfunc_end33-_ZN2at6native12_GLOBAL__N_125multi_tensor_apply_kernelINS1_18TensorListMetadataILi3EEENS1_32PointwiseOpScalar0dTensorFunctorIhLi3ELi2ELi0EEEJSt10multipliesIhEhEEEvT_T0_DpT1_
                                        ; -- End function
	.section	.AMDGPU.csdata,"",@progbits
; Kernel info:
; codeLenInByte = 1548
; NumSgprs: 29
; NumVgprs: 39
; NumAgprs: 0
; TotalNumVgprs: 39
; ScratchSize: 0
; MemoryBound: 0
; FloatMode: 240
; IeeeMode: 1
; LDSByteSize: 0 bytes/workgroup (compile time only)
; SGPRBlocks: 3
; VGPRBlocks: 4
; NumSGPRsForWavesPerEU: 29
; NumVGPRsForWavesPerEU: 39
; AccumOffset: 40
; Occupancy: 8
; WaveLimiterHint : 0
; COMPUTE_PGM_RSRC2:SCRATCH_EN: 0
; COMPUTE_PGM_RSRC2:USER_SGPR: 6
; COMPUTE_PGM_RSRC2:TRAP_HANDLER: 0
; COMPUTE_PGM_RSRC2:TGID_X_EN: 1
; COMPUTE_PGM_RSRC2:TGID_Y_EN: 0
; COMPUTE_PGM_RSRC2:TGID_Z_EN: 0
; COMPUTE_PGM_RSRC2:TIDIG_COMP_CNT: 0
; COMPUTE_PGM_RSRC3_GFX90A:ACCUM_OFFSET: 9
; COMPUTE_PGM_RSRC3_GFX90A:TG_SPLIT: 0
	.section	.text._ZN2at6native12_GLOBAL__N_125multi_tensor_apply_kernelINS1_18TensorListMetadataILi3EEENS1_32PointwiseOpScalar0dTensorFunctorIaLi3ELi2ELi0EEEJSt10multipliesIaEaEEEvT_T0_DpT1_,"axG",@progbits,_ZN2at6native12_GLOBAL__N_125multi_tensor_apply_kernelINS1_18TensorListMetadataILi3EEENS1_32PointwiseOpScalar0dTensorFunctorIaLi3ELi2ELi0EEEJSt10multipliesIaEaEEEvT_T0_DpT1_,comdat
	.globl	_ZN2at6native12_GLOBAL__N_125multi_tensor_apply_kernelINS1_18TensorListMetadataILi3EEENS1_32PointwiseOpScalar0dTensorFunctorIaLi3ELi2ELi0EEEJSt10multipliesIaEaEEEvT_T0_DpT1_ ; -- Begin function _ZN2at6native12_GLOBAL__N_125multi_tensor_apply_kernelINS1_18TensorListMetadataILi3EEENS1_32PointwiseOpScalar0dTensorFunctorIaLi3ELi2ELi0EEEJSt10multipliesIaEaEEEvT_T0_DpT1_
	.p2align	8
	.type	_ZN2at6native12_GLOBAL__N_125multi_tensor_apply_kernelINS1_18TensorListMetadataILi3EEENS1_32PointwiseOpScalar0dTensorFunctorIaLi3ELi2ELi0EEEJSt10multipliesIaEaEEEvT_T0_DpT1_,@function
_ZN2at6native12_GLOBAL__N_125multi_tensor_apply_kernelINS1_18TensorListMetadataILi3EEENS1_32PointwiseOpScalar0dTensorFunctorIaLi3ELi2ELi0EEEJSt10multipliesIaEaEEEvT_T0_DpT1_: ; @_ZN2at6native12_GLOBAL__N_125multi_tensor_apply_kernelINS1_18TensorListMetadataILi3EEENS1_32PointwiseOpScalar0dTensorFunctorIaLi3ELi2ELi0EEEJSt10multipliesIaEaEEEvT_T0_DpT1_
; %bb.0:
	v_mov_b32_e32 v1, s6
	global_load_ubyte v1, v1, s[4:5] offset:1536
	s_load_dword s0, s[4:5], 0xc48
	s_mul_i32 s2, s6, 3
	s_mul_hi_u32 s1, s6, 3
	v_mov_b32_e32 v3, 0
	s_waitcnt lgkmcnt(0)
	s_lshr_b32 s20, s0, 16
	s_add_u32 s0, s4, s6
	s_addc_u32 s3, s5, 0
	s_add_u32 s0, s0, s2
	s_addc_u32 s1, s3, s1
	s_waitcnt vmcnt(0)
	v_readfirstlane_b32 s2, v1
	s_lshl_b32 s7, s2, 3
	s_load_dwordx2 s[2:3], s[4:5], s7 offset:0x180
	s_load_dwordx2 s[8:9], s[4:5], s7 offset:0x300
	s_waitcnt lgkmcnt(0)
	s_nop 0
	global_load_ubyte v1, v3, s[2:3]
	s_load_dword s6, s[0:1], 0x740
	s_load_dwordx2 s[10:11], s[4:5], s7 offset:0x0
	s_load_dwordx2 s[14:15], s[4:5], s7 offset:0x480
	s_mov_b32 s1, 0
	s_waitcnt lgkmcnt(0)
	s_ashr_i32 s7, s6, 31
	s_lshl_b64 s[12:13], s[6:7], 16
	s_add_u32 s6, s10, s12
	s_addc_u32 s7, s11, s13
	s_add_u32 s0, s2, s12
	s_add_u32 s22, s8, s12
	s_addc_u32 s18, s9, s13
	s_or_b32 s0, s22, s0
	s_and_b32 s0, s0, 3
	s_cmp_lg_u32 s0, 0
	s_cselect_b64 s[16:17], -1, 0
	s_sub_u32 s2, s14, s12
	s_subb_u32 s3, s15, s13
	s_or_b64 s[14:15], s[14:15], s[6:7]
	s_and_b32 s0, s14, 3
	s_cmp_lg_u64 s[0:1], 0
	s_cselect_b64 s[0:1], -1, 0
	s_or_b64 s[0:1], s[16:17], s[0:1]
	s_andn2_b64 vcc, exec, s[0:1]
	s_mov_b64 s[0:1], -1
	s_waitcnt vmcnt(0)
	v_readfirstlane_b32 s21, v1
	s_cbranch_vccz .LBB34_5
; %bb.1:
	v_lshlrev_b32_e32 v2, 2, v0
	v_cmp_gt_i64_e32 vcc, s[2:3], v[2:3]
	s_and_saveexec_b64 s[14:15], vcc
	s_cbranch_execz .LBB34_4
; %bb.2:
	s_load_dword s0, s[4:5], 0xc5c
	s_and_b32 s23, s21, 0xff
	s_and_b32 s1, s20, 0xff
	s_mov_b32 s19, 0
	s_mul_i32 s23, s23, s1
	s_waitcnt lgkmcnt(0)
	s_and_b32 s0, s0, 0xffff
	s_lshl_b32 s24, s0, 2
	s_mov_b64 s[16:17], 0
	v_mov_b32_e32 v1, s7
	v_mov_b32_e32 v4, s18
	s_mov_b32 s7, 0x6050400
	v_mov_b32_e32 v5, s19
	s_mov_b64 s[18:19], 0xffff
.LBB34_3:                               ; =>This Inner Loop Header: Depth=1
	v_add_co_u32_e32 v6, vcc, s6, v2
	v_addc_co_u32_e32 v7, vcc, v1, v3, vcc
	v_add_co_u32_e32 v8, vcc, s22, v2
	v_addc_co_u32_e32 v9, vcc, v4, v3, vcc
	global_load_dword v10, v[6:7], off
	global_load_dword v11, v[8:9], off
	v_add_co_u32_e32 v2, vcc, s24, v2
	v_addc_co_u32_e32 v3, vcc, v5, v3, vcc
	v_cmp_le_i64_e32 vcc, s[2:3], v[2:3]
	v_cmp_lt_u64_e64 s[0:1], s[18:19], v[2:3]
	s_or_b64 s[0:1], vcc, s[0:1]
	s_and_b64 s[0:1], exec, s[0:1]
	s_or_b64 s[16:17], s[0:1], s[16:17]
	s_waitcnt vmcnt(1)
	v_lshrrev_b32_e32 v9, 8, v10
	s_waitcnt vmcnt(0)
	v_lshrrev_b32_e32 v12, 8, v11
	v_lshrrev_b32_e32 v13, 16, v10
	;; [unrolled: 1-line block ×3, first 2 shown]
	v_mad_legacy_u16 v8, s23, v11, v10
	v_lshrrev_b32_e32 v10, 24, v10
	v_lshrrev_b32_e32 v11, 24, v11
	v_mad_legacy_u16 v9, s23, v12, v9
	v_mad_legacy_u16 v12, s23, v14, v13
	;; [unrolled: 1-line block ×3, first 2 shown]
	v_and_b32_e32 v9, 0xff, v9
	v_and_b32_e32 v11, 0xff, v12
	v_lshlrev_b32_e32 v10, 24, v10
	v_perm_b32 v8, v9, v8, s7
	v_lshlrev_b32_e32 v9, 16, v11
	v_or3_b32 v8, v8, v9, v10
	global_store_dword v[6:7], v8, off
	s_andn2_b64 exec, exec, s[16:17]
	s_cbranch_execnz .LBB34_3
.LBB34_4:
	s_or_b64 exec, exec, s[14:15]
	s_mov_b64 s[0:1], 0
.LBB34_5:
	s_andn2_b64 vcc, exec, s[0:1]
	s_cbranch_vccnz .LBB34_25
; %bb.6:
	v_cmp_lt_i64_e64 s[0:1], s[2:3], 1
	s_and_b64 vcc, exec, s[0:1]
	s_cbranch_vccnz .LBB34_25
; %bb.7:
	s_load_dword s0, s[4:5], 0xc5c
	v_mov_b32_e32 v2, 0x10000
	v_mov_b32_e32 v3, 0
	s_and_b32 s14, s21, 0xff
	s_and_b32 s1, s20, 0xff
	s_waitcnt lgkmcnt(0)
	s_and_b32 s16, s0, 0xffff
	v_cmp_lt_u64_e32 vcc, s[2:3], v[2:3]
	s_mul_i32 s14, s14, s1
	s_and_b64 s[0:1], vcc, exec
	v_mov_b32_e32 v1, s13
	v_add_co_u32_e32 v2, vcc, s12, v0
	v_addc_co_u32_e32 v3, vcc, 0, v1, vcc
	v_mov_b32_e32 v4, s11
	v_add_co_u32_e32 v1, vcc, s10, v2
	s_cselect_b32 s7, s3, 0
	s_cselect_b32 s6, s2, 0x10000
	s_lshl_b32 s17, s16, 1
	s_mul_i32 s0, s16, 3
	s_lshl_b32 s15, s16, 2
	v_addc_co_u32_e32 v10, vcc, v4, v3, vcc
	v_mov_b32_e32 v5, s9
	v_add_co_u32_e32 v11, vcc, s8, v2
	s_add_u32 s1, s12, s0
	v_addc_co_u32_e32 v12, vcc, v5, v3, vcc
	s_addc_u32 s9, s13, 0
	v_mov_b32_e32 v6, s9
	v_add_co_u32_e32 v7, vcc, s1, v0
	v_addc_co_u32_e32 v6, vcc, 0, v6, vcc
	v_add_co_u32_e32 v13, vcc, s10, v7
	v_addc_co_u32_e32 v14, vcc, v4, v6, vcc
	;; [unrolled: 2-line block ×3, first 2 shown]
	v_add_co_u32_e32 v17, vcc, s0, v0
	v_addc_co_u32_e64 v18, s[0:1], 0, 0, vcc
	s_add_u32 s0, s12, s17
	s_addc_u32 s1, s13, 0
	v_mov_b32_e32 v6, s1
	v_add_co_u32_e32 v7, vcc, s0, v0
	v_addc_co_u32_e32 v6, vcc, 0, v6, vcc
	v_add_co_u32_e32 v19, vcc, s10, v7
	v_addc_co_u32_e32 v20, vcc, v4, v6, vcc
	;; [unrolled: 2-line block ×3, first 2 shown]
	v_add_co_u32_e32 v23, vcc, s17, v0
	v_addc_co_u32_e64 v24, s[0:1], 0, 0, vcc
	v_add_co_u32_e32 v2, vcc, s16, v2
	v_addc_co_u32_e32 v3, vcc, 0, v3, vcc
	v_add_co_u32_e32 v25, vcc, s10, v2
	v_addc_co_u32_e32 v26, vcc, v4, v3, vcc
	;; [unrolled: 2-line block ×3, first 2 shown]
	v_add_co_u32_e32 v29, vcc, s16, v0
	s_mov_b64 s[4:5], 0x10000
	v_addc_co_u32_e64 v30, s[0:1], 0, 0, vcc
	s_mov_b64 s[8:9], 0
	s_branch .LBB34_9
.LBB34_8:                               ;   in Loop: Header=BB34_9 Depth=1
	s_or_b64 exec, exec, s[0:1]
	s_add_u32 s8, s8, s15
	s_addc_u32 s9, s9, 0
	v_pk_mov_b32 v[2:3], s[2:3], s[2:3] op_sel:[0,1]
	v_cmp_ge_i64_e32 vcc, s[8:9], v[2:3]
	v_mov_b32_e32 v2, 0xffff
	v_mov_b32_e32 v3, 0
	v_cmp_gt_u64_e64 s[0:1], s[8:9], v[2:3]
	s_or_b64 s[0:1], vcc, s[0:1]
	s_and_b64 vcc, exec, s[0:1]
	s_cbranch_vccnz .LBB34_25
.LBB34_9:                               ; =>This Inner Loop Header: Depth=1
	v_mov_b32_e32 v3, s9
	v_add_co_u32_e32 v2, vcc, s8, v0
	v_addc_co_u32_e32 v3, vcc, 0, v3, vcc
	v_cmp_gt_i64_e32 vcc, s[2:3], v[2:3]
	v_cmp_gt_u64_e64 s[0:1], s[4:5], v[2:3]
	s_and_b64 s[10:11], vcc, s[0:1]
	s_waitcnt vmcnt(0)
	v_mov_b32_e32 v31, 0
	v_mov_b32_e32 v32, 0
	s_and_saveexec_b64 s[0:1], s[10:11]
	s_cbranch_execz .LBB34_11
; %bb.10:                               ;   in Loop: Header=BB34_9 Depth=1
	v_mov_b32_e32 v7, s9
	v_add_co_u32_e32 v4, vcc, s8, v1
	v_addc_co_u32_e32 v5, vcc, v10, v7, vcc
	v_add_co_u32_e32 v6, vcc, s8, v11
	v_addc_co_u32_e32 v7, vcc, v12, v7, vcc
	global_load_ubyte v32, v[4:5], off
	global_load_ubyte v31, v[6:7], off
.LBB34_11:                              ;   in Loop: Header=BB34_9 Depth=1
	s_or_b64 exec, exec, s[0:1]
	v_mov_b32_e32 v5, s9
	v_add_co_u32_e32 v4, vcc, s8, v29
	v_addc_co_u32_e32 v5, vcc, v30, v5, vcc
	v_cmp_gt_i64_e32 vcc, s[2:3], v[4:5]
	v_cmp_gt_u64_e64 s[0:1], s[4:5], v[4:5]
	s_and_b64 s[10:11], vcc, s[0:1]
	s_and_saveexec_b64 s[0:1], s[10:11]
	s_cbranch_execz .LBB34_13
; %bb.12:                               ;   in Loop: Header=BB34_9 Depth=1
	v_mov_b32_e32 v9, s9
	v_add_co_u32_e32 v6, vcc, s8, v27
	v_addc_co_u32_e32 v7, vcc, v28, v9, vcc
	v_add_co_u32_e32 v8, vcc, s8, v25
	v_addc_co_u32_e32 v9, vcc, v26, v9, vcc
	global_load_ubyte v33, v[8:9], off
	global_load_ubyte v34, v[6:7], off
	s_waitcnt vmcnt(1)
	v_lshl_or_b32 v32, v33, 8, v32
	s_waitcnt vmcnt(0)
	v_lshl_or_b32 v31, v34, 8, v31
.LBB34_13:                              ;   in Loop: Header=BB34_9 Depth=1
	s_or_b64 exec, exec, s[0:1]
	v_mov_b32_e32 v7, s9
	v_add_co_u32_e32 v6, vcc, s8, v23
	v_addc_co_u32_e32 v7, vcc, v24, v7, vcc
	v_cmp_gt_i64_e32 vcc, s[2:3], v[6:7]
	v_cmp_gt_u64_e64 s[0:1], s[4:5], v[6:7]
	s_and_b64 s[10:11], vcc, s[0:1]
	s_and_saveexec_b64 s[0:1], s[10:11]
	s_cbranch_execz .LBB34_15
; %bb.14:                               ;   in Loop: Header=BB34_9 Depth=1
	v_mov_b32_e32 v33, s9
	v_add_co_u32_e32 v8, vcc, s8, v21
	v_addc_co_u32_e32 v9, vcc, v22, v33, vcc
	v_add_co_u32_e32 v34, vcc, s8, v19
	v_addc_co_u32_e32 v35, vcc, v20, v33, vcc
	global_load_ubyte v33, v[34:35], off
	global_load_ubyte v36, v[8:9], off
	s_waitcnt vmcnt(1)
	v_lshl_or_b32 v32, v33, 16, v32
	s_waitcnt vmcnt(0)
	v_lshl_or_b32 v31, v36, 16, v31
.LBB34_15:                              ;   in Loop: Header=BB34_9 Depth=1
	s_or_b64 exec, exec, s[0:1]
	v_mov_b32_e32 v9, s9
	v_add_co_u32_e32 v8, vcc, s8, v17
	v_addc_co_u32_e32 v9, vcc, v18, v9, vcc
	v_cmp_gt_i64_e32 vcc, s[2:3], v[8:9]
	v_cmp_gt_u64_e64 s[0:1], s[4:5], v[8:9]
	s_and_b64 s[10:11], vcc, s[0:1]
	s_and_saveexec_b64 s[0:1], s[10:11]
	s_cbranch_execnz .LBB34_20
; %bb.16:                               ;   in Loop: Header=BB34_9 Depth=1
	s_or_b64 exec, exec, s[0:1]
	v_cmp_gt_u64_e32 vcc, s[6:7], v[2:3]
	s_and_saveexec_b64 s[0:1], vcc
	s_cbranch_execnz .LBB34_21
.LBB34_17:                              ;   in Loop: Header=BB34_9 Depth=1
	s_or_b64 exec, exec, s[0:1]
	v_cmp_gt_u64_e32 vcc, s[6:7], v[4:5]
	s_and_saveexec_b64 s[0:1], vcc
	s_cbranch_execnz .LBB34_22
.LBB34_18:                              ;   in Loop: Header=BB34_9 Depth=1
	s_or_b64 exec, exec, s[0:1]
	v_cmp_gt_u64_e32 vcc, s[6:7], v[6:7]
	s_and_saveexec_b64 s[0:1], vcc
	s_cbranch_execnz .LBB34_23
.LBB34_19:                              ;   in Loop: Header=BB34_9 Depth=1
	s_or_b64 exec, exec, s[0:1]
	v_cmp_gt_u64_e32 vcc, s[6:7], v[8:9]
	s_and_saveexec_b64 s[0:1], vcc
	s_cbranch_execz .LBB34_8
	s_branch .LBB34_24
.LBB34_20:                              ;   in Loop: Header=BB34_9 Depth=1
	v_mov_b32_e32 v33, s9
	v_add_co_u32_e32 v34, vcc, s8, v15
	v_addc_co_u32_e32 v35, vcc, v16, v33, vcc
	v_add_co_u32_e32 v36, vcc, s8, v13
	v_addc_co_u32_e32 v37, vcc, v14, v33, vcc
	global_load_ubyte v33, v[36:37], off
	global_load_ubyte v38, v[34:35], off
	s_waitcnt vmcnt(1)
	v_lshl_or_b32 v32, v33, 24, v32
	s_waitcnt vmcnt(0)
	v_lshl_or_b32 v31, v38, 24, v31
	s_or_b64 exec, exec, s[0:1]
	v_cmp_gt_u64_e32 vcc, s[6:7], v[2:3]
	s_and_saveexec_b64 s[0:1], vcc
	s_cbranch_execz .LBB34_17
.LBB34_21:                              ;   in Loop: Header=BB34_9 Depth=1
	v_mov_b32_e32 v3, s9
	v_add_co_u32_e32 v2, vcc, s8, v1
	s_waitcnt vmcnt(0)
	v_mad_legacy_u16 v33, s14, v31, v32
	v_addc_co_u32_e32 v3, vcc, v10, v3, vcc
	global_store_byte v[2:3], v33, off
	s_or_b64 exec, exec, s[0:1]
	v_cmp_gt_u64_e32 vcc, s[6:7], v[4:5]
	s_and_saveexec_b64 s[0:1], vcc
	s_cbranch_execz .LBB34_18
.LBB34_22:                              ;   in Loop: Header=BB34_9 Depth=1
	s_waitcnt vmcnt(1)
	v_lshrrev_b32_e32 v2, 8, v32
	s_waitcnt vmcnt(0)
	v_lshrrev_b32_e32 v3, 8, v31
	v_mad_legacy_u16 v4, s14, v3, v2
	v_mov_b32_e32 v3, s9
	v_add_co_u32_e32 v2, vcc, s8, v25
	v_addc_co_u32_e32 v3, vcc, v26, v3, vcc
	global_store_byte v[2:3], v4, off
	s_or_b64 exec, exec, s[0:1]
	v_cmp_gt_u64_e32 vcc, s[6:7], v[6:7]
	s_and_saveexec_b64 s[0:1], vcc
	s_cbranch_execz .LBB34_19
.LBB34_23:                              ;   in Loop: Header=BB34_9 Depth=1
	s_waitcnt vmcnt(1)
	v_lshrrev_b32_e32 v2, 16, v32
	s_waitcnt vmcnt(0)
	v_lshrrev_b32_e32 v3, 16, v31
	v_mad_legacy_u16 v4, s14, v3, v2
	v_mov_b32_e32 v3, s9
	v_add_co_u32_e32 v2, vcc, s8, v19
	v_addc_co_u32_e32 v3, vcc, v20, v3, vcc
	global_store_byte v[2:3], v4, off
	s_or_b64 exec, exec, s[0:1]
	v_cmp_gt_u64_e32 vcc, s[6:7], v[8:9]
	s_and_saveexec_b64 s[0:1], vcc
	s_cbranch_execz .LBB34_8
.LBB34_24:                              ;   in Loop: Header=BB34_9 Depth=1
	s_waitcnt vmcnt(1)
	v_lshrrev_b32_e32 v2, 24, v32
	s_waitcnt vmcnt(0)
	v_lshrrev_b32_e32 v3, 24, v31
	v_mad_legacy_u16 v4, s14, v3, v2
	v_mov_b32_e32 v3, s9
	v_add_co_u32_e32 v2, vcc, s8, v13
	v_addc_co_u32_e32 v3, vcc, v14, v3, vcc
	global_store_byte v[2:3], v4, off
	s_branch .LBB34_8
.LBB34_25:
	s_endpgm
	.section	.rodata,"a",@progbits
	.p2align	6, 0x0
	.amdhsa_kernel _ZN2at6native12_GLOBAL__N_125multi_tensor_apply_kernelINS1_18TensorListMetadataILi3EEENS1_32PointwiseOpScalar0dTensorFunctorIaLi3ELi2ELi0EEEJSt10multipliesIaEaEEEvT_T0_DpT1_
		.amdhsa_group_segment_fixed_size 0
		.amdhsa_private_segment_fixed_size 0
		.amdhsa_kernarg_size 3408
		.amdhsa_user_sgpr_count 6
		.amdhsa_user_sgpr_private_segment_buffer 1
		.amdhsa_user_sgpr_dispatch_ptr 0
		.amdhsa_user_sgpr_queue_ptr 0
		.amdhsa_user_sgpr_kernarg_segment_ptr 1
		.amdhsa_user_sgpr_dispatch_id 0
		.amdhsa_user_sgpr_flat_scratch_init 0
		.amdhsa_user_sgpr_kernarg_preload_length 0
		.amdhsa_user_sgpr_kernarg_preload_offset 0
		.amdhsa_user_sgpr_private_segment_size 0
		.amdhsa_uses_dynamic_stack 0
		.amdhsa_system_sgpr_private_segment_wavefront_offset 0
		.amdhsa_system_sgpr_workgroup_id_x 1
		.amdhsa_system_sgpr_workgroup_id_y 0
		.amdhsa_system_sgpr_workgroup_id_z 0
		.amdhsa_system_sgpr_workgroup_info 0
		.amdhsa_system_vgpr_workitem_id 0
		.amdhsa_next_free_vgpr 39
		.amdhsa_next_free_sgpr 25
		.amdhsa_accum_offset 40
		.amdhsa_reserve_vcc 1
		.amdhsa_reserve_flat_scratch 0
		.amdhsa_float_round_mode_32 0
		.amdhsa_float_round_mode_16_64 0
		.amdhsa_float_denorm_mode_32 3
		.amdhsa_float_denorm_mode_16_64 3
		.amdhsa_dx10_clamp 1
		.amdhsa_ieee_mode 1
		.amdhsa_fp16_overflow 0
		.amdhsa_tg_split 0
		.amdhsa_exception_fp_ieee_invalid_op 0
		.amdhsa_exception_fp_denorm_src 0
		.amdhsa_exception_fp_ieee_div_zero 0
		.amdhsa_exception_fp_ieee_overflow 0
		.amdhsa_exception_fp_ieee_underflow 0
		.amdhsa_exception_fp_ieee_inexact 0
		.amdhsa_exception_int_div_zero 0
	.end_amdhsa_kernel
	.section	.text._ZN2at6native12_GLOBAL__N_125multi_tensor_apply_kernelINS1_18TensorListMetadataILi3EEENS1_32PointwiseOpScalar0dTensorFunctorIaLi3ELi2ELi0EEEJSt10multipliesIaEaEEEvT_T0_DpT1_,"axG",@progbits,_ZN2at6native12_GLOBAL__N_125multi_tensor_apply_kernelINS1_18TensorListMetadataILi3EEENS1_32PointwiseOpScalar0dTensorFunctorIaLi3ELi2ELi0EEEJSt10multipliesIaEaEEEvT_T0_DpT1_,comdat
.Lfunc_end34:
	.size	_ZN2at6native12_GLOBAL__N_125multi_tensor_apply_kernelINS1_18TensorListMetadataILi3EEENS1_32PointwiseOpScalar0dTensorFunctorIaLi3ELi2ELi0EEEJSt10multipliesIaEaEEEvT_T0_DpT1_, .Lfunc_end34-_ZN2at6native12_GLOBAL__N_125multi_tensor_apply_kernelINS1_18TensorListMetadataILi3EEENS1_32PointwiseOpScalar0dTensorFunctorIaLi3ELi2ELi0EEEJSt10multipliesIaEaEEEvT_T0_DpT1_
                                        ; -- End function
	.section	.AMDGPU.csdata,"",@progbits
; Kernel info:
; codeLenInByte = 1548
; NumSgprs: 29
; NumVgprs: 39
; NumAgprs: 0
; TotalNumVgprs: 39
; ScratchSize: 0
; MemoryBound: 0
; FloatMode: 240
; IeeeMode: 1
; LDSByteSize: 0 bytes/workgroup (compile time only)
; SGPRBlocks: 3
; VGPRBlocks: 4
; NumSGPRsForWavesPerEU: 29
; NumVGPRsForWavesPerEU: 39
; AccumOffset: 40
; Occupancy: 8
; WaveLimiterHint : 0
; COMPUTE_PGM_RSRC2:SCRATCH_EN: 0
; COMPUTE_PGM_RSRC2:USER_SGPR: 6
; COMPUTE_PGM_RSRC2:TRAP_HANDLER: 0
; COMPUTE_PGM_RSRC2:TGID_X_EN: 1
; COMPUTE_PGM_RSRC2:TGID_Y_EN: 0
; COMPUTE_PGM_RSRC2:TGID_Z_EN: 0
; COMPUTE_PGM_RSRC2:TIDIG_COMP_CNT: 0
; COMPUTE_PGM_RSRC3_GFX90A:ACCUM_OFFSET: 9
; COMPUTE_PGM_RSRC3_GFX90A:TG_SPLIT: 0
	.section	.text._ZN2at6native12_GLOBAL__N_125multi_tensor_apply_kernelINS1_18TensorListMetadataILi3EEENS1_32PointwiseOpScalar0dTensorFunctorIiLi3ELi2ELi0EEEJSt10multipliesIiEiEEEvT_T0_DpT1_,"axG",@progbits,_ZN2at6native12_GLOBAL__N_125multi_tensor_apply_kernelINS1_18TensorListMetadataILi3EEENS1_32PointwiseOpScalar0dTensorFunctorIiLi3ELi2ELi0EEEJSt10multipliesIiEiEEEvT_T0_DpT1_,comdat
	.globl	_ZN2at6native12_GLOBAL__N_125multi_tensor_apply_kernelINS1_18TensorListMetadataILi3EEENS1_32PointwiseOpScalar0dTensorFunctorIiLi3ELi2ELi0EEEJSt10multipliesIiEiEEEvT_T0_DpT1_ ; -- Begin function _ZN2at6native12_GLOBAL__N_125multi_tensor_apply_kernelINS1_18TensorListMetadataILi3EEENS1_32PointwiseOpScalar0dTensorFunctorIiLi3ELi2ELi0EEEJSt10multipliesIiEiEEEvT_T0_DpT1_
	.p2align	8
	.type	_ZN2at6native12_GLOBAL__N_125multi_tensor_apply_kernelINS1_18TensorListMetadataILi3EEENS1_32PointwiseOpScalar0dTensorFunctorIiLi3ELi2ELi0EEEJSt10multipliesIiEiEEEvT_T0_DpT1_,@function
_ZN2at6native12_GLOBAL__N_125multi_tensor_apply_kernelINS1_18TensorListMetadataILi3EEENS1_32PointwiseOpScalar0dTensorFunctorIiLi3ELi2ELi0EEEJSt10multipliesIiEiEEEvT_T0_DpT1_: ; @_ZN2at6native12_GLOBAL__N_125multi_tensor_apply_kernelINS1_18TensorListMetadataILi3EEENS1_32PointwiseOpScalar0dTensorFunctorIiLi3ELi2ELi0EEEJSt10multipliesIiEiEEEvT_T0_DpT1_
; %bb.0:
	v_mov_b32_e32 v1, s6
	global_load_ubyte v1, v1, s[4:5] offset:1536
	s_add_u32 s0, s4, s6
	s_mul_hi_u32 s1, s6, 3
	s_mul_i32 s6, s6, 3
	s_addc_u32 s2, s5, 0
	s_add_u32 s0, s0, s6
	s_addc_u32 s1, s2, s1
	s_load_dword s2, s[0:1], 0x740
	s_load_dword s20, s[4:5], 0xc4c
	s_mov_b32 s1, 0
	s_mov_b32 s11, s1
	s_waitcnt lgkmcnt(0)
	s_ashr_i32 s3, s2, 31
	s_lshl_b64 s[6:7], s[2:3], 18
	s_waitcnt vmcnt(0)
	v_readfirstlane_b32 s0, v1
	s_lshl_b32 s0, s0, 3
	s_load_dwordx2 s[14:15], s[4:5], s0 offset:0x0
	s_load_dwordx2 s[8:9], s[4:5], s0 offset:0x180
	;; [unrolled: 1-line block ×4, first 2 shown]
	s_waitcnt lgkmcnt(0)
	s_and_b32 s0, s14, 15
	s_add_u32 s10, s8, s6
	s_load_dword s21, s[8:9], 0x0
	s_or_b32 s8, s12, s10
	s_and_b32 s8, s8, 15
	s_cmp_lg_u32 s8, 0
	s_cselect_b64 s[18:19], -1, 0
	s_lshl_b64 s[2:3], s[2:3], 16
	s_sub_u32 s8, s16, s2
	s_subb_u32 s9, s17, s3
	s_and_b32 s10, s16, 3
	s_or_b64 s[2:3], s[0:1], s[10:11]
	s_cmp_lg_u64 s[2:3], 0
	s_cselect_b64 s[2:3], -1, 0
	s_or_b64 s[2:3], s[18:19], s[2:3]
	s_andn2_b64 vcc, exec, s[2:3]
	s_mov_b64 s[2:3], -1
	s_cbranch_vccz .LBB35_5
; %bb.1:
	v_mov_b32_e32 v3, 0
	v_lshlrev_b32_e32 v2, 2, v0
	v_cmp_gt_i64_e32 vcc, s[8:9], v[2:3]
	s_and_saveexec_b64 s[10:11], vcc
	s_cbranch_execz .LBB35_4
; %bb.2:
	s_load_dword s0, s[4:5], 0xc5c
	v_lshlrev_b32_e32 v1, 4, v0
	v_mov_b32_e32 v4, s7
	v_add_co_u32_e32 v1, vcc, s6, v1
	v_addc_co_u32_e32 v5, vcc, 0, v4, vcc
	s_waitcnt lgkmcnt(0)
	s_mul_i32 s22, s21, s20
	s_and_b32 s0, s0, 0xffff
	v_add_co_u32_e32 v4, vcc, 8, v1
	s_mov_b32 s23, s22
	v_add_lshl_u32 v2, v0, s0, 2
	s_lshl_b32 s24, s0, 2
	v_addc_co_u32_e32 v1, vcc, 0, v5, vcc
	s_lshl_b32 s25, s0, 4
	s_mov_b64 s[16:17], 0
	v_mov_b32_e32 v5, s15
	v_mov_b32_e32 v6, s13
	s_mov_b64 s[18:19], 0xffff
	v_mov_b32_e32 v7, s1
	v_mov_b32_e32 v8, s1
.LBB35_3:                               ; =>This Inner Loop Header: Depth=1
	v_add_co_u32_e32 v18, vcc, s14, v4
	v_addc_co_u32_e32 v19, vcc, v5, v1, vcc
	v_add_co_u32_e32 v20, vcc, s12, v4
	v_addc_co_u32_e32 v21, vcc, v6, v1, vcc
	global_load_dwordx4 v[10:13], v[18:19], off offset:-8
	global_load_dwordx4 v[14:17], v[20:21], off offset:-8
	v_cmp_le_i64_e32 vcc, s[8:9], v[2:3]
	v_cmp_lt_u64_e64 s[0:1], s[18:19], v[2:3]
	s_or_b64 s[0:1], vcc, s[0:1]
	v_add_co_u32_e64 v2, s[2:3], s24, v2
	s_and_b64 s[0:1], exec, s[0:1]
	v_addc_co_u32_e64 v3, s[2:3], v3, v7, s[2:3]
	s_or_b64 s[16:17], s[0:1], s[16:17]
	v_add_co_u32_e64 v4, s[2:3], s25, v4
	v_addc_co_u32_e64 v1, s[2:3], v1, v8, s[2:3]
	s_waitcnt vmcnt(1)
	v_mov_b32_e32 v20, v11
	s_waitcnt vmcnt(0)
	v_mad_u64_u32 v[10:11], s[0:1], v14, s22, v[10:11]
	v_mov_b32_e32 v14, v13
	v_mad_u64_u32 v[12:13], s[0:1], v16, s22, v[12:13]
	v_mad_u64_u32 v[20:21], s[0:1], v15, s23, v[20:21]
	;; [unrolled: 1-line block ×3, first 2 shown]
	v_mov_b32_e32 v11, v20
	v_mov_b32_e32 v13, v14
	global_store_dwordx4 v[18:19], v[10:13], off offset:-8
	s_andn2_b64 exec, exec, s[16:17]
	s_cbranch_execnz .LBB35_3
.LBB35_4:
	s_or_b64 exec, exec, s[10:11]
	s_mov_b64 s[2:3], 0
.LBB35_5:
	s_andn2_b64 vcc, exec, s[2:3]
	s_cbranch_vccnz .LBB35_25
; %bb.6:
	v_cmp_lt_i64_e64 s[0:1], s[8:9], 1
	s_and_b64 vcc, exec, s[0:1]
	s_cbranch_vccnz .LBB35_25
; %bb.7:
	s_load_dword s0, s[4:5], 0xc5c
	v_mov_b32_e32 v2, 0x10000
	v_mov_b32_e32 v3, 0
	v_cmp_lt_u64_e32 vcc, s[8:9], v[2:3]
	v_lshlrev_b32_e32 v10, 2, v0
	s_waitcnt lgkmcnt(0)
	s_and_b32 s17, s0, 0xffff
	s_and_b64 s[0:1], vcc, exec
	v_mov_b32_e32 v15, s15
	v_add_co_u32_e32 v2, vcc, s14, v10
	v_mov_b32_e32 v1, 0
	v_addc_co_u32_e32 v3, vcc, 0, v15, vcc
	v_mov_b32_e32 v11, v1
	v_mov_b32_e32 v17, s13
	v_add_co_u32_e32 v4, vcc, s12, v10
	v_addc_co_u32_e32 v5, vcc, 0, v17, vcc
	v_mad_u64_u32 v[8:9], s[0:1], s17, 12, v[10:11]
	v_add_co_u32_e32 v6, vcc, s14, v8
	v_addc_co_u32_e32 v7, vcc, v15, v9, vcc
	v_add_co_u32_e32 v8, vcc, s12, v8
	s_cselect_b32 s5, s9, 0
	s_cselect_b32 s4, s8, 0x10000
	v_addc_co_u32_e32 v9, vcc, v17, v9, vcc
	s_lshl_b32 s0, s17, 3
	v_add_co_u32_e32 v12, vcc, s0, v10
	v_addc_co_u32_e64 v13, s[0:1], 0, 0, vcc
	v_add_co_u32_e32 v10, vcc, s14, v12
	v_addc_co_u32_e32 v11, vcc, v15, v13, vcc
	v_add_co_u32_e32 v12, vcc, s12, v12
	v_addc_co_u32_e32 v13, vcc, v17, v13, vcc
	v_add_lshl_u32 v16, v0, s17, 2
	v_add_co_u32_e32 v14, vcc, s14, v16
	s_mov_b32 s23, 0
	v_addc_co_u32_e32 v15, vcc, 0, v15, vcc
	s_lshl_b32 s10, s17, 2
	s_mov_b32 s11, s23
	v_add_co_u32_e32 v16, vcc, s12, v16
	s_mul_i32 s16, s21, s20
	s_mov_b64 s[2:3], 0x10000
	s_lshl_b32 s18, s17, 1
	s_mov_b32 s19, s23
	s_mul_i32 s20, s17, 3
	s_mov_b32 s21, s23
	s_lshl_b32 s15, s17, 4
	s_mov_b32 s22, s23
	v_addc_co_u32_e32 v17, vcc, 0, v17, vcc
	v_mov_b32_e32 v19, s23
	s_mov_b64 s[12:13], s[10:11]
	s_branch .LBB35_9
.LBB35_8:                               ;   in Loop: Header=BB35_9 Depth=1
	s_or_b64 exec, exec, s[0:1]
	v_pk_mov_b32 v[20:21], s[8:9], s[8:9] op_sel:[0,1]
	v_cmp_ge_i64_e32 vcc, s[12:13], v[20:21]
	v_mov_b32_e32 v20, 0xffff
	v_mov_b32_e32 v21, 0
	v_cmp_gt_u64_e64 s[0:1], s[12:13], v[20:21]
	s_or_b64 s[0:1], vcc, s[0:1]
	s_waitcnt vmcnt(1)
	v_mov_b32_e32 v18, s22
	v_add_co_u32_e32 v2, vcc, s15, v2
	v_addc_co_u32_e32 v3, vcc, v3, v18, vcc
	v_add_co_u32_e32 v4, vcc, s15, v4
	v_addc_co_u32_e32 v5, vcc, v5, v18, vcc
	v_mov_b32_e32 v20, s11
	v_add_co_u32_e32 v0, vcc, s10, v0
	v_addc_co_u32_e32 v1, vcc, v1, v20, vcc
	v_add_co_u32_e32 v6, vcc, s15, v6
	v_addc_co_u32_e32 v7, vcc, v7, v18, vcc
	;; [unrolled: 2-line block ×6, first 2 shown]
	v_add_co_u32_e32 v16, vcc, s15, v16
	s_add_u32 s12, s12, s10
	v_addc_co_u32_e32 v17, vcc, v17, v18, vcc
	s_addc_u32 s13, s13, 0
	s_and_b64 vcc, exec, s[0:1]
	s_cbranch_vccnz .LBB35_25
.LBB35_9:                               ; =>This Inner Loop Header: Depth=1
	v_cmp_gt_i64_e32 vcc, s[8:9], v[0:1]
	v_cmp_gt_u64_e64 s[0:1], s[2:3], v[0:1]
	s_and_b64 s[24:25], vcc, s[0:1]
	s_waitcnt vmcnt(0)
	v_mov_b32_e32 v23, 0
	v_mov_b32_e32 v18, 0
	s_and_saveexec_b64 s[0:1], s[24:25]
	s_cbranch_execz .LBB35_11
; %bb.10:                               ;   in Loop: Header=BB35_9 Depth=1
	v_mov_b32_e32 v18, s7
	v_add_co_u32_e32 v20, vcc, s6, v2
	v_addc_co_u32_e32 v21, vcc, v3, v18, vcc
	v_add_co_u32_e32 v24, vcc, s6, v4
	v_addc_co_u32_e32 v25, vcc, v5, v18, vcc
	global_load_dword v18, v[20:21], off
	global_load_dword v23, v[24:25], off
.LBB35_11:                              ;   in Loop: Header=BB35_9 Depth=1
	s_or_b64 exec, exec, s[0:1]
	v_add_co_u32_e32 v20, vcc, s17, v0
	v_addc_co_u32_e32 v21, vcc, v19, v1, vcc
	v_cmp_gt_i64_e32 vcc, s[8:9], v[20:21]
	v_cmp_gt_u64_e64 s[0:1], s[2:3], v[20:21]
	s_and_b64 s[24:25], vcc, s[0:1]
	v_mov_b32_e32 v27, 0
	v_mov_b32_e32 v31, 0
	;; [unrolled: 1-line block ×3, first 2 shown]
	s_and_saveexec_b64 s[0:1], s[24:25]
	s_cbranch_execz .LBB35_13
; %bb.12:                               ;   in Loop: Header=BB35_9 Depth=1
	v_mov_b32_e32 v22, s7
	v_add_co_u32_e32 v24, vcc, s6, v14
	v_addc_co_u32_e32 v25, vcc, v15, v22, vcc
	v_add_co_u32_e32 v28, vcc, s6, v16
	v_addc_co_u32_e32 v29, vcc, v17, v22, vcc
	global_load_dword v22, v[24:25], off
	global_load_dword v31, v[28:29], off
.LBB35_13:                              ;   in Loop: Header=BB35_9 Depth=1
	s_or_b64 exec, exec, s[0:1]
	v_mov_b32_e32 v25, s19
	v_add_co_u32_e32 v24, vcc, s18, v0
	v_addc_co_u32_e32 v25, vcc, v25, v1, vcc
	v_cmp_gt_i64_e32 vcc, s[8:9], v[24:25]
	v_cmp_gt_u64_e64 s[0:1], s[2:3], v[24:25]
	s_and_b64 s[24:25], vcc, s[0:1]
	v_mov_b32_e32 v26, 0
	s_and_saveexec_b64 s[0:1], s[24:25]
	s_cbranch_execz .LBB35_15
; %bb.14:                               ;   in Loop: Header=BB35_9 Depth=1
	v_mov_b32_e32 v26, s7
	v_add_co_u32_e32 v28, vcc, s6, v10
	v_addc_co_u32_e32 v29, vcc, v11, v26, vcc
	v_add_co_u32_e32 v32, vcc, s6, v12
	v_addc_co_u32_e32 v33, vcc, v13, v26, vcc
	global_load_dword v26, v[28:29], off
	global_load_dword v27, v[32:33], off
.LBB35_15:                              ;   in Loop: Header=BB35_9 Depth=1
	s_or_b64 exec, exec, s[0:1]
	v_mov_b32_e32 v29, s21
	v_add_co_u32_e32 v28, vcc, s20, v0
	v_addc_co_u32_e32 v29, vcc, v29, v1, vcc
	v_cmp_gt_i64_e32 vcc, s[8:9], v[28:29]
	v_cmp_gt_u64_e64 s[0:1], s[2:3], v[28:29]
	s_and_b64 s[24:25], vcc, s[0:1]
	v_mov_b32_e32 v32, 0
	v_mov_b32_e32 v30, 0
	s_and_saveexec_b64 s[0:1], s[24:25]
	s_cbranch_execnz .LBB35_20
; %bb.16:                               ;   in Loop: Header=BB35_9 Depth=1
	s_or_b64 exec, exec, s[0:1]
	v_cmp_gt_u64_e32 vcc, s[4:5], v[0:1]
	s_and_saveexec_b64 s[0:1], vcc
	s_cbranch_execnz .LBB35_21
.LBB35_17:                              ;   in Loop: Header=BB35_9 Depth=1
	s_or_b64 exec, exec, s[0:1]
	v_cmp_gt_u64_e32 vcc, s[4:5], v[20:21]
	s_and_saveexec_b64 s[0:1], vcc
	s_cbranch_execnz .LBB35_22
.LBB35_18:                              ;   in Loop: Header=BB35_9 Depth=1
	s_or_b64 exec, exec, s[0:1]
	v_cmp_gt_u64_e32 vcc, s[4:5], v[24:25]
	s_and_saveexec_b64 s[0:1], vcc
	s_cbranch_execnz .LBB35_23
.LBB35_19:                              ;   in Loop: Header=BB35_9 Depth=1
	s_or_b64 exec, exec, s[0:1]
	v_cmp_gt_u64_e32 vcc, s[4:5], v[28:29]
	s_and_saveexec_b64 s[0:1], vcc
	s_cbranch_execz .LBB35_8
	s_branch .LBB35_24
.LBB35_20:                              ;   in Loop: Header=BB35_9 Depth=1
	v_mov_b32_e32 v30, s7
	v_add_co_u32_e32 v34, vcc, s6, v6
	v_addc_co_u32_e32 v35, vcc, v7, v30, vcc
	v_add_co_u32_e32 v36, vcc, s6, v8
	v_addc_co_u32_e32 v37, vcc, v9, v30, vcc
	global_load_dword v30, v[34:35], off
	global_load_dword v32, v[36:37], off
	s_or_b64 exec, exec, s[0:1]
	v_cmp_gt_u64_e32 vcc, s[4:5], v[0:1]
	s_and_saveexec_b64 s[0:1], vcc
	s_cbranch_execz .LBB35_17
.LBB35_21:                              ;   in Loop: Header=BB35_9 Depth=1
	v_mov_b32_e32 v33, s7
	v_add_co_u32_e32 v34, vcc, s6, v2
	v_addc_co_u32_e32 v35, vcc, v3, v33, vcc
	s_waitcnt vmcnt(0)
	v_mad_u64_u32 v[36:37], s[24:25], v23, s16, v[18:19]
	global_store_dword v[34:35], v36, off
	s_or_b64 exec, exec, s[0:1]
	v_cmp_gt_u64_e32 vcc, s[4:5], v[20:21]
	s_and_saveexec_b64 s[0:1], vcc
	s_cbranch_execz .LBB35_18
.LBB35_22:                              ;   in Loop: Header=BB35_9 Depth=1
	s_waitcnt vmcnt(0)
	v_mad_u64_u32 v[20:21], s[24:25], v31, s16, v[22:23]
	v_mov_b32_e32 v18, s7
	v_add_co_u32_e32 v22, vcc, s6, v14
	v_addc_co_u32_e32 v23, vcc, v15, v18, vcc
	global_store_dword v[22:23], v20, off
	s_or_b64 exec, exec, s[0:1]
	v_cmp_gt_u64_e32 vcc, s[4:5], v[24:25]
	s_and_saveexec_b64 s[0:1], vcc
	s_cbranch_execz .LBB35_19
.LBB35_23:                              ;   in Loop: Header=BB35_9 Depth=1
	s_waitcnt vmcnt(1)
	v_mov_b32_e32 v18, s7
	v_add_co_u32_e32 v22, vcc, s6, v10
	s_waitcnt vmcnt(0)
	v_mad_u64_u32 v[20:21], s[24:25], v27, s16, v[26:27]
	v_addc_co_u32_e32 v23, vcc, v11, v18, vcc
	global_store_dword v[22:23], v20, off
	s_or_b64 exec, exec, s[0:1]
	v_cmp_gt_u64_e32 vcc, s[4:5], v[28:29]
	s_and_saveexec_b64 s[0:1], vcc
	s_cbranch_execz .LBB35_8
.LBB35_24:                              ;   in Loop: Header=BB35_9 Depth=1
	s_waitcnt vmcnt(1)
	v_mov_b32_e32 v18, s7
	v_add_co_u32_e32 v22, vcc, s6, v6
	s_waitcnt vmcnt(0)
	v_mad_u64_u32 v[20:21], s[24:25], v32, s16, v[30:31]
	v_addc_co_u32_e32 v23, vcc, v7, v18, vcc
	global_store_dword v[22:23], v20, off
	s_branch .LBB35_8
.LBB35_25:
	s_endpgm
	.section	.rodata,"a",@progbits
	.p2align	6, 0x0
	.amdhsa_kernel _ZN2at6native12_GLOBAL__N_125multi_tensor_apply_kernelINS1_18TensorListMetadataILi3EEENS1_32PointwiseOpScalar0dTensorFunctorIiLi3ELi2ELi0EEEJSt10multipliesIiEiEEEvT_T0_DpT1_
		.amdhsa_group_segment_fixed_size 0
		.amdhsa_private_segment_fixed_size 0
		.amdhsa_kernarg_size 3408
		.amdhsa_user_sgpr_count 6
		.amdhsa_user_sgpr_private_segment_buffer 1
		.amdhsa_user_sgpr_dispatch_ptr 0
		.amdhsa_user_sgpr_queue_ptr 0
		.amdhsa_user_sgpr_kernarg_segment_ptr 1
		.amdhsa_user_sgpr_dispatch_id 0
		.amdhsa_user_sgpr_flat_scratch_init 0
		.amdhsa_user_sgpr_kernarg_preload_length 0
		.amdhsa_user_sgpr_kernarg_preload_offset 0
		.amdhsa_user_sgpr_private_segment_size 0
		.amdhsa_uses_dynamic_stack 0
		.amdhsa_system_sgpr_private_segment_wavefront_offset 0
		.amdhsa_system_sgpr_workgroup_id_x 1
		.amdhsa_system_sgpr_workgroup_id_y 0
		.amdhsa_system_sgpr_workgroup_id_z 0
		.amdhsa_system_sgpr_workgroup_info 0
		.amdhsa_system_vgpr_workitem_id 0
		.amdhsa_next_free_vgpr 38
		.amdhsa_next_free_sgpr 26
		.amdhsa_accum_offset 40
		.amdhsa_reserve_vcc 1
		.amdhsa_reserve_flat_scratch 0
		.amdhsa_float_round_mode_32 0
		.amdhsa_float_round_mode_16_64 0
		.amdhsa_float_denorm_mode_32 3
		.amdhsa_float_denorm_mode_16_64 3
		.amdhsa_dx10_clamp 1
		.amdhsa_ieee_mode 1
		.amdhsa_fp16_overflow 0
		.amdhsa_tg_split 0
		.amdhsa_exception_fp_ieee_invalid_op 0
		.amdhsa_exception_fp_denorm_src 0
		.amdhsa_exception_fp_ieee_div_zero 0
		.amdhsa_exception_fp_ieee_overflow 0
		.amdhsa_exception_fp_ieee_underflow 0
		.amdhsa_exception_fp_ieee_inexact 0
		.amdhsa_exception_int_div_zero 0
	.end_amdhsa_kernel
	.section	.text._ZN2at6native12_GLOBAL__N_125multi_tensor_apply_kernelINS1_18TensorListMetadataILi3EEENS1_32PointwiseOpScalar0dTensorFunctorIiLi3ELi2ELi0EEEJSt10multipliesIiEiEEEvT_T0_DpT1_,"axG",@progbits,_ZN2at6native12_GLOBAL__N_125multi_tensor_apply_kernelINS1_18TensorListMetadataILi3EEENS1_32PointwiseOpScalar0dTensorFunctorIiLi3ELi2ELi0EEEJSt10multipliesIiEiEEEvT_T0_DpT1_,comdat
.Lfunc_end35:
	.size	_ZN2at6native12_GLOBAL__N_125multi_tensor_apply_kernelINS1_18TensorListMetadataILi3EEENS1_32PointwiseOpScalar0dTensorFunctorIiLi3ELi2ELi0EEEJSt10multipliesIiEiEEEvT_T0_DpT1_, .Lfunc_end35-_ZN2at6native12_GLOBAL__N_125multi_tensor_apply_kernelINS1_18TensorListMetadataILi3EEENS1_32PointwiseOpScalar0dTensorFunctorIiLi3ELi2ELi0EEEJSt10multipliesIiEiEEEvT_T0_DpT1_
                                        ; -- End function
	.section	.AMDGPU.csdata,"",@progbits
; Kernel info:
; codeLenInByte = 1468
; NumSgprs: 30
; NumVgprs: 38
; NumAgprs: 0
; TotalNumVgprs: 38
; ScratchSize: 0
; MemoryBound: 0
; FloatMode: 240
; IeeeMode: 1
; LDSByteSize: 0 bytes/workgroup (compile time only)
; SGPRBlocks: 3
; VGPRBlocks: 4
; NumSGPRsForWavesPerEU: 30
; NumVGPRsForWavesPerEU: 38
; AccumOffset: 40
; Occupancy: 8
; WaveLimiterHint : 0
; COMPUTE_PGM_RSRC2:SCRATCH_EN: 0
; COMPUTE_PGM_RSRC2:USER_SGPR: 6
; COMPUTE_PGM_RSRC2:TRAP_HANDLER: 0
; COMPUTE_PGM_RSRC2:TGID_X_EN: 1
; COMPUTE_PGM_RSRC2:TGID_Y_EN: 0
; COMPUTE_PGM_RSRC2:TGID_Z_EN: 0
; COMPUTE_PGM_RSRC2:TIDIG_COMP_CNT: 0
; COMPUTE_PGM_RSRC3_GFX90A:ACCUM_OFFSET: 9
; COMPUTE_PGM_RSRC3_GFX90A:TG_SPLIT: 0
	.section	.text._ZN2at6native12_GLOBAL__N_125multi_tensor_apply_kernelINS1_18TensorListMetadataILi3EEENS1_32PointwiseOpScalar0dTensorFunctorIlLi3ELi2ELi0EEEJSt10multipliesIlElEEEvT_T0_DpT1_,"axG",@progbits,_ZN2at6native12_GLOBAL__N_125multi_tensor_apply_kernelINS1_18TensorListMetadataILi3EEENS1_32PointwiseOpScalar0dTensorFunctorIlLi3ELi2ELi0EEEJSt10multipliesIlElEEEvT_T0_DpT1_,comdat
	.globl	_ZN2at6native12_GLOBAL__N_125multi_tensor_apply_kernelINS1_18TensorListMetadataILi3EEENS1_32PointwiseOpScalar0dTensorFunctorIlLi3ELi2ELi0EEEJSt10multipliesIlElEEEvT_T0_DpT1_ ; -- Begin function _ZN2at6native12_GLOBAL__N_125multi_tensor_apply_kernelINS1_18TensorListMetadataILi3EEENS1_32PointwiseOpScalar0dTensorFunctorIlLi3ELi2ELi0EEEJSt10multipliesIlElEEEvT_T0_DpT1_
	.p2align	8
	.type	_ZN2at6native12_GLOBAL__N_125multi_tensor_apply_kernelINS1_18TensorListMetadataILi3EEENS1_32PointwiseOpScalar0dTensorFunctorIlLi3ELi2ELi0EEEJSt10multipliesIlElEEEvT_T0_DpT1_,@function
_ZN2at6native12_GLOBAL__N_125multi_tensor_apply_kernelINS1_18TensorListMetadataILi3EEENS1_32PointwiseOpScalar0dTensorFunctorIlLi3ELi2ELi0EEEJSt10multipliesIlElEEEvT_T0_DpT1_: ; @_ZN2at6native12_GLOBAL__N_125multi_tensor_apply_kernelINS1_18TensorListMetadataILi3EEENS1_32PointwiseOpScalar0dTensorFunctorIlLi3ELi2ELi0EEEJSt10multipliesIlElEEEvT_T0_DpT1_
; %bb.0:
	v_mov_b32_e32 v1, s6
	global_load_ubyte v1, v1, s[4:5] offset:1536
	s_add_u32 s0, s4, s6
	s_mul_hi_u32 s1, s6, 3
	s_mul_i32 s6, s6, 3
	s_addc_u32 s2, s5, 0
	s_add_u32 s0, s0, s6
	s_addc_u32 s1, s2, s1
	s_load_dword s2, s[0:1], 0x740
	s_load_dwordx2 s[10:11], s[4:5], 0xc50
	s_mov_b32 s1, 0
	s_mov_b32 s19, s1
	s_waitcnt lgkmcnt(0)
	s_ashr_i32 s3, s2, 31
	s_lshl_b64 s[6:7], s[2:3], 19
	s_waitcnt vmcnt(0)
	v_readfirstlane_b32 s0, v1
	s_lshl_b32 s0, s0, 3
	s_load_dwordx2 s[12:13], s[4:5], s0 offset:0x0
	s_load_dwordx2 s[8:9], s[4:5], s0 offset:0x180
	;; [unrolled: 1-line block ×4, first 2 shown]
	s_waitcnt lgkmcnt(0)
	s_add_u32 s24, s12, s6
	s_load_dwordx2 s[16:17], s[8:9], 0x0
	s_addc_u32 s25, s13, s7
	s_and_b32 s0, s24, 31
	s_add_u32 s8, s8, s6
	s_add_u32 s26, s14, s6
	s_addc_u32 s27, s15, s7
	s_or_b32 s8, s26, s8
	s_and_b32 s8, s8, 31
	s_cmp_lg_u32 s8, 0
	s_cselect_b64 s[22:23], -1, 0
	s_lshl_b64 s[2:3], s[2:3], 16
	s_sub_u32 s8, s20, s2
	s_subb_u32 s9, s21, s3
	s_and_b32 s18, s20, 3
	s_or_b64 s[2:3], s[0:1], s[18:19]
	s_cmp_lg_u64 s[2:3], 0
	s_cselect_b64 s[2:3], -1, 0
	s_or_b64 s[2:3], s[22:23], s[2:3]
	s_andn2_b64 vcc, exec, s[2:3]
	s_mov_b64 s[2:3], -1
	s_cbranch_vccz .LBB36_5
; %bb.1:
	v_mov_b32_e32 v3, 0
	v_lshlrev_b32_e32 v2, 2, v0
	v_cmp_gt_i64_e32 vcc, s[8:9], v[2:3]
	s_and_saveexec_b64 s[18:19], vcc
	s_cbranch_execz .LBB36_4
; %bb.2:
	s_load_dword s3, s[4:5], 0xc64
	s_waitcnt lgkmcnt(0)
	s_mul_i32 s0, s16, s11
	s_mul_hi_u32 s2, s16, s10
	s_add_i32 s0, s2, s0
	s_mul_i32 s2, s17, s10
	s_add_i32 s28, s0, s2
	s_and_b32 s0, s3, 0xffff
	s_mul_i32 s29, s16, s10
	v_add_lshl_u32 v2, v0, s0, 2
	s_lshl_b32 s30, s0, 2
	v_lshlrev_b32_e32 v4, 5, v0
	s_lshl_b32 s31, s0, 5
	s_mov_b64 s[20:21], 0
	s_mov_b64 s[22:23], 0xffff
	v_mov_b32_e32 v1, s1
.LBB36_3:                               ; =>This Inner Loop Header: Depth=1
	v_mov_b32_e32 v5, s25
	v_add_co_u32_e64 v24, s[0:1], s24, v4
	v_mov_b32_e32 v6, s27
	v_add_co_u32_e32 v22, vcc, s26, v4
	v_addc_co_u32_e64 v25, s[0:1], 0, v5, s[0:1]
	v_addc_co_u32_e32 v23, vcc, 0, v6, vcc
	global_load_dwordx4 v[6:9], v[24:25], off
	global_load_dwordx4 v[10:13], v[22:23], off
	global_load_dwordx4 v[14:17], v[24:25], off offset:16
	global_load_dwordx4 v[18:21], v[22:23], off offset:16
	v_cmp_le_i64_e32 vcc, s[8:9], v[2:3]
	v_cmp_lt_u64_e64 s[0:1], s[22:23], v[2:3]
	s_or_b64 s[0:1], vcc, s[0:1]
	s_add_u32 s24, s24, s31
	s_addc_u32 s25, s25, 0
	s_add_u32 s26, s26, s31
	s_addc_u32 s27, s27, 0
	s_and_b64 s[0:1], exec, s[0:1]
	v_add_co_u32_e64 v2, s[2:3], s30, v2
	s_or_b64 s[20:21], s[0:1], s[20:21]
	v_addc_co_u32_e64 v3, s[2:3], v3, v1, s[2:3]
	s_waitcnt vmcnt(2)
	v_mad_u64_u32 v[6:7], s[0:1], v10, s29, v[6:7]
	v_mul_lo_u32 v5, v10, s28
	v_mul_lo_u32 v22, v11, s29
	v_mad_u64_u32 v[8:9], s[0:1], v12, s29, v[8:9]
	v_mul_lo_u32 v23, v12, s28
	v_mul_lo_u32 v26, v13, s29
	s_waitcnt vmcnt(0)
	v_mad_u64_u32 v[10:11], s[0:1], v18, s29, v[14:15]
	v_mul_lo_u32 v14, v18, s28
	v_mul_lo_u32 v15, v19, s29
	v_mad_u64_u32 v[12:13], s[0:1], v20, s29, v[16:17]
	v_mul_lo_u32 v16, v20, s28
	v_mul_lo_u32 v17, v21, s29
	v_add3_u32 v7, v22, v7, v5
	v_add3_u32 v9, v26, v9, v23
	;; [unrolled: 1-line block ×4, first 2 shown]
	global_store_dwordx4 v[24:25], v[6:9], off
	global_store_dwordx4 v[24:25], v[10:13], off offset:16
	s_andn2_b64 exec, exec, s[20:21]
	s_cbranch_execnz .LBB36_3
.LBB36_4:
	s_or_b64 exec, exec, s[18:19]
	s_mov_b64 s[2:3], 0
.LBB36_5:
	s_andn2_b64 vcc, exec, s[2:3]
	s_cbranch_vccnz .LBB36_25
; %bb.6:
	v_cmp_lt_i64_e64 s[0:1], s[8:9], 1
	s_and_b64 vcc, exec, s[0:1]
	s_cbranch_vccnz .LBB36_25
; %bb.7:
	s_load_dword s0, s[4:5], 0xc64
	s_waitcnt lgkmcnt(0)
	s_mul_i32 s1, s16, s11
	s_mul_hi_u32 s2, s16, s10
	v_mov_b32_e32 v2, 0x10000
	v_mov_b32_e32 v3, 0
	s_and_b32 s19, s0, 0xffff
	s_add_i32 s0, s2, s1
	s_mul_i32 s1, s17, s10
	s_add_i32 s17, s0, s1
	v_cmp_lt_u64_e32 vcc, s[8:9], v[2:3]
	v_lshlrev_b32_e32 v10, 3, v0
	s_and_b64 s[0:1], vcc, exec
	v_mov_b32_e32 v15, s13
	v_add_co_u32_e32 v2, vcc, s12, v10
	v_mov_b32_e32 v1, 0
	v_addc_co_u32_e32 v3, vcc, 0, v15, vcc
	v_mov_b32_e32 v11, v1
	v_mov_b32_e32 v17, s15
	v_add_co_u32_e32 v4, vcc, s14, v10
	v_addc_co_u32_e32 v5, vcc, 0, v17, vcc
	v_mad_u64_u32 v[8:9], s[0:1], s19, 24, v[10:11]
	v_add_co_u32_e32 v6, vcc, s12, v8
	v_addc_co_u32_e32 v7, vcc, v15, v9, vcc
	v_add_co_u32_e32 v8, vcc, s14, v8
	s_cselect_b32 s5, s9, 0
	s_cselect_b32 s4, s8, 0x10000
	v_addc_co_u32_e32 v9, vcc, v17, v9, vcc
	s_lshl_b32 s0, s19, 4
	v_add_co_u32_e32 v12, vcc, s0, v10
	v_addc_co_u32_e64 v13, s[0:1], 0, 0, vcc
	v_add_co_u32_e32 v10, vcc, s12, v12
	v_addc_co_u32_e32 v11, vcc, v15, v13, vcc
	v_add_co_u32_e32 v12, vcc, s14, v12
	v_addc_co_u32_e32 v13, vcc, v17, v13, vcc
	v_add_lshl_u32 v16, v0, s19, 3
	v_add_co_u32_e32 v14, vcc, s12, v16
	s_mov_b32 s18, 0
	v_addc_co_u32_e32 v15, vcc, 0, v15, vcc
	s_mul_i32 s16, s16, s10
	s_lshl_b32 s10, s19, 2
	s_mov_b32 s11, s18
	v_add_co_u32_e32 v16, vcc, s14, v16
	s_mov_b64 s[2:3], 0x10000
	s_lshl_b32 s20, s19, 1
	s_mov_b32 s21, s18
	s_mul_i32 s22, s19, 3
	s_mov_b32 s23, s18
	s_lshl_b32 s24, s19, 5
	s_mov_b32 s25, s18
	v_addc_co_u32_e32 v17, vcc, 0, v17, vcc
	s_mov_b64 s[12:13], s[10:11]
	s_branch .LBB36_9
.LBB36_8:                               ;   in Loop: Header=BB36_9 Depth=1
	s_or_b64 exec, exec, s[0:1]
	s_waitcnt vmcnt(0)
	v_pk_mov_b32 v[18:19], s[8:9], s[8:9] op_sel:[0,1]
	v_cmp_ge_i64_e32 vcc, s[12:13], v[18:19]
	v_mov_b32_e32 v18, 0xffff
	v_mov_b32_e32 v19, 0
	v_cmp_gt_u64_e64 s[0:1], s[12:13], v[18:19]
	s_or_b64 s[0:1], vcc, s[0:1]
	v_mov_b32_e32 v18, s25
	v_add_co_u32_e32 v2, vcc, s24, v2
	v_addc_co_u32_e32 v3, vcc, v3, v18, vcc
	v_add_co_u32_e32 v4, vcc, s24, v4
	v_addc_co_u32_e32 v5, vcc, v5, v18, vcc
	v_mov_b32_e32 v19, s11
	v_add_co_u32_e32 v0, vcc, s10, v0
	v_addc_co_u32_e32 v1, vcc, v1, v19, vcc
	v_add_co_u32_e32 v6, vcc, s24, v6
	v_addc_co_u32_e32 v7, vcc, v7, v18, vcc
	;; [unrolled: 2-line block ×6, first 2 shown]
	v_add_co_u32_e32 v16, vcc, s24, v16
	s_add_u32 s12, s12, s10
	v_addc_co_u32_e32 v17, vcc, v17, v18, vcc
	s_addc_u32 s13, s13, 0
	s_and_b64 vcc, exec, s[0:1]
	s_cbranch_vccnz .LBB36_25
.LBB36_9:                               ; =>This Inner Loop Header: Depth=1
	v_cmp_gt_i64_e32 vcc, s[8:9], v[0:1]
	v_cmp_gt_u64_e64 s[0:1], s[2:3], v[0:1]
	v_pk_mov_b32 v[18:19], 0, 0
	s_and_b64 s[14:15], vcc, s[0:1]
	v_pk_mov_b32 v[20:21], v[18:19], v[18:19] op_sel:[0,1]
	v_pk_mov_b32 v[22:23], v[18:19], v[18:19] op_sel:[0,1]
	s_and_saveexec_b64 s[0:1], s[14:15]
	s_cbranch_execz .LBB36_11
; %bb.10:                               ;   in Loop: Header=BB36_9 Depth=1
	v_mov_b32_e32 v20, s7
	v_add_co_u32_e32 v24, vcc, s6, v2
	v_addc_co_u32_e32 v25, vcc, v3, v20, vcc
	v_add_co_u32_e32 v26, vcc, s6, v4
	v_addc_co_u32_e32 v27, vcc, v5, v20, vcc
	global_load_dwordx2 v[22:23], v[24:25], off
	global_load_dwordx2 v[20:21], v[26:27], off
.LBB36_11:                              ;   in Loop: Header=BB36_9 Depth=1
	s_or_b64 exec, exec, s[0:1]
	v_mov_b32_e32 v25, s18
	v_add_co_u32_e32 v24, vcc, s19, v0
	v_addc_co_u32_e32 v25, vcc, v25, v1, vcc
	v_cmp_gt_i64_e32 vcc, s[8:9], v[24:25]
	v_cmp_gt_u64_e64 s[0:1], s[2:3], v[24:25]
	s_and_b64 s[14:15], vcc, s[0:1]
	v_pk_mov_b32 v[28:29], v[18:19], v[18:19] op_sel:[0,1]
	s_and_saveexec_b64 s[0:1], s[14:15]
	s_cbranch_execz .LBB36_13
; %bb.12:                               ;   in Loop: Header=BB36_9 Depth=1
	v_mov_b32_e32 v18, s7
	v_add_co_u32_e32 v26, vcc, s6, v14
	v_addc_co_u32_e32 v27, vcc, v15, v18, vcc
	v_add_co_u32_e32 v30, vcc, s6, v16
	v_addc_co_u32_e32 v31, vcc, v17, v18, vcc
	global_load_dwordx2 v[28:29], v[26:27], off
	global_load_dwordx2 v[18:19], v[30:31], off
.LBB36_13:                              ;   in Loop: Header=BB36_9 Depth=1
	s_or_b64 exec, exec, s[0:1]
	v_mov_b32_e32 v26, s21
	v_add_co_u32_e32 v30, vcc, s20, v0
	v_addc_co_u32_e32 v31, vcc, v26, v1, vcc
	v_cmp_gt_i64_e32 vcc, s[8:9], v[30:31]
	v_cmp_gt_u64_e64 s[0:1], s[2:3], v[30:31]
	v_pk_mov_b32 v[26:27], 0, 0
	s_and_b64 s[14:15], vcc, s[0:1]
	v_pk_mov_b32 v[32:33], v[26:27], v[26:27] op_sel:[0,1]
	v_pk_mov_b32 v[34:35], v[26:27], v[26:27] op_sel:[0,1]
	s_and_saveexec_b64 s[0:1], s[14:15]
	s_cbranch_execz .LBB36_15
; %bb.14:                               ;   in Loop: Header=BB36_9 Depth=1
	v_mov_b32_e32 v32, s7
	v_add_co_u32_e32 v36, vcc, s6, v10
	v_addc_co_u32_e32 v37, vcc, v11, v32, vcc
	v_add_co_u32_e32 v38, vcc, s6, v12
	v_addc_co_u32_e32 v39, vcc, v13, v32, vcc
	global_load_dwordx2 v[34:35], v[36:37], off
	global_load_dwordx2 v[32:33], v[38:39], off
.LBB36_15:                              ;   in Loop: Header=BB36_9 Depth=1
	s_or_b64 exec, exec, s[0:1]
	v_mov_b32_e32 v37, s23
	v_add_co_u32_e32 v36, vcc, s22, v0
	v_addc_co_u32_e32 v37, vcc, v37, v1, vcc
	v_cmp_gt_i64_e32 vcc, s[8:9], v[36:37]
	v_cmp_gt_u64_e64 s[0:1], s[2:3], v[36:37]
	s_and_b64 s[14:15], vcc, s[0:1]
	v_pk_mov_b32 v[38:39], v[26:27], v[26:27] op_sel:[0,1]
	s_and_saveexec_b64 s[0:1], s[14:15]
	s_cbranch_execnz .LBB36_20
; %bb.16:                               ;   in Loop: Header=BB36_9 Depth=1
	s_or_b64 exec, exec, s[0:1]
	v_cmp_gt_u64_e32 vcc, s[4:5], v[0:1]
	s_and_saveexec_b64 s[0:1], vcc
	s_cbranch_execnz .LBB36_21
.LBB36_17:                              ;   in Loop: Header=BB36_9 Depth=1
	s_or_b64 exec, exec, s[0:1]
	v_cmp_gt_u64_e32 vcc, s[4:5], v[24:25]
	s_and_saveexec_b64 s[0:1], vcc
	s_cbranch_execnz .LBB36_22
.LBB36_18:                              ;   in Loop: Header=BB36_9 Depth=1
	s_or_b64 exec, exec, s[0:1]
	v_cmp_gt_u64_e32 vcc, s[4:5], v[30:31]
	s_and_saveexec_b64 s[0:1], vcc
	s_cbranch_execnz .LBB36_23
.LBB36_19:                              ;   in Loop: Header=BB36_9 Depth=1
	s_or_b64 exec, exec, s[0:1]
	v_cmp_gt_u64_e32 vcc, s[4:5], v[36:37]
	s_and_saveexec_b64 s[0:1], vcc
	s_cbranch_execz .LBB36_8
	s_branch .LBB36_24
.LBB36_20:                              ;   in Loop: Header=BB36_9 Depth=1
	v_mov_b32_e32 v26, s7
	v_add_co_u32_e32 v40, vcc, s6, v6
	v_addc_co_u32_e32 v41, vcc, v7, v26, vcc
	v_add_co_u32_e32 v42, vcc, s6, v8
	v_addc_co_u32_e32 v43, vcc, v9, v26, vcc
	global_load_dwordx2 v[38:39], v[40:41], off
	global_load_dwordx2 v[26:27], v[42:43], off
	s_or_b64 exec, exec, s[0:1]
	v_cmp_gt_u64_e32 vcc, s[4:5], v[0:1]
	s_and_saveexec_b64 s[0:1], vcc
	s_cbranch_execz .LBB36_17
.LBB36_21:                              ;   in Loop: Header=BB36_9 Depth=1
	s_waitcnt vmcnt(0)
	v_mad_u64_u32 v[22:23], s[14:15], v20, s16, v[22:23]
	v_mul_lo_u32 v20, v20, s17
	v_mul_lo_u32 v21, v21, s16
	v_add3_u32 v23, v21, v23, v20
	v_mov_b32_e32 v21, s7
	v_add_co_u32_e32 v20, vcc, s6, v2
	v_addc_co_u32_e32 v21, vcc, v3, v21, vcc
	global_store_dwordx2 v[20:21], v[22:23], off
	s_or_b64 exec, exec, s[0:1]
	v_cmp_gt_u64_e32 vcc, s[4:5], v[24:25]
	s_and_saveexec_b64 s[0:1], vcc
	s_cbranch_execz .LBB36_18
.LBB36_22:                              ;   in Loop: Header=BB36_9 Depth=1
	s_waitcnt vmcnt(0)
	v_mad_u64_u32 v[20:21], s[14:15], v18, s16, v[28:29]
	v_mul_lo_u32 v18, v18, s17
	v_mul_lo_u32 v19, v19, s16
	v_add3_u32 v21, v19, v21, v18
	v_mov_b32_e32 v19, s7
	v_add_co_u32_e32 v18, vcc, s6, v14
	v_addc_co_u32_e32 v19, vcc, v15, v19, vcc
	global_store_dwordx2 v[18:19], v[20:21], off
	s_or_b64 exec, exec, s[0:1]
	v_cmp_gt_u64_e32 vcc, s[4:5], v[30:31]
	s_and_saveexec_b64 s[0:1], vcc
	s_cbranch_execz .LBB36_19
.LBB36_23:                              ;   in Loop: Header=BB36_9 Depth=1
	s_waitcnt vmcnt(0)
	v_mad_u64_u32 v[18:19], s[14:15], v32, s16, v[34:35]
	v_mul_lo_u32 v20, v32, s17
	v_mul_lo_u32 v21, v33, s16
	v_add3_u32 v19, v21, v19, v20
	v_mov_b32_e32 v21, s7
	v_add_co_u32_e32 v20, vcc, s6, v10
	v_addc_co_u32_e32 v21, vcc, v11, v21, vcc
	global_store_dwordx2 v[20:21], v[18:19], off
	s_or_b64 exec, exec, s[0:1]
	v_cmp_gt_u64_e32 vcc, s[4:5], v[36:37]
	s_and_saveexec_b64 s[0:1], vcc
	s_cbranch_execz .LBB36_8
.LBB36_24:                              ;   in Loop: Header=BB36_9 Depth=1
	s_waitcnt vmcnt(0)
	v_mad_u64_u32 v[18:19], s[14:15], v26, s16, v[38:39]
	v_mul_lo_u32 v20, v26, s17
	v_mul_lo_u32 v21, v27, s16
	v_add3_u32 v19, v21, v19, v20
	v_mov_b32_e32 v21, s7
	v_add_co_u32_e32 v20, vcc, s6, v6
	v_addc_co_u32_e32 v21, vcc, v7, v21, vcc
	global_store_dwordx2 v[20:21], v[18:19], off
	s_branch .LBB36_8
.LBB36_25:
	s_endpgm
	.section	.rodata,"a",@progbits
	.p2align	6, 0x0
	.amdhsa_kernel _ZN2at6native12_GLOBAL__N_125multi_tensor_apply_kernelINS1_18TensorListMetadataILi3EEENS1_32PointwiseOpScalar0dTensorFunctorIlLi3ELi2ELi0EEEJSt10multipliesIlElEEEvT_T0_DpT1_
		.amdhsa_group_segment_fixed_size 0
		.amdhsa_private_segment_fixed_size 0
		.amdhsa_kernarg_size 3416
		.amdhsa_user_sgpr_count 6
		.amdhsa_user_sgpr_private_segment_buffer 1
		.amdhsa_user_sgpr_dispatch_ptr 0
		.amdhsa_user_sgpr_queue_ptr 0
		.amdhsa_user_sgpr_kernarg_segment_ptr 1
		.amdhsa_user_sgpr_dispatch_id 0
		.amdhsa_user_sgpr_flat_scratch_init 0
		.amdhsa_user_sgpr_kernarg_preload_length 0
		.amdhsa_user_sgpr_kernarg_preload_offset 0
		.amdhsa_user_sgpr_private_segment_size 0
		.amdhsa_uses_dynamic_stack 0
		.amdhsa_system_sgpr_private_segment_wavefront_offset 0
		.amdhsa_system_sgpr_workgroup_id_x 1
		.amdhsa_system_sgpr_workgroup_id_y 0
		.amdhsa_system_sgpr_workgroup_id_z 0
		.amdhsa_system_sgpr_workgroup_info 0
		.amdhsa_system_vgpr_workitem_id 0
		.amdhsa_next_free_vgpr 44
		.amdhsa_next_free_sgpr 32
		.amdhsa_accum_offset 44
		.amdhsa_reserve_vcc 1
		.amdhsa_reserve_flat_scratch 0
		.amdhsa_float_round_mode_32 0
		.amdhsa_float_round_mode_16_64 0
		.amdhsa_float_denorm_mode_32 3
		.amdhsa_float_denorm_mode_16_64 3
		.amdhsa_dx10_clamp 1
		.amdhsa_ieee_mode 1
		.amdhsa_fp16_overflow 0
		.amdhsa_tg_split 0
		.amdhsa_exception_fp_ieee_invalid_op 0
		.amdhsa_exception_fp_denorm_src 0
		.amdhsa_exception_fp_ieee_div_zero 0
		.amdhsa_exception_fp_ieee_overflow 0
		.amdhsa_exception_fp_ieee_underflow 0
		.amdhsa_exception_fp_ieee_inexact 0
		.amdhsa_exception_int_div_zero 0
	.end_amdhsa_kernel
	.section	.text._ZN2at6native12_GLOBAL__N_125multi_tensor_apply_kernelINS1_18TensorListMetadataILi3EEENS1_32PointwiseOpScalar0dTensorFunctorIlLi3ELi2ELi0EEEJSt10multipliesIlElEEEvT_T0_DpT1_,"axG",@progbits,_ZN2at6native12_GLOBAL__N_125multi_tensor_apply_kernelINS1_18TensorListMetadataILi3EEENS1_32PointwiseOpScalar0dTensorFunctorIlLi3ELi2ELi0EEEJSt10multipliesIlElEEEvT_T0_DpT1_,comdat
.Lfunc_end36:
	.size	_ZN2at6native12_GLOBAL__N_125multi_tensor_apply_kernelINS1_18TensorListMetadataILi3EEENS1_32PointwiseOpScalar0dTensorFunctorIlLi3ELi2ELi0EEEJSt10multipliesIlElEEEvT_T0_DpT1_, .Lfunc_end36-_ZN2at6native12_GLOBAL__N_125multi_tensor_apply_kernelINS1_18TensorListMetadataILi3EEENS1_32PointwiseOpScalar0dTensorFunctorIlLi3ELi2ELi0EEEJSt10multipliesIlElEEEvT_T0_DpT1_
                                        ; -- End function
	.section	.AMDGPU.csdata,"",@progbits
; Kernel info:
; codeLenInByte = 1724
; NumSgprs: 36
; NumVgprs: 44
; NumAgprs: 0
; TotalNumVgprs: 44
; ScratchSize: 0
; MemoryBound: 0
; FloatMode: 240
; IeeeMode: 1
; LDSByteSize: 0 bytes/workgroup (compile time only)
; SGPRBlocks: 4
; VGPRBlocks: 5
; NumSGPRsForWavesPerEU: 36
; NumVGPRsForWavesPerEU: 44
; AccumOffset: 44
; Occupancy: 8
; WaveLimiterHint : 0
; COMPUTE_PGM_RSRC2:SCRATCH_EN: 0
; COMPUTE_PGM_RSRC2:USER_SGPR: 6
; COMPUTE_PGM_RSRC2:TRAP_HANDLER: 0
; COMPUTE_PGM_RSRC2:TGID_X_EN: 1
; COMPUTE_PGM_RSRC2:TGID_Y_EN: 0
; COMPUTE_PGM_RSRC2:TGID_Z_EN: 0
; COMPUTE_PGM_RSRC2:TIDIG_COMP_CNT: 0
; COMPUTE_PGM_RSRC3_GFX90A:ACCUM_OFFSET: 10
; COMPUTE_PGM_RSRC3_GFX90A:TG_SPLIT: 0
	.section	.text._ZN2at6native12_GLOBAL__N_125multi_tensor_apply_kernelINS1_18TensorListMetadataILi3EEENS1_32PointwiseOpScalar0dTensorFunctorIsLi3ELi2ELi0EEEJSt10multipliesIsEsEEEvT_T0_DpT1_,"axG",@progbits,_ZN2at6native12_GLOBAL__N_125multi_tensor_apply_kernelINS1_18TensorListMetadataILi3EEENS1_32PointwiseOpScalar0dTensorFunctorIsLi3ELi2ELi0EEEJSt10multipliesIsEsEEEvT_T0_DpT1_,comdat
	.globl	_ZN2at6native12_GLOBAL__N_125multi_tensor_apply_kernelINS1_18TensorListMetadataILi3EEENS1_32PointwiseOpScalar0dTensorFunctorIsLi3ELi2ELi0EEEJSt10multipliesIsEsEEEvT_T0_DpT1_ ; -- Begin function _ZN2at6native12_GLOBAL__N_125multi_tensor_apply_kernelINS1_18TensorListMetadataILi3EEENS1_32PointwiseOpScalar0dTensorFunctorIsLi3ELi2ELi0EEEJSt10multipliesIsEsEEEvT_T0_DpT1_
	.p2align	8
	.type	_ZN2at6native12_GLOBAL__N_125multi_tensor_apply_kernelINS1_18TensorListMetadataILi3EEENS1_32PointwiseOpScalar0dTensorFunctorIsLi3ELi2ELi0EEEJSt10multipliesIsEsEEEvT_T0_DpT1_,@function
_ZN2at6native12_GLOBAL__N_125multi_tensor_apply_kernelINS1_18TensorListMetadataILi3EEENS1_32PointwiseOpScalar0dTensorFunctorIsLi3ELi2ELi0EEEJSt10multipliesIsEsEEEvT_T0_DpT1_: ; @_ZN2at6native12_GLOBAL__N_125multi_tensor_apply_kernelINS1_18TensorListMetadataILi3EEENS1_32PointwiseOpScalar0dTensorFunctorIsLi3ELi2ELi0EEEJSt10multipliesIsEsEEEvT_T0_DpT1_
; %bb.0:
	v_mov_b32_e32 v1, s6
	global_load_ubyte v1, v1, s[4:5] offset:1536
	s_load_dword s0, s[4:5], 0xc48
	s_mul_hi_u32 s2, s6, 3
	v_mov_b32_e32 v3, 0
	s_waitcnt lgkmcnt(0)
	s_lshr_b32 s20, s0, 16
	s_add_u32 s0, s4, s6
	s_addc_u32 s1, s5, 0
	s_mul_i32 s6, s6, 3
	s_add_u32 s0, s0, s6
	s_addc_u32 s1, s1, s2
	s_waitcnt vmcnt(0)
	v_readfirstlane_b32 s2, v1
	s_lshl_b32 s6, s2, 3
	s_load_dwordx2 s[2:3], s[4:5], s6 offset:0x180
	s_load_dwordx2 s[12:13], s[4:5], s6 offset:0x300
	s_waitcnt lgkmcnt(0)
	s_nop 0
	global_load_ushort v5, v3, s[2:3]
	s_load_dword s8, s[0:1], 0x740
	s_load_dwordx2 s[14:15], s[4:5], s6 offset:0x0
	s_load_dwordx2 s[10:11], s[4:5], s6 offset:0x480
	s_mov_b32 s1, 0
	s_waitcnt lgkmcnt(0)
	s_ashr_i32 s9, s8, 31
	s_lshl_b64 s[6:7], s[8:9], 17
	s_add_u32 s2, s2, s6
	s_or_b32 s2, s12, s2
	s_and_b32 s0, s14, 7
	s_and_b32 s2, s2, 7
	s_cmp_lg_u32 s2, 0
	s_cselect_b64 s[2:3], -1, 0
	s_lshl_b64 s[8:9], s[8:9], 16
	s_sub_u32 s8, s10, s8
	s_subb_u32 s9, s11, s9
	s_and_b32 s10, s10, 3
	s_mov_b32 s11, s1
	s_or_b64 s[10:11], s[0:1], s[10:11]
	s_cmp_lg_u64 s[10:11], 0
	s_cselect_b64 s[10:11], -1, 0
	s_or_b64 s[2:3], s[2:3], s[10:11]
	s_andn2_b64 vcc, exec, s[2:3]
	s_mov_b64 s[2:3], -1
	s_cbranch_vccz .LBB37_5
; %bb.1:
	v_lshlrev_b32_e32 v2, 2, v0
	v_cmp_gt_i64_e32 vcc, s[8:9], v[2:3]
	s_and_saveexec_b64 s[10:11], vcc
	s_cbranch_execz .LBB37_4
; %bb.2:
	s_load_dword s0, s[4:5], 0xc5c
	v_lshlrev_b32_e32 v1, 3, v0
	v_mov_b32_e32 v2, s7
	v_add_co_u32_e32 v4, vcc, s6, v1
	s_waitcnt lgkmcnt(0)
	s_and_b32 s0, s0, 0xffff
	s_waitcnt vmcnt(0)
	v_mul_lo_u32 v6, v5, s20
	v_mov_b32_e32 v3, 0
	v_addc_co_u32_e32 v1, vcc, 0, v2, vcc
	s_lshl_b32 s21, s0, 3
	v_add_lshl_u32 v2, v0, s0, 2
	s_lshl_b32 s22, s0, 2
	s_mov_b64 s[16:17], 0
	v_mov_b32_e32 v7, s15
	v_mov_b32_e32 v8, s13
	s_mov_b64 s[18:19], 0xffff
	v_mov_b32_e32 v9, s1
	v_mov_b32_e32 v10, s1
.LBB37_3:                               ; =>This Inner Loop Header: Depth=1
	v_add_co_u32_e32 v12, vcc, s14, v4
	v_addc_co_u32_e32 v13, vcc, v7, v1, vcc
	v_add_co_u32_e32 v14, vcc, s12, v4
	v_addc_co_u32_e32 v15, vcc, v8, v1, vcc
	global_load_dwordx2 v[16:17], v[14:15], off
	global_load_dwordx2 v[18:19], v[12:13], off
	v_cmp_le_i64_e32 vcc, s[8:9], v[2:3]
	v_cmp_lt_u64_e64 s[0:1], s[18:19], v[2:3]
	v_add_co_u32_e64 v4, s[2:3], s21, v4
	v_addc_co_u32_e64 v1, s[2:3], v1, v9, s[2:3]
	s_or_b64 s[0:1], vcc, s[0:1]
	v_add_co_u32_e64 v2, s[2:3], s22, v2
	s_and_b64 s[0:1], exec, s[0:1]
	v_addc_co_u32_e64 v3, s[2:3], v3, v10, s[2:3]
	s_or_b64 s[16:17], s[0:1], s[16:17]
	s_waitcnt vmcnt(1)
	v_lshrrev_b32_e32 v15, 16, v16
	s_waitcnt vmcnt(0)
	v_lshrrev_b32_e32 v14, 16, v18
	v_mul_lo_u16_e32 v11, v6, v16
	v_mad_legacy_u16 v16, v6, v17, v19
	v_lshrrev_b32_e32 v19, 16, v19
	v_lshrrev_b32_e32 v17, 16, v17
	v_mad_legacy_u16 v14, v6, v15, v14
	v_add_u16_e32 v11, v11, v18
	v_mad_legacy_u16 v15, v6, v17, v19
	v_lshlrev_b32_e32 v14, 16, v14
	v_lshlrev_b32_e32 v15, 16, v15
	v_or_b32_e32 v11, v14, v11
	v_or3_b32 v15, 0, v16, v15
	v_or3_b32 v14, v11, 0, 0
	global_store_dwordx2 v[12:13], v[14:15], off
	s_andn2_b64 exec, exec, s[16:17]
	s_cbranch_execnz .LBB37_3
.LBB37_4:
	s_or_b64 exec, exec, s[10:11]
	s_mov_b64 s[2:3], 0
.LBB37_5:
	s_andn2_b64 vcc, exec, s[2:3]
	s_cbranch_vccnz .LBB37_25
; %bb.6:
	v_cmp_lt_i64_e64 s[0:1], s[8:9], 1
	s_and_b64 vcc, exec, s[0:1]
	s_cbranch_vccnz .LBB37_25
; %bb.7:
	s_load_dword s0, s[4:5], 0xc5c
	v_mov_b32_e32 v2, 0x10000
	v_mov_b32_e32 v3, 0
	v_cmp_lt_u64_e32 vcc, s[8:9], v[2:3]
	v_lshlrev_b32_e32 v10, 1, v0
	s_waitcnt lgkmcnt(0)
	s_and_b32 s17, s0, 0xffff
	s_and_b64 s[0:1], vcc, exec
	v_mov_b32_e32 v15, s15
	v_add_co_u32_e32 v2, vcc, s14, v10
	v_mov_b32_e32 v1, 0
	v_addc_co_u32_e32 v3, vcc, 0, v15, vcc
	v_mov_b32_e32 v11, v1
	v_mov_b32_e32 v17, s13
	v_add_co_u32_e32 v4, vcc, s12, v10
	s_waitcnt vmcnt(0)
	v_mul_lo_u32 v28, v5, s20
	v_addc_co_u32_e32 v5, vcc, 0, v17, vcc
	v_mad_u64_u32 v[8:9], s[0:1], s17, 6, v[10:11]
	v_add_co_u32_e32 v6, vcc, s14, v8
	v_addc_co_u32_e32 v7, vcc, v15, v9, vcc
	v_add_co_u32_e32 v8, vcc, s12, v8
	s_cselect_b32 s5, s9, 0
	s_cselect_b32 s4, s8, 0x10000
	s_lshl_b32 s10, s17, 2
	v_addc_co_u32_e32 v9, vcc, v17, v9, vcc
	v_add_co_u32_e32 v12, vcc, s10, v10
	v_addc_co_u32_e64 v13, s[0:1], 0, 0, vcc
	v_add_co_u32_e32 v10, vcc, s14, v12
	v_addc_co_u32_e32 v11, vcc, v15, v13, vcc
	v_add_co_u32_e32 v12, vcc, s12, v12
	v_addc_co_u32_e32 v13, vcc, v17, v13, vcc
	v_add_lshl_u32 v16, v0, s17, 1
	v_add_co_u32_e32 v14, vcc, s14, v16
	s_mov_b32 s16, 0
	v_addc_co_u32_e32 v15, vcc, 0, v15, vcc
	s_mov_b32 s11, s16
	v_add_co_u32_e32 v16, vcc, s12, v16
	s_mov_b64 s[2:3], 0x10000
	s_lshl_b32 s18, s17, 1
	s_mov_b32 s19, s16
	s_mul_i32 s20, s17, 3
	s_mov_b32 s21, s16
	s_lshl_b32 s15, s17, 3
	s_mov_b32 s22, s16
	v_addc_co_u32_e32 v17, vcc, 0, v17, vcc
	s_mov_b64 s[12:13], s[10:11]
	s_branch .LBB37_9
.LBB37_8:                               ;   in Loop: Header=BB37_9 Depth=1
	s_or_b64 exec, exec, s[0:1]
	v_pk_mov_b32 v[18:19], s[8:9], s[8:9] op_sel:[0,1]
	v_cmp_ge_i64_e32 vcc, s[12:13], v[18:19]
	v_mov_b32_e32 v18, 0xffff
	v_mov_b32_e32 v19, 0
	v_cmp_gt_u64_e64 s[0:1], s[12:13], v[18:19]
	s_or_b64 s[0:1], vcc, s[0:1]
	v_mov_b32_e32 v18, s22
	v_add_co_u32_e32 v2, vcc, s15, v2
	v_addc_co_u32_e32 v3, vcc, v3, v18, vcc
	v_add_co_u32_e32 v4, vcc, s15, v4
	v_addc_co_u32_e32 v5, vcc, v5, v18, vcc
	v_mov_b32_e32 v19, s11
	v_add_co_u32_e32 v0, vcc, s10, v0
	v_addc_co_u32_e32 v1, vcc, v1, v19, vcc
	v_add_co_u32_e32 v6, vcc, s15, v6
	v_addc_co_u32_e32 v7, vcc, v7, v18, vcc
	;; [unrolled: 2-line block ×6, first 2 shown]
	v_add_co_u32_e32 v16, vcc, s15, v16
	s_add_u32 s12, s12, s10
	v_addc_co_u32_e32 v17, vcc, v17, v18, vcc
	s_addc_u32 s13, s13, 0
	s_and_b64 vcc, exec, s[0:1]
	s_cbranch_vccnz .LBB37_25
.LBB37_9:                               ; =>This Inner Loop Header: Depth=1
	v_cmp_gt_i64_e32 vcc, s[8:9], v[0:1]
	v_cmp_gt_u64_e64 s[0:1], s[2:3], v[0:1]
	v_pk_mov_b32 v[18:19], 0, 0
	s_and_b64 s[24:25], vcc, s[0:1]
	v_pk_mov_b32 v[20:21], v[18:19], v[18:19] op_sel:[0,1]
	s_and_saveexec_b64 s[0:1], s[24:25]
	s_cbranch_execz .LBB37_11
; %bb.10:                               ;   in Loop: Header=BB37_9 Depth=1
	v_mov_b32_e32 v21, s7
	v_add_co_u32_e32 v18, vcc, s6, v2
	v_addc_co_u32_e32 v19, vcc, v3, v21, vcc
	v_add_co_u32_e32 v20, vcc, s6, v4
	v_addc_co_u32_e32 v21, vcc, v5, v21, vcc
	global_load_ushort v22, v[18:19], off
	global_load_ushort v23, v[20:21], off
	v_mov_b32_e32 v21, s16
	v_mov_b32_e32 v19, s16
	s_waitcnt vmcnt(1)
	v_and_b32_e32 v20, 0xffff, v22
	s_waitcnt vmcnt(0)
	v_and_b32_e32 v18, 0xffff, v23
.LBB37_11:                              ;   in Loop: Header=BB37_9 Depth=1
	s_or_b64 exec, exec, s[0:1]
	v_mov_b32_e32 v23, s16
	v_add_co_u32_e32 v22, vcc, s17, v0
	v_addc_co_u32_e32 v23, vcc, v23, v1, vcc
	v_cmp_gt_i64_e32 vcc, s[8:9], v[22:23]
	v_cmp_gt_u64_e64 s[0:1], s[2:3], v[22:23]
	s_and_b64 s[24:25], vcc, s[0:1]
	s_and_saveexec_b64 s[0:1], s[24:25]
	s_cbranch_execz .LBB37_13
; %bb.12:                               ;   in Loop: Header=BB37_9 Depth=1
	v_mov_b32_e32 v27, s7
	v_add_co_u32_e32 v24, vcc, s6, v16
	v_addc_co_u32_e32 v25, vcc, v17, v27, vcc
	v_add_co_u32_e32 v26, vcc, s6, v14
	v_addc_co_u32_e32 v27, vcc, v15, v27, vcc
	global_load_ushort v29, v[26:27], off
	global_load_ushort v30, v[24:25], off
	s_waitcnt vmcnt(1)
	v_lshl_or_b32 v20, v29, 16, v20
	s_waitcnt vmcnt(0)
	v_lshl_or_b32 v18, v30, 16, v18
.LBB37_13:                              ;   in Loop: Header=BB37_9 Depth=1
	s_or_b64 exec, exec, s[0:1]
	v_mov_b32_e32 v25, s19
	v_add_co_u32_e32 v24, vcc, s18, v0
	v_addc_co_u32_e32 v25, vcc, v25, v1, vcc
	v_cmp_gt_i64_e32 vcc, s[8:9], v[24:25]
	v_cmp_gt_u64_e64 s[0:1], s[2:3], v[24:25]
	s_and_b64 s[24:25], vcc, s[0:1]
	s_and_saveexec_b64 s[0:1], s[24:25]
	s_cbranch_execz .LBB37_15
; %bb.14:                               ;   in Loop: Header=BB37_9 Depth=1
	v_mov_b32_e32 v29, s7
	v_add_co_u32_e32 v26, vcc, s6, v12
	v_addc_co_u32_e32 v27, vcc, v13, v29, vcc
	v_add_co_u32_e32 v30, vcc, s6, v10
	v_addc_co_u32_e32 v31, vcc, v11, v29, vcc
	global_load_ushort v29, v[30:31], off
	global_load_ushort v32, v[26:27], off
	s_waitcnt vmcnt(1)
	v_or_b32_e32 v21, v29, v21
	s_waitcnt vmcnt(0)
	v_or_b32_e32 v19, v32, v19
.LBB37_15:                              ;   in Loop: Header=BB37_9 Depth=1
	s_or_b64 exec, exec, s[0:1]
	v_mov_b32_e32 v27, s21
	v_add_co_u32_e32 v26, vcc, s20, v0
	v_addc_co_u32_e32 v27, vcc, v27, v1, vcc
	v_cmp_gt_i64_e32 vcc, s[8:9], v[26:27]
	v_cmp_gt_u64_e64 s[0:1], s[2:3], v[26:27]
	s_and_b64 s[24:25], vcc, s[0:1]
	s_and_saveexec_b64 s[0:1], s[24:25]
	s_cbranch_execnz .LBB37_20
; %bb.16:                               ;   in Loop: Header=BB37_9 Depth=1
	s_or_b64 exec, exec, s[0:1]
	v_cmp_gt_u64_e32 vcc, s[4:5], v[0:1]
	s_and_saveexec_b64 s[0:1], vcc
	s_cbranch_execnz .LBB37_21
.LBB37_17:                              ;   in Loop: Header=BB37_9 Depth=1
	s_or_b64 exec, exec, s[0:1]
	v_cmp_gt_u64_e32 vcc, s[4:5], v[22:23]
	s_and_saveexec_b64 s[0:1], vcc
	s_cbranch_execnz .LBB37_22
.LBB37_18:                              ;   in Loop: Header=BB37_9 Depth=1
	s_or_b64 exec, exec, s[0:1]
	v_cmp_gt_u64_e32 vcc, s[4:5], v[24:25]
	s_and_saveexec_b64 s[0:1], vcc
	s_cbranch_execnz .LBB37_23
.LBB37_19:                              ;   in Loop: Header=BB37_9 Depth=1
	s_or_b64 exec, exec, s[0:1]
	v_cmp_gt_u64_e32 vcc, s[4:5], v[26:27]
	s_and_saveexec_b64 s[0:1], vcc
	s_cbranch_execz .LBB37_8
	s_branch .LBB37_24
.LBB37_20:                              ;   in Loop: Header=BB37_9 Depth=1
	v_mov_b32_e32 v29, s7
	v_add_co_u32_e32 v30, vcc, s6, v8
	v_addc_co_u32_e32 v31, vcc, v9, v29, vcc
	v_add_co_u32_e32 v32, vcc, s6, v6
	v_addc_co_u32_e32 v33, vcc, v7, v29, vcc
	global_load_ushort v29, v[32:33], off
	global_load_ushort v34, v[30:31], off
	s_waitcnt vmcnt(1)
	v_lshlrev_b32_e32 v29, 16, v29
	s_waitcnt vmcnt(0)
	v_lshlrev_b32_e32 v30, 16, v34
	v_or_b32_e32 v21, v29, v21
	v_or_b32_e32 v19, v30, v19
	s_or_b64 exec, exec, s[0:1]
	v_cmp_gt_u64_e32 vcc, s[4:5], v[0:1]
	s_and_saveexec_b64 s[0:1], vcc
	s_cbranch_execz .LBB37_17
.LBB37_21:                              ;   in Loop: Header=BB37_9 Depth=1
	v_mov_b32_e32 v31, s7
	v_add_co_u32_e32 v30, vcc, s6, v2
	v_mad_legacy_u16 v29, v28, v18, v20
	v_addc_co_u32_e32 v31, vcc, v3, v31, vcc
	global_store_short v[30:31], v29, off
	s_or_b64 exec, exec, s[0:1]
	v_cmp_gt_u64_e32 vcc, s[4:5], v[22:23]
	s_and_saveexec_b64 s[0:1], vcc
	s_cbranch_execz .LBB37_18
.LBB37_22:                              ;   in Loop: Header=BB37_9 Depth=1
	v_lshrrev_b32_e32 v20, 16, v20
	v_lshrrev_b32_e32 v18, 16, v18
	v_mad_legacy_u16 v18, v28, v18, v20
	v_mov_b32_e32 v20, s7
	v_add_co_u32_e32 v22, vcc, s6, v14
	v_addc_co_u32_e32 v23, vcc, v15, v20, vcc
	global_store_short v[22:23], v18, off
	s_or_b64 exec, exec, s[0:1]
	v_cmp_gt_u64_e32 vcc, s[4:5], v[24:25]
	s_and_saveexec_b64 s[0:1], vcc
	s_cbranch_execz .LBB37_19
.LBB37_23:                              ;   in Loop: Header=BB37_9 Depth=1
	v_mov_b32_e32 v20, s7
	v_add_co_u32_e32 v22, vcc, s6, v10
	v_mad_legacy_u16 v18, v28, v19, v21
	v_addc_co_u32_e32 v23, vcc, v11, v20, vcc
	global_store_short v[22:23], v18, off
	s_or_b64 exec, exec, s[0:1]
	v_cmp_gt_u64_e32 vcc, s[4:5], v[26:27]
	s_and_saveexec_b64 s[0:1], vcc
	s_cbranch_execz .LBB37_8
.LBB37_24:                              ;   in Loop: Header=BB37_9 Depth=1
	v_lshrrev_b32_e32 v18, 16, v21
	v_lshrrev_b32_e32 v19, 16, v19
	v_mad_legacy_u16 v20, v28, v19, v18
	v_mov_b32_e32 v19, s7
	v_add_co_u32_e32 v18, vcc, s6, v6
	v_addc_co_u32_e32 v19, vcc, v7, v19, vcc
	global_store_short v[18:19], v20, off
	s_branch .LBB37_8
.LBB37_25:
	s_endpgm
	.section	.rodata,"a",@progbits
	.p2align	6, 0x0
	.amdhsa_kernel _ZN2at6native12_GLOBAL__N_125multi_tensor_apply_kernelINS1_18TensorListMetadataILi3EEENS1_32PointwiseOpScalar0dTensorFunctorIsLi3ELi2ELi0EEEJSt10multipliesIsEsEEEvT_T0_DpT1_
		.amdhsa_group_segment_fixed_size 0
		.amdhsa_private_segment_fixed_size 0
		.amdhsa_kernarg_size 3408
		.amdhsa_user_sgpr_count 6
		.amdhsa_user_sgpr_private_segment_buffer 1
		.amdhsa_user_sgpr_dispatch_ptr 0
		.amdhsa_user_sgpr_queue_ptr 0
		.amdhsa_user_sgpr_kernarg_segment_ptr 1
		.amdhsa_user_sgpr_dispatch_id 0
		.amdhsa_user_sgpr_flat_scratch_init 0
		.amdhsa_user_sgpr_kernarg_preload_length 0
		.amdhsa_user_sgpr_kernarg_preload_offset 0
		.amdhsa_user_sgpr_private_segment_size 0
		.amdhsa_uses_dynamic_stack 0
		.amdhsa_system_sgpr_private_segment_wavefront_offset 0
		.amdhsa_system_sgpr_workgroup_id_x 1
		.amdhsa_system_sgpr_workgroup_id_y 0
		.amdhsa_system_sgpr_workgroup_id_z 0
		.amdhsa_system_sgpr_workgroup_info 0
		.amdhsa_system_vgpr_workitem_id 0
		.amdhsa_next_free_vgpr 35
		.amdhsa_next_free_sgpr 26
		.amdhsa_accum_offset 36
		.amdhsa_reserve_vcc 1
		.amdhsa_reserve_flat_scratch 0
		.amdhsa_float_round_mode_32 0
		.amdhsa_float_round_mode_16_64 0
		.amdhsa_float_denorm_mode_32 3
		.amdhsa_float_denorm_mode_16_64 3
		.amdhsa_dx10_clamp 1
		.amdhsa_ieee_mode 1
		.amdhsa_fp16_overflow 0
		.amdhsa_tg_split 0
		.amdhsa_exception_fp_ieee_invalid_op 0
		.amdhsa_exception_fp_denorm_src 0
		.amdhsa_exception_fp_ieee_div_zero 0
		.amdhsa_exception_fp_ieee_overflow 0
		.amdhsa_exception_fp_ieee_underflow 0
		.amdhsa_exception_fp_ieee_inexact 0
		.amdhsa_exception_int_div_zero 0
	.end_amdhsa_kernel
	.section	.text._ZN2at6native12_GLOBAL__N_125multi_tensor_apply_kernelINS1_18TensorListMetadataILi3EEENS1_32PointwiseOpScalar0dTensorFunctorIsLi3ELi2ELi0EEEJSt10multipliesIsEsEEEvT_T0_DpT1_,"axG",@progbits,_ZN2at6native12_GLOBAL__N_125multi_tensor_apply_kernelINS1_18TensorListMetadataILi3EEENS1_32PointwiseOpScalar0dTensorFunctorIsLi3ELi2ELi0EEEJSt10multipliesIsEsEEEvT_T0_DpT1_,comdat
.Lfunc_end37:
	.size	_ZN2at6native12_GLOBAL__N_125multi_tensor_apply_kernelINS1_18TensorListMetadataILi3EEENS1_32PointwiseOpScalar0dTensorFunctorIsLi3ELi2ELi0EEEJSt10multipliesIsEsEEEvT_T0_DpT1_, .Lfunc_end37-_ZN2at6native12_GLOBAL__N_125multi_tensor_apply_kernelINS1_18TensorListMetadataILi3EEENS1_32PointwiseOpScalar0dTensorFunctorIsLi3ELi2ELi0EEEJSt10multipliesIsEsEEEvT_T0_DpT1_
                                        ; -- End function
	.section	.AMDGPU.csdata,"",@progbits
; Kernel info:
; codeLenInByte = 1576
; NumSgprs: 30
; NumVgprs: 35
; NumAgprs: 0
; TotalNumVgprs: 35
; ScratchSize: 0
; MemoryBound: 0
; FloatMode: 240
; IeeeMode: 1
; LDSByteSize: 0 bytes/workgroup (compile time only)
; SGPRBlocks: 3
; VGPRBlocks: 4
; NumSGPRsForWavesPerEU: 30
; NumVGPRsForWavesPerEU: 35
; AccumOffset: 36
; Occupancy: 8
; WaveLimiterHint : 0
; COMPUTE_PGM_RSRC2:SCRATCH_EN: 0
; COMPUTE_PGM_RSRC2:USER_SGPR: 6
; COMPUTE_PGM_RSRC2:TRAP_HANDLER: 0
; COMPUTE_PGM_RSRC2:TGID_X_EN: 1
; COMPUTE_PGM_RSRC2:TGID_Y_EN: 0
; COMPUTE_PGM_RSRC2:TGID_Z_EN: 0
; COMPUTE_PGM_RSRC2:TIDIG_COMP_CNT: 0
; COMPUTE_PGM_RSRC3_GFX90A:ACCUM_OFFSET: 8
; COMPUTE_PGM_RSRC3_GFX90A:TG_SPLIT: 0
	.section	.text._ZN2at6native12_GLOBAL__N_125multi_tensor_apply_kernelINS1_18TensorListMetadataILi3EEENS1_32PointwiseOpScalar0dTensorFunctorIdLi3ELi2ELi0EEEJSt10multipliesIdEdEEEvT_T0_DpT1_,"axG",@progbits,_ZN2at6native12_GLOBAL__N_125multi_tensor_apply_kernelINS1_18TensorListMetadataILi3EEENS1_32PointwiseOpScalar0dTensorFunctorIdLi3ELi2ELi0EEEJSt10multipliesIdEdEEEvT_T0_DpT1_,comdat
	.globl	_ZN2at6native12_GLOBAL__N_125multi_tensor_apply_kernelINS1_18TensorListMetadataILi3EEENS1_32PointwiseOpScalar0dTensorFunctorIdLi3ELi2ELi0EEEJSt10multipliesIdEdEEEvT_T0_DpT1_ ; -- Begin function _ZN2at6native12_GLOBAL__N_125multi_tensor_apply_kernelINS1_18TensorListMetadataILi3EEENS1_32PointwiseOpScalar0dTensorFunctorIdLi3ELi2ELi0EEEJSt10multipliesIdEdEEEvT_T0_DpT1_
	.p2align	8
	.type	_ZN2at6native12_GLOBAL__N_125multi_tensor_apply_kernelINS1_18TensorListMetadataILi3EEENS1_32PointwiseOpScalar0dTensorFunctorIdLi3ELi2ELi0EEEJSt10multipliesIdEdEEEvT_T0_DpT1_,@function
_ZN2at6native12_GLOBAL__N_125multi_tensor_apply_kernelINS1_18TensorListMetadataILi3EEENS1_32PointwiseOpScalar0dTensorFunctorIdLi3ELi2ELi0EEEJSt10multipliesIdEdEEEvT_T0_DpT1_: ; @_ZN2at6native12_GLOBAL__N_125multi_tensor_apply_kernelINS1_18TensorListMetadataILi3EEENS1_32PointwiseOpScalar0dTensorFunctorIdLi3ELi2ELi0EEEJSt10multipliesIdEdEEEvT_T0_DpT1_
; %bb.0:
	v_mov_b32_e32 v1, s6
	global_load_ubyte v1, v1, s[4:5] offset:1536
	s_add_u32 s0, s4, s6
	s_mul_hi_u32 s1, s6, 3
	s_mul_i32 s6, s6, 3
	s_addc_u32 s2, s5, 0
	s_add_u32 s0, s0, s6
	s_addc_u32 s1, s2, s1
	s_load_dword s2, s[0:1], 0x740
	s_load_dwordx2 s[8:9], s[4:5], 0xc50
	s_mov_b32 s1, 0
	s_mov_b32 s7, s1
	s_waitcnt lgkmcnt(0)
	s_ashr_i32 s3, s2, 31
	s_lshl_b64 s[10:11], s[2:3], 19
	s_waitcnt vmcnt(0)
	v_readfirstlane_b32 s0, v1
	s_lshl_b32 s0, s0, 3
	s_load_dwordx2 s[18:19], s[4:5], s0 offset:0x0
	s_load_dwordx2 s[14:15], s[4:5], s0 offset:0x180
	;; [unrolled: 1-line block ×4, first 2 shown]
	s_waitcnt lgkmcnt(0)
	s_add_u32 s26, s18, s10
	s_addc_u32 s27, s19, s11
	s_and_b32 s0, s26, 31
	s_add_u32 s6, s14, s10
	s_add_u32 s28, s20, s10
	s_addc_u32 s29, s21, s11
	s_or_b32 s6, s28, s6
	s_and_b32 s6, s6, 31
	s_cmp_lg_u32 s6, 0
	s_cselect_b64 s[22:23], -1, 0
	s_lshl_b64 s[2:3], s[2:3], 16
	s_load_dwordx2 s[12:13], s[14:15], 0x0
	s_sub_u32 s14, s16, s2
	s_subb_u32 s15, s17, s3
	s_and_b32 s6, s16, 3
	s_or_b64 s[2:3], s[0:1], s[6:7]
	s_cmp_lg_u64 s[2:3], 0
	s_cselect_b64 s[2:3], -1, 0
	s_or_b64 s[2:3], s[22:23], s[2:3]
	s_andn2_b64 vcc, exec, s[2:3]
	s_mov_b64 s[2:3], -1
	s_cbranch_vccz .LBB38_5
; %bb.1:
	v_mov_b32_e32 v3, 0
	v_lshlrev_b32_e32 v2, 2, v0
	v_cmp_gt_i64_e32 vcc, s[14:15], v[2:3]
	s_and_saveexec_b64 s[16:17], vcc
	s_cbranch_execz .LBB38_4
; %bb.2:
	s_load_dword s0, s[4:5], 0xc64
	v_cmp_eq_f64_e64 vcc, s[8:9], 1.0
	v_lshlrev_b32_e32 v4, 5, v0
	s_mov_b64 s[22:23], 0
	s_mov_b64 s[24:25], 0xffff
	s_waitcnt lgkmcnt(0)
	s_and_b32 s0, s0, 0xffff
	v_add_lshl_u32 v2, v0, s0, 2
	s_lshl_b32 s30, s0, 2
	s_lshl_b32 s31, s0, 5
	v_mov_b32_e32 v1, s1
.LBB38_3:                               ; =>This Inner Loop Header: Depth=1
	v_mov_b32_e32 v5, s27
	v_add_co_u32_e64 v24, s[2:3], s26, v4
	v_mov_b32_e32 v6, s29
	v_add_co_u32_e64 v22, s[0:1], s28, v4
	v_addc_co_u32_e64 v25, s[2:3], 0, v5, s[2:3]
	v_addc_co_u32_e64 v23, s[0:1], 0, v6, s[0:1]
	global_load_dwordx4 v[6:9], v[24:25], off
	global_load_dwordx4 v[10:13], v[22:23], off
	global_load_dwordx4 v[14:17], v[22:23], off offset:16
	global_load_dwordx4 v[18:21], v[24:25], off offset:16
	v_cmp_le_i64_e64 s[0:1], s[14:15], v[2:3]
	v_cmp_lt_u64_e64 s[2:3], s[24:25], v[2:3]
	s_or_b64 s[0:1], s[0:1], s[2:3]
	s_add_u32 s26, s26, s31
	s_addc_u32 s27, s27, 0
	s_add_u32 s28, s28, s31
	s_addc_u32 s29, s29, 0
	v_add_co_u32_e64 v2, s[6:7], s30, v2
	s_and_b64 s[0:1], exec, s[0:1]
	v_addc_co_u32_e64 v3, s[6:7], v3, v1, s[6:7]
	s_or_b64 s[22:23], s[0:1], s[22:23]
	s_waitcnt vmcnt(2)
	v_fma_f64 v[22:23], s[12:13], v[10:11], v[6:7]
	v_mul_f64 v[10:11], s[12:13], v[10:11]
	v_fma_f64 v[26:27], s[12:13], v[12:13], v[8:9]
	v_mul_f64 v[12:13], s[12:13], v[12:13]
	s_waitcnt vmcnt(0)
	v_fma_f64 v[28:29], s[12:13], v[14:15], v[18:19]
	v_mul_f64 v[14:15], s[12:13], v[14:15]
	v_fma_f64 v[30:31], s[12:13], v[16:17], v[20:21]
	v_mul_f64 v[16:17], s[12:13], v[16:17]
	v_fmac_f64_e32 v[6:7], s[8:9], v[10:11]
	v_fmac_f64_e32 v[8:9], s[8:9], v[12:13]
	;; [unrolled: 1-line block ×4, first 2 shown]
	v_cndmask_b32_e32 v7, v7, v23, vcc
	v_cndmask_b32_e32 v6, v6, v22, vcc
	;; [unrolled: 1-line block ×8, first 2 shown]
	global_store_dwordx4 v[24:25], v[6:9], off
	global_store_dwordx4 v[24:25], v[10:13], off offset:16
	s_andn2_b64 exec, exec, s[22:23]
	s_cbranch_execnz .LBB38_3
.LBB38_4:
	s_or_b64 exec, exec, s[16:17]
	s_mov_b64 s[2:3], 0
.LBB38_5:
	s_andn2_b64 vcc, exec, s[2:3]
	s_cbranch_vccnz .LBB38_25
; %bb.6:
	v_cmp_lt_i64_e64 s[0:1], s[14:15], 1
	s_and_b64 vcc, exec, s[0:1]
	s_cbranch_vccnz .LBB38_25
; %bb.7:
	s_load_dword s2, s[4:5], 0xc64
	v_mov_b32_e32 v2, 0x10000
	v_mov_b32_e32 v3, 0
	v_cmp_lt_u64_e32 vcc, s[14:15], v[2:3]
	v_lshlrev_b32_e32 v10, 3, v0
	s_waitcnt lgkmcnt(0)
	s_and_b32 s23, s2, 0xffff
	s_and_b64 s[2:3], vcc, exec
	v_mov_b32_e32 v15, s19
	v_add_co_u32_e32 v2, vcc, s18, v10
	v_mov_b32_e32 v1, 0
	v_addc_co_u32_e32 v3, vcc, 0, v15, vcc
	v_mov_b32_e32 v11, v1
	v_mov_b32_e32 v17, s21
	v_add_co_u32_e32 v4, vcc, s20, v10
	v_addc_co_u32_e32 v5, vcc, 0, v17, vcc
	v_mad_u64_u32 v[8:9], s[2:3], s23, 24, v[10:11]
	v_add_co_u32_e32 v6, vcc, s18, v8
	v_addc_co_u32_e32 v7, vcc, v15, v9, vcc
	v_add_co_u32_e32 v8, vcc, s20, v8
	s_cselect_b32 s7, s15, 0
	s_cselect_b32 s6, s14, 0x10000
	v_addc_co_u32_e32 v9, vcc, v17, v9, vcc
	s_lshl_b32 s2, s23, 4
	v_add_co_u32_e32 v12, vcc, s2, v10
	v_addc_co_u32_e64 v13, s[2:3], 0, 0, vcc
	v_add_co_u32_e32 v10, vcc, s18, v12
	v_addc_co_u32_e32 v11, vcc, v15, v13, vcc
	v_add_co_u32_e32 v12, vcc, s20, v12
	v_addc_co_u32_e32 v13, vcc, v17, v13, vcc
	v_add_lshl_u32 v16, v0, s23, 3
	v_add_co_u32_e32 v14, vcc, s18, v16
	s_mov_b32 s22, 0
	v_addc_co_u32_e32 v15, vcc, 0, v15, vcc
	s_lshl_b32 s16, s23, 2
	s_mov_b32 s17, s22
	v_add_co_u32_e32 v16, vcc, s20, v16
	v_cmp_eq_f64_e64 s[0:1], s[8:9], 1.0
	s_mov_b64 s[4:5], 0x10000
	s_lshl_b32 s24, s23, 1
	s_mov_b32 s25, s22
	s_mul_i32 s26, s23, 3
	s_mov_b32 s27, s22
	s_lshl_b32 s28, s23, 5
	s_mov_b32 s29, s22
	v_addc_co_u32_e32 v17, vcc, 0, v17, vcc
	s_mov_b64 s[18:19], s[16:17]
	s_branch .LBB38_9
.LBB38_8:                               ;   in Loop: Header=BB38_9 Depth=1
	s_or_b64 exec, exec, s[2:3]
	s_waitcnt vmcnt(0)
	v_pk_mov_b32 v[18:19], s[14:15], s[14:15] op_sel:[0,1]
	v_cmp_ge_i64_e32 vcc, s[18:19], v[18:19]
	v_mov_b32_e32 v18, 0xffff
	v_mov_b32_e32 v19, 0
	v_cmp_gt_u64_e64 s[2:3], s[18:19], v[18:19]
	s_or_b64 s[2:3], vcc, s[2:3]
	v_mov_b32_e32 v18, s29
	v_add_co_u32_e32 v2, vcc, s28, v2
	v_addc_co_u32_e32 v3, vcc, v3, v18, vcc
	v_add_co_u32_e32 v4, vcc, s28, v4
	v_addc_co_u32_e32 v5, vcc, v5, v18, vcc
	v_mov_b32_e32 v19, s17
	v_add_co_u32_e32 v0, vcc, s16, v0
	v_addc_co_u32_e32 v1, vcc, v1, v19, vcc
	v_add_co_u32_e32 v6, vcc, s28, v6
	v_addc_co_u32_e32 v7, vcc, v7, v18, vcc
	;; [unrolled: 2-line block ×6, first 2 shown]
	v_add_co_u32_e32 v16, vcc, s28, v16
	s_add_u32 s18, s18, s16
	v_addc_co_u32_e32 v17, vcc, v17, v18, vcc
	s_addc_u32 s19, s19, 0
	s_and_b64 vcc, exec, s[2:3]
	s_cbranch_vccnz .LBB38_25
.LBB38_9:                               ; =>This Inner Loop Header: Depth=1
	v_cmp_gt_i64_e32 vcc, s[14:15], v[0:1]
	v_cmp_gt_u64_e64 s[2:3], s[4:5], v[0:1]
	v_pk_mov_b32 v[18:19], 0, 0
	s_and_b64 s[20:21], vcc, s[2:3]
	v_pk_mov_b32 v[22:23], v[18:19], v[18:19] op_sel:[0,1]
	v_pk_mov_b32 v[20:21], v[18:19], v[18:19] op_sel:[0,1]
	s_and_saveexec_b64 s[2:3], s[20:21]
	s_cbranch_execz .LBB38_11
; %bb.10:                               ;   in Loop: Header=BB38_9 Depth=1
	v_mov_b32_e32 v20, s11
	v_add_co_u32_e32 v24, vcc, s10, v2
	v_addc_co_u32_e32 v25, vcc, v3, v20, vcc
	v_add_co_u32_e32 v26, vcc, s10, v4
	v_addc_co_u32_e32 v27, vcc, v5, v20, vcc
	global_load_dwordx2 v[20:21], v[24:25], off
	global_load_dwordx2 v[22:23], v[26:27], off
.LBB38_11:                              ;   in Loop: Header=BB38_9 Depth=1
	s_or_b64 exec, exec, s[2:3]
	v_mov_b32_e32 v25, s22
	v_add_co_u32_e32 v24, vcc, s23, v0
	v_addc_co_u32_e32 v25, vcc, v25, v1, vcc
	v_cmp_gt_i64_e32 vcc, s[14:15], v[24:25]
	v_cmp_gt_u64_e64 s[2:3], s[4:5], v[24:25]
	s_and_b64 s[20:21], vcc, s[2:3]
	v_pk_mov_b32 v[28:29], v[18:19], v[18:19] op_sel:[0,1]
	s_and_saveexec_b64 s[2:3], s[20:21]
	s_cbranch_execz .LBB38_13
; %bb.12:                               ;   in Loop: Header=BB38_9 Depth=1
	v_mov_b32_e32 v18, s11
	v_add_co_u32_e32 v26, vcc, s10, v14
	v_addc_co_u32_e32 v27, vcc, v15, v18, vcc
	v_add_co_u32_e32 v30, vcc, s10, v16
	v_addc_co_u32_e32 v31, vcc, v17, v18, vcc
	global_load_dwordx2 v[28:29], v[26:27], off
	global_load_dwordx2 v[18:19], v[30:31], off
.LBB38_13:                              ;   in Loop: Header=BB38_9 Depth=1
	s_or_b64 exec, exec, s[2:3]
	v_mov_b32_e32 v26, s25
	v_add_co_u32_e32 v30, vcc, s24, v0
	v_addc_co_u32_e32 v31, vcc, v26, v1, vcc
	v_cmp_gt_i64_e32 vcc, s[14:15], v[30:31]
	v_cmp_gt_u64_e64 s[2:3], s[4:5], v[30:31]
	v_pk_mov_b32 v[26:27], 0, 0
	s_and_b64 s[20:21], vcc, s[2:3]
	v_pk_mov_b32 v[34:35], v[26:27], v[26:27] op_sel:[0,1]
	v_pk_mov_b32 v[32:33], v[26:27], v[26:27] op_sel:[0,1]
	s_and_saveexec_b64 s[2:3], s[20:21]
	s_cbranch_execz .LBB38_15
; %bb.14:                               ;   in Loop: Header=BB38_9 Depth=1
	v_mov_b32_e32 v32, s11
	v_add_co_u32_e32 v36, vcc, s10, v10
	v_addc_co_u32_e32 v37, vcc, v11, v32, vcc
	v_add_co_u32_e32 v38, vcc, s10, v12
	v_addc_co_u32_e32 v39, vcc, v13, v32, vcc
	global_load_dwordx2 v[32:33], v[36:37], off
	global_load_dwordx2 v[34:35], v[38:39], off
.LBB38_15:                              ;   in Loop: Header=BB38_9 Depth=1
	s_or_b64 exec, exec, s[2:3]
	v_mov_b32_e32 v37, s27
	v_add_co_u32_e32 v36, vcc, s26, v0
	v_addc_co_u32_e32 v37, vcc, v37, v1, vcc
	v_cmp_gt_i64_e32 vcc, s[14:15], v[36:37]
	v_cmp_gt_u64_e64 s[2:3], s[4:5], v[36:37]
	s_and_b64 s[20:21], vcc, s[2:3]
	v_pk_mov_b32 v[38:39], v[26:27], v[26:27] op_sel:[0,1]
	s_and_saveexec_b64 s[2:3], s[20:21]
	s_cbranch_execnz .LBB38_20
; %bb.16:                               ;   in Loop: Header=BB38_9 Depth=1
	s_or_b64 exec, exec, s[2:3]
	v_cmp_gt_u64_e32 vcc, s[6:7], v[0:1]
	s_and_saveexec_b64 s[2:3], vcc
	s_cbranch_execnz .LBB38_21
.LBB38_17:                              ;   in Loop: Header=BB38_9 Depth=1
	s_or_b64 exec, exec, s[2:3]
	v_cmp_gt_u64_e32 vcc, s[6:7], v[24:25]
	s_and_saveexec_b64 s[2:3], vcc
	s_cbranch_execnz .LBB38_22
.LBB38_18:                              ;   in Loop: Header=BB38_9 Depth=1
	s_or_b64 exec, exec, s[2:3]
	v_cmp_gt_u64_e32 vcc, s[6:7], v[30:31]
	s_and_saveexec_b64 s[2:3], vcc
	s_cbranch_execnz .LBB38_23
.LBB38_19:                              ;   in Loop: Header=BB38_9 Depth=1
	s_or_b64 exec, exec, s[2:3]
	v_cmp_gt_u64_e32 vcc, s[6:7], v[36:37]
	s_and_saveexec_b64 s[2:3], vcc
	s_cbranch_execz .LBB38_8
	s_branch .LBB38_24
.LBB38_20:                              ;   in Loop: Header=BB38_9 Depth=1
	v_mov_b32_e32 v26, s11
	v_add_co_u32_e32 v40, vcc, s10, v6
	v_addc_co_u32_e32 v41, vcc, v7, v26, vcc
	v_add_co_u32_e32 v42, vcc, s10, v8
	v_addc_co_u32_e32 v43, vcc, v9, v26, vcc
	global_load_dwordx2 v[38:39], v[40:41], off
	global_load_dwordx2 v[26:27], v[42:43], off
	s_or_b64 exec, exec, s[2:3]
	v_cmp_gt_u64_e32 vcc, s[6:7], v[0:1]
	s_and_saveexec_b64 s[2:3], vcc
	s_cbranch_execz .LBB38_17
.LBB38_21:                              ;   in Loop: Header=BB38_9 Depth=1
	s_waitcnt vmcnt(0)
	v_fma_f64 v[42:43], s[12:13], v[22:23], v[20:21]
	v_mul_f64 v[22:23], s[12:13], v[22:23]
	v_mov_b32_e32 v41, s11
	v_add_co_u32_e32 v40, vcc, s10, v2
	v_fmac_f64_e32 v[20:21], s[8:9], v[22:23]
	v_addc_co_u32_e32 v41, vcc, v3, v41, vcc
	v_cndmask_b32_e64 v21, v21, v43, s[0:1]
	v_cndmask_b32_e64 v20, v20, v42, s[0:1]
	global_store_dwordx2 v[40:41], v[20:21], off
	s_or_b64 exec, exec, s[2:3]
	v_cmp_gt_u64_e32 vcc, s[6:7], v[24:25]
	s_and_saveexec_b64 s[2:3], vcc
	s_cbranch_execz .LBB38_18
.LBB38_22:                              ;   in Loop: Header=BB38_9 Depth=1
	s_waitcnt vmcnt(0)
	v_fma_f64 v[20:21], s[12:13], v[18:19], v[28:29]
	v_mul_f64 v[18:19], s[12:13], v[18:19]
	v_fmac_f64_e32 v[28:29], s[8:9], v[18:19]
	v_cndmask_b32_e64 v19, v29, v21, s[0:1]
	v_cndmask_b32_e64 v18, v28, v20, s[0:1]
	v_mov_b32_e32 v21, s11
	v_add_co_u32_e32 v20, vcc, s10, v14
	v_addc_co_u32_e32 v21, vcc, v15, v21, vcc
	global_store_dwordx2 v[20:21], v[18:19], off
	s_or_b64 exec, exec, s[2:3]
	v_cmp_gt_u64_e32 vcc, s[6:7], v[30:31]
	s_and_saveexec_b64 s[2:3], vcc
	s_cbranch_execz .LBB38_19
.LBB38_23:                              ;   in Loop: Header=BB38_9 Depth=1
	s_waitcnt vmcnt(0)
	v_mul_f64 v[20:21], s[12:13], v[34:35]
	v_fma_f64 v[18:19], s[12:13], v[34:35], v[32:33]
	v_fmac_f64_e32 v[32:33], s[8:9], v[20:21]
	v_mov_b32_e32 v21, s11
	v_add_co_u32_e32 v20, vcc, s10, v10
	v_cndmask_b32_e64 v19, v33, v19, s[0:1]
	v_cndmask_b32_e64 v18, v32, v18, s[0:1]
	v_addc_co_u32_e32 v21, vcc, v11, v21, vcc
	global_store_dwordx2 v[20:21], v[18:19], off
	s_or_b64 exec, exec, s[2:3]
	v_cmp_gt_u64_e32 vcc, s[6:7], v[36:37]
	s_and_saveexec_b64 s[2:3], vcc
	s_cbranch_execz .LBB38_8
.LBB38_24:                              ;   in Loop: Header=BB38_9 Depth=1
	s_waitcnt vmcnt(0)
	v_mul_f64 v[20:21], s[12:13], v[26:27]
	v_fma_f64 v[18:19], s[12:13], v[26:27], v[38:39]
	v_fmac_f64_e32 v[38:39], s[8:9], v[20:21]
	v_mov_b32_e32 v21, s11
	v_add_co_u32_e32 v20, vcc, s10, v6
	v_cndmask_b32_e64 v19, v39, v19, s[0:1]
	v_cndmask_b32_e64 v18, v38, v18, s[0:1]
	v_addc_co_u32_e32 v21, vcc, v7, v21, vcc
	global_store_dwordx2 v[20:21], v[18:19], off
	s_branch .LBB38_8
.LBB38_25:
	s_endpgm
	.section	.rodata,"a",@progbits
	.p2align	6, 0x0
	.amdhsa_kernel _ZN2at6native12_GLOBAL__N_125multi_tensor_apply_kernelINS1_18TensorListMetadataILi3EEENS1_32PointwiseOpScalar0dTensorFunctorIdLi3ELi2ELi0EEEJSt10multipliesIdEdEEEvT_T0_DpT1_
		.amdhsa_group_segment_fixed_size 0
		.amdhsa_private_segment_fixed_size 0
		.amdhsa_kernarg_size 3416
		.amdhsa_user_sgpr_count 6
		.amdhsa_user_sgpr_private_segment_buffer 1
		.amdhsa_user_sgpr_dispatch_ptr 0
		.amdhsa_user_sgpr_queue_ptr 0
		.amdhsa_user_sgpr_kernarg_segment_ptr 1
		.amdhsa_user_sgpr_dispatch_id 0
		.amdhsa_user_sgpr_flat_scratch_init 0
		.amdhsa_user_sgpr_kernarg_preload_length 0
		.amdhsa_user_sgpr_kernarg_preload_offset 0
		.amdhsa_user_sgpr_private_segment_size 0
		.amdhsa_uses_dynamic_stack 0
		.amdhsa_system_sgpr_private_segment_wavefront_offset 0
		.amdhsa_system_sgpr_workgroup_id_x 1
		.amdhsa_system_sgpr_workgroup_id_y 0
		.amdhsa_system_sgpr_workgroup_id_z 0
		.amdhsa_system_sgpr_workgroup_info 0
		.amdhsa_system_vgpr_workitem_id 0
		.amdhsa_next_free_vgpr 44
		.amdhsa_next_free_sgpr 32
		.amdhsa_accum_offset 44
		.amdhsa_reserve_vcc 1
		.amdhsa_reserve_flat_scratch 0
		.amdhsa_float_round_mode_32 0
		.amdhsa_float_round_mode_16_64 0
		.amdhsa_float_denorm_mode_32 3
		.amdhsa_float_denorm_mode_16_64 3
		.amdhsa_dx10_clamp 1
		.amdhsa_ieee_mode 1
		.amdhsa_fp16_overflow 0
		.amdhsa_tg_split 0
		.amdhsa_exception_fp_ieee_invalid_op 0
		.amdhsa_exception_fp_denorm_src 0
		.amdhsa_exception_fp_ieee_div_zero 0
		.amdhsa_exception_fp_ieee_overflow 0
		.amdhsa_exception_fp_ieee_underflow 0
		.amdhsa_exception_fp_ieee_inexact 0
		.amdhsa_exception_int_div_zero 0
	.end_amdhsa_kernel
	.section	.text._ZN2at6native12_GLOBAL__N_125multi_tensor_apply_kernelINS1_18TensorListMetadataILi3EEENS1_32PointwiseOpScalar0dTensorFunctorIdLi3ELi2ELi0EEEJSt10multipliesIdEdEEEvT_T0_DpT1_,"axG",@progbits,_ZN2at6native12_GLOBAL__N_125multi_tensor_apply_kernelINS1_18TensorListMetadataILi3EEENS1_32PointwiseOpScalar0dTensorFunctorIdLi3ELi2ELi0EEEJSt10multipliesIdEdEEEvT_T0_DpT1_,comdat
.Lfunc_end38:
	.size	_ZN2at6native12_GLOBAL__N_125multi_tensor_apply_kernelINS1_18TensorListMetadataILi3EEENS1_32PointwiseOpScalar0dTensorFunctorIdLi3ELi2ELi0EEEJSt10multipliesIdEdEEEvT_T0_DpT1_, .Lfunc_end38-_ZN2at6native12_GLOBAL__N_125multi_tensor_apply_kernelINS1_18TensorListMetadataILi3EEENS1_32PointwiseOpScalar0dTensorFunctorIdLi3ELi2ELi0EEEJSt10multipliesIdEdEEEvT_T0_DpT1_
                                        ; -- End function
	.section	.AMDGPU.csdata,"",@progbits
; Kernel info:
; codeLenInByte = 1704
; NumSgprs: 36
; NumVgprs: 44
; NumAgprs: 0
; TotalNumVgprs: 44
; ScratchSize: 0
; MemoryBound: 0
; FloatMode: 240
; IeeeMode: 1
; LDSByteSize: 0 bytes/workgroup (compile time only)
; SGPRBlocks: 4
; VGPRBlocks: 5
; NumSGPRsForWavesPerEU: 36
; NumVGPRsForWavesPerEU: 44
; AccumOffset: 44
; Occupancy: 8
; WaveLimiterHint : 0
; COMPUTE_PGM_RSRC2:SCRATCH_EN: 0
; COMPUTE_PGM_RSRC2:USER_SGPR: 6
; COMPUTE_PGM_RSRC2:TRAP_HANDLER: 0
; COMPUTE_PGM_RSRC2:TGID_X_EN: 1
; COMPUTE_PGM_RSRC2:TGID_Y_EN: 0
; COMPUTE_PGM_RSRC2:TGID_Z_EN: 0
; COMPUTE_PGM_RSRC2:TIDIG_COMP_CNT: 0
; COMPUTE_PGM_RSRC3_GFX90A:ACCUM_OFFSET: 10
; COMPUTE_PGM_RSRC3_GFX90A:TG_SPLIT: 0
	.section	.text._ZN2at6native12_GLOBAL__N_125multi_tensor_apply_kernelINS1_18TensorListMetadataILi3EEENS1_32PointwiseOpScalar0dTensorFunctorIfLi3ELi2ELi0EEEJSt10multipliesIfEfEEEvT_T0_DpT1_,"axG",@progbits,_ZN2at6native12_GLOBAL__N_125multi_tensor_apply_kernelINS1_18TensorListMetadataILi3EEENS1_32PointwiseOpScalar0dTensorFunctorIfLi3ELi2ELi0EEEJSt10multipliesIfEfEEEvT_T0_DpT1_,comdat
	.globl	_ZN2at6native12_GLOBAL__N_125multi_tensor_apply_kernelINS1_18TensorListMetadataILi3EEENS1_32PointwiseOpScalar0dTensorFunctorIfLi3ELi2ELi0EEEJSt10multipliesIfEfEEEvT_T0_DpT1_ ; -- Begin function _ZN2at6native12_GLOBAL__N_125multi_tensor_apply_kernelINS1_18TensorListMetadataILi3EEENS1_32PointwiseOpScalar0dTensorFunctorIfLi3ELi2ELi0EEEJSt10multipliesIfEfEEEvT_T0_DpT1_
	.p2align	8
	.type	_ZN2at6native12_GLOBAL__N_125multi_tensor_apply_kernelINS1_18TensorListMetadataILi3EEENS1_32PointwiseOpScalar0dTensorFunctorIfLi3ELi2ELi0EEEJSt10multipliesIfEfEEEvT_T0_DpT1_,@function
_ZN2at6native12_GLOBAL__N_125multi_tensor_apply_kernelINS1_18TensorListMetadataILi3EEENS1_32PointwiseOpScalar0dTensorFunctorIfLi3ELi2ELi0EEEJSt10multipliesIfEfEEEvT_T0_DpT1_: ; @_ZN2at6native12_GLOBAL__N_125multi_tensor_apply_kernelINS1_18TensorListMetadataILi3EEENS1_32PointwiseOpScalar0dTensorFunctorIfLi3ELi2ELi0EEEJSt10multipliesIfEfEEEvT_T0_DpT1_
; %bb.0:
	v_mov_b32_e32 v1, s6
	global_load_ubyte v1, v1, s[4:5] offset:1536
	s_add_u32 s0, s4, s6
	s_mul_hi_u32 s1, s6, 3
	s_mul_i32 s6, s6, 3
	s_addc_u32 s2, s5, 0
	s_add_u32 s0, s0, s6
	s_addc_u32 s1, s2, s1
	s_load_dword s8, s[0:1], 0x740
	s_load_dword s22, s[4:5], 0xc4c
	s_mov_b32 s3, 0
	s_mov_b32 s1, s3
	s_waitcnt lgkmcnt(0)
	s_ashr_i32 s9, s8, 31
	s_lshl_b64 s[6:7], s[8:9], 18
	s_waitcnt vmcnt(0)
	v_readfirstlane_b32 s0, v1
	s_lshl_b32 s0, s0, 3
	s_load_dwordx2 s[14:15], s[4:5], s0 offset:0x0
	s_load_dwordx2 s[10:11], s[4:5], s0 offset:0x180
	;; [unrolled: 1-line block ×4, first 2 shown]
	s_waitcnt lgkmcnt(0)
	s_add_u32 s24, s14, s6
	s_addc_u32 s25, s15, s7
	s_and_b32 s2, s24, 15
	s_add_u32 s0, s10, s6
	s_add_u32 s26, s16, s6
	s_addc_u32 s27, s17, s7
	s_or_b32 s0, s26, s0
	s_and_b32 s0, s0, 15
	s_cmp_lg_u32 s0, 0
	s_load_dword s23, s[10:11], 0x0
	s_cselect_b64 s[10:11], -1, 0
	s_lshl_b64 s[8:9], s[8:9], 16
	s_sub_u32 s8, s12, s8
	s_subb_u32 s9, s13, s9
	s_and_b32 s0, s12, 3
	s_or_b64 s[0:1], s[2:3], s[0:1]
	s_cmp_lg_u64 s[0:1], 0
	s_cselect_b64 s[0:1], -1, 0
	s_or_b64 s[0:1], s[10:11], s[0:1]
	s_andn2_b64 vcc, exec, s[0:1]
	s_mov_b64 s[0:1], -1
	s_cbranch_vccz .LBB39_21
; %bb.1:
	v_mov_b32_e32 v15, 0
	v_lshlrev_b32_e32 v14, 2, v0
	v_cmp_gt_i64_e32 vcc, s[8:9], v[14:15]
	s_and_saveexec_b64 s[10:11], vcc
	s_cbranch_execz .LBB39_20
; %bb.2:
	s_load_dword s0, s[4:5], 0xc5c
	v_cmp_neq_f32_e64 s[18:19], s22, 1.0
	v_cndmask_b32_e64 v1, 0, 1, s[18:19]
	v_lshlrev_b32_e32 v16, 4, v0
	s_mov_b64 s[12:13], 0
	s_waitcnt lgkmcnt(0)
	s_and_b32 s0, s0, 0xffff
	v_add_lshl_u32 v14, v0, s0, 2
	s_lshl_b32 s28, s0, 2
	s_lshl_b32 s29, s0, 4
	v_cmp_ne_u32_e64 s[0:1], 1, v1
	s_mov_b64 s[20:21], 0xffff
	v_mov_b32_e32 v1, s3
	s_branch .LBB39_4
.LBB39_3:                               ;   in Loop: Header=BB39_4 Depth=1
	v_cmp_le_i64_e32 vcc, s[8:9], v[14:15]
	v_cmp_lt_u64_e64 s[2:3], s[20:21], v[14:15]
	s_or_b64 s[2:3], vcc, s[2:3]
	s_add_u32 s24, s24, s29
	s_addc_u32 s25, s25, 0
	s_add_u32 s26, s26, s29
	s_addc_u32 s27, s27, 0
	s_and_b64 s[2:3], exec, s[2:3]
	v_add_co_u32_e32 v14, vcc, s28, v14
	s_or_b64 s[12:13], s[2:3], s[12:13]
	v_addc_co_u32_e32 v15, vcc, v15, v1, vcc
	global_store_dwordx4 v[18:19], v[10:13], off
	s_andn2_b64 exec, exec, s[12:13]
	s_cbranch_execz .LBB39_20
.LBB39_4:                               ; =>This Inner Loop Header: Depth=1
	s_waitcnt vmcnt(2)
	v_mov_b32_e32 v2, s25
	v_add_co_u32_e32 v18, vcc, s24, v16
	v_addc_co_u32_e32 v19, vcc, 0, v2, vcc
	s_waitcnt vmcnt(1)
	v_mov_b32_e32 v7, s27
	v_add_co_u32_e32 v6, vcc, s26, v16
	v_addc_co_u32_e32 v7, vcc, 0, v7, vcc
	global_load_dwordx4 v[2:5], v[18:19], off
	s_and_b64 vcc, exec, s[18:19]
	global_load_dwordx4 v[6:9], v[6:7], off
	s_cbranch_vccz .LBB39_15
; %bb.5:                                ;   in Loop: Header=BB39_4 Depth=1
	s_waitcnt vmcnt(0)
	v_mul_f32_e32 v10, s23, v6
	v_fma_f32 v10, s22, v10, v2
	s_cbranch_execnz .LBB39_7
.LBB39_6:                               ;   in Loop: Header=BB39_4 Depth=1
	s_waitcnt vmcnt(0)
	v_fma_f32 v10, s23, v6, v2
.LBB39_7:                               ;   in Loop: Header=BB39_4 Depth=1
	s_and_b64 vcc, exec, s[0:1]
	s_cbranch_vccnz .LBB39_16
; %bb.8:                                ;   in Loop: Header=BB39_4 Depth=1
	s_waitcnt vmcnt(0)
	v_mul_f32_e32 v2, s23, v7
	v_fma_f32 v11, s22, v2, v3
	s_cbranch_execnz .LBB39_10
.LBB39_9:                               ;   in Loop: Header=BB39_4 Depth=1
	s_waitcnt vmcnt(0)
	v_fma_f32 v11, s23, v7, v3
.LBB39_10:                              ;   in Loop: Header=BB39_4 Depth=1
	s_and_b64 vcc, exec, s[0:1]
	s_cbranch_vccnz .LBB39_17
; %bb.11:                               ;   in Loop: Header=BB39_4 Depth=1
	s_waitcnt vmcnt(0)
	v_mul_f32_e32 v2, s23, v8
	v_fma_f32 v12, s22, v2, v4
	s_cbranch_execnz .LBB39_13
.LBB39_12:                              ;   in Loop: Header=BB39_4 Depth=1
	s_waitcnt vmcnt(0)
	v_fma_f32 v12, s23, v8, v4
.LBB39_13:                              ;   in Loop: Header=BB39_4 Depth=1
	s_and_b64 vcc, exec, s[0:1]
	s_cbranch_vccnz .LBB39_18
; %bb.14:                               ;   in Loop: Header=BB39_4 Depth=1
	s_waitcnt vmcnt(0)
	v_mul_f32_e32 v2, s23, v9
	v_fma_f32 v13, s22, v2, v5
	s_cbranch_execnz .LBB39_3
	s_branch .LBB39_19
.LBB39_15:                              ;   in Loop: Header=BB39_4 Depth=1
                                        ; implicit-def: $vgpr10
	s_branch .LBB39_6
.LBB39_16:                              ;   in Loop: Header=BB39_4 Depth=1
	s_branch .LBB39_9
.LBB39_17:                              ;   in Loop: Header=BB39_4 Depth=1
	s_branch .LBB39_12
.LBB39_18:                              ;   in Loop: Header=BB39_4 Depth=1
.LBB39_19:                              ;   in Loop: Header=BB39_4 Depth=1
	s_waitcnt vmcnt(0)
	v_fmac_f32_e32 v5, s23, v9
	v_mov_b32_e32 v13, v5
	s_branch .LBB39_3
.LBB39_20:
	s_or_b64 exec, exec, s[10:11]
	s_mov_b64 s[0:1], 0
.LBB39_21:
	s_andn2_b64 vcc, exec, s[0:1]
	s_cbranch_vccnz .LBB39_57
; %bb.22:
	v_cmp_lt_i64_e64 s[0:1], s[8:9], 1
	s_and_b64 vcc, exec, s[0:1]
	s_cbranch_vccnz .LBB39_57
; %bb.23:
	s_load_dword s0, s[4:5], 0xc5c
	s_waitcnt vmcnt(2)
	v_mov_b32_e32 v2, 0x10000
	v_mov_b32_e32 v3, 0
	v_cmp_lt_u64_e32 vcc, s[8:9], v[2:3]
	v_lshlrev_b32_e32 v10, 2, v0
	s_waitcnt lgkmcnt(0)
	s_and_b32 s18, s0, 0xffff
	s_and_b64 s[0:1], vcc, exec
	v_mov_b32_e32 v15, s15
	v_add_co_u32_e32 v2, vcc, s14, v10
	v_mov_b32_e32 v1, 0
	v_addc_co_u32_e32 v3, vcc, 0, v15, vcc
	v_mov_b32_e32 v11, v1
	v_mov_b32_e32 v17, s17
	v_add_co_u32_e32 v4, vcc, s16, v10
	v_addc_co_u32_e32 v5, vcc, 0, v17, vcc
	s_waitcnt vmcnt(1)
	v_mad_u64_u32 v[8:9], s[0:1], s18, 12, v[10:11]
	v_add_co_u32_e32 v6, vcc, s14, v8
	v_addc_co_u32_e32 v7, vcc, v15, v9, vcc
	v_add_co_u32_e32 v8, vcc, s16, v8
	s_cselect_b32 s11, s9, 0
	s_cselect_b32 s10, s8, 0x10000
	v_addc_co_u32_e32 v9, vcc, v17, v9, vcc
	s_lshl_b32 s0, s18, 3
	v_add_co_u32_e32 v12, vcc, s0, v10
	v_addc_co_u32_e64 v13, s[0:1], 0, 0, vcc
	v_add_co_u32_e32 v10, vcc, s14, v12
	v_addc_co_u32_e32 v11, vcc, v15, v13, vcc
	v_add_co_u32_e32 v12, vcc, s16, v12
	v_addc_co_u32_e32 v13, vcc, v17, v13, vcc
	v_add_lshl_u32 v16, v0, s18, 2
	v_add_co_u32_e32 v14, vcc, s14, v16
	s_mov_b32 s27, 0
	v_addc_co_u32_e32 v15, vcc, 0, v15, vcc
	s_lshl_b32 s12, s18, 2
	s_mov_b32 s13, s27
	v_add_co_u32_e32 v16, vcc, s16, v16
	v_cmp_neq_f32_e64 s[2:3], s22, 1.0
	s_mov_b64 s[4:5], 0x10000
	s_lshl_b32 s19, s18, 1
	s_mov_b32 s20, s27
	s_mul_i32 s21, s18, 3
	s_mov_b32 s24, s27
	s_lshl_b32 s25, s18, 4
	s_mov_b32 s26, s27
	v_addc_co_u32_e32 v17, vcc, 0, v17, vcc
	v_mov_b32_e32 v24, s27
	s_mov_b64 s[14:15], s[12:13]
	s_branch .LBB39_25
.LBB39_24:                              ;   in Loop: Header=BB39_25 Depth=1
	s_or_b64 exec, exec, s[0:1]
	v_pk_mov_b32 v[18:19], s[8:9], s[8:9] op_sel:[0,1]
	v_cmp_ge_i64_e32 vcc, s[14:15], v[18:19]
	v_mov_b32_e32 v18, 0xffff
	v_mov_b32_e32 v19, 0
	v_cmp_gt_u64_e64 s[0:1], s[14:15], v[18:19]
	s_or_b64 s[0:1], vcc, s[0:1]
	v_mov_b32_e32 v18, s26
	v_add_co_u32_e32 v2, vcc, s25, v2
	v_addc_co_u32_e32 v3, vcc, v3, v18, vcc
	v_add_co_u32_e32 v4, vcc, s25, v4
	v_addc_co_u32_e32 v5, vcc, v5, v18, vcc
	v_mov_b32_e32 v19, s13
	v_add_co_u32_e32 v0, vcc, s12, v0
	v_addc_co_u32_e32 v1, vcc, v1, v19, vcc
	v_add_co_u32_e32 v6, vcc, s25, v6
	v_addc_co_u32_e32 v7, vcc, v7, v18, vcc
	;; [unrolled: 2-line block ×6, first 2 shown]
	v_add_co_u32_e32 v16, vcc, s25, v16
	s_add_u32 s14, s14, s12
	v_addc_co_u32_e32 v17, vcc, v17, v18, vcc
	s_addc_u32 s15, s15, 0
	s_and_b64 vcc, exec, s[0:1]
	s_cbranch_vccnz .LBB39_57
.LBB39_25:                              ; =>This Inner Loop Header: Depth=1
	v_cmp_gt_i64_e32 vcc, s[8:9], v[0:1]
	v_cmp_gt_u64_e64 s[0:1], s[4:5], v[0:1]
	s_and_b64 s[16:17], vcc, s[0:1]
	s_waitcnt vmcnt(0)
	v_mov_b32_e32 v27, 0
	v_mov_b32_e32 v26, 0
	s_and_saveexec_b64 s[0:1], s[16:17]
	s_cbranch_execz .LBB39_27
; %bb.26:                               ;   in Loop: Header=BB39_25 Depth=1
	v_mov_b32_e32 v21, s7
	v_add_co_u32_e32 v18, vcc, s6, v2
	v_addc_co_u32_e32 v19, vcc, v3, v21, vcc
	v_add_co_u32_e32 v20, vcc, s6, v4
	v_addc_co_u32_e32 v21, vcc, v5, v21, vcc
	global_load_dword v26, v[18:19], off
	global_load_dword v27, v[20:21], off
.LBB39_27:                              ;   in Loop: Header=BB39_25 Depth=1
	s_or_b64 exec, exec, s[0:1]
	v_add_co_u32_e32 v18, vcc, s18, v0
	v_addc_co_u32_e32 v19, vcc, v24, v1, vcc
	v_cmp_gt_i64_e32 vcc, s[8:9], v[18:19]
	v_cmp_gt_u64_e64 s[0:1], s[4:5], v[18:19]
	s_and_b64 s[16:17], vcc, s[0:1]
	v_mov_b32_e32 v25, 0
	v_mov_b32_e32 v29, 0
	;; [unrolled: 1-line block ×3, first 2 shown]
	s_and_saveexec_b64 s[0:1], s[16:17]
	s_cbranch_execz .LBB39_29
; %bb.28:                               ;   in Loop: Header=BB39_25 Depth=1
	v_mov_b32_e32 v23, s7
	v_add_co_u32_e32 v20, vcc, s6, v14
	v_addc_co_u32_e32 v21, vcc, v15, v23, vcc
	v_add_co_u32_e32 v22, vcc, s6, v16
	v_addc_co_u32_e32 v23, vcc, v17, v23, vcc
	global_load_dword v28, v[20:21], off
	global_load_dword v29, v[22:23], off
.LBB39_29:                              ;   in Loop: Header=BB39_25 Depth=1
	s_or_b64 exec, exec, s[0:1]
	v_mov_b32_e32 v21, s20
	v_add_co_u32_e32 v20, vcc, s19, v0
	v_addc_co_u32_e32 v21, vcc, v21, v1, vcc
	v_cmp_gt_i64_e32 vcc, s[8:9], v[20:21]
	v_cmp_gt_u64_e64 s[0:1], s[4:5], v[20:21]
	s_and_b64 s[16:17], vcc, s[0:1]
	v_mov_b32_e32 v30, 0
	s_and_saveexec_b64 s[0:1], s[16:17]
	s_cbranch_execz .LBB39_31
; %bb.30:                               ;   in Loop: Header=BB39_25 Depth=1
	v_mov_b32_e32 v25, s7
	v_add_co_u32_e32 v22, vcc, s6, v10
	v_addc_co_u32_e32 v23, vcc, v11, v25, vcc
	v_add_co_u32_e32 v32, vcc, s6, v12
	v_addc_co_u32_e32 v33, vcc, v13, v25, vcc
	global_load_dword v30, v[22:23], off
	global_load_dword v25, v[32:33], off
.LBB39_31:                              ;   in Loop: Header=BB39_25 Depth=1
	s_or_b64 exec, exec, s[0:1]
	v_mov_b32_e32 v23, s24
	v_add_co_u32_e32 v22, vcc, s21, v0
	v_addc_co_u32_e32 v23, vcc, v23, v1, vcc
	v_cmp_gt_i64_e32 vcc, s[8:9], v[22:23]
	v_cmp_gt_u64_e64 s[0:1], s[4:5], v[22:23]
	s_and_b64 s[16:17], vcc, s[0:1]
	v_mov_b32_e32 v31, 0
	v_mov_b32_e32 v32, 0
	s_and_saveexec_b64 s[0:1], s[16:17]
	s_cbranch_execz .LBB39_33
; %bb.32:                               ;   in Loop: Header=BB39_25 Depth=1
	v_mov_b32_e32 v31, s7
	v_add_co_u32_e32 v34, vcc, s6, v6
	v_addc_co_u32_e32 v35, vcc, v7, v31, vcc
	v_add_co_u32_e32 v36, vcc, s6, v8
	v_addc_co_u32_e32 v37, vcc, v9, v31, vcc
	global_load_dword v32, v[34:35], off
	global_load_dword v31, v[36:37], off
.LBB39_33:                              ;   in Loop: Header=BB39_25 Depth=1
	s_or_b64 exec, exec, s[0:1]
	s_and_b64 vcc, exec, s[2:3]
	s_cbranch_vccz .LBB39_53
; %bb.34:                               ;   in Loop: Header=BB39_25 Depth=1
	s_waitcnt vmcnt(0)
	v_mul_f32_e32 v33, s23, v27
	v_fma_f32 v33, s22, v33, v26
	s_cbranch_execnz .LBB39_36
.LBB39_35:                              ;   in Loop: Header=BB39_25 Depth=1
	s_waitcnt vmcnt(0)
	v_fmac_f32_e32 v26, s23, v27
	v_mov_b32_e32 v33, v26
.LBB39_36:                              ;   in Loop: Header=BB39_25 Depth=1
	s_waitcnt vmcnt(1)
	v_cndmask_b32_e64 v26, 0, 1, s[2:3]
	v_cmp_ne_u32_e64 s[0:1], 1, v26
	s_andn2_b64 vcc, exec, s[2:3]
	s_cbranch_vccnz .LBB39_54
; %bb.37:                               ;   in Loop: Header=BB39_25 Depth=1
	s_waitcnt vmcnt(0)
	v_mul_f32_e32 v26, s23, v29
	v_fma_f32 v26, s22, v26, v28
	s_cbranch_execnz .LBB39_39
.LBB39_38:                              ;   in Loop: Header=BB39_25 Depth=1
	s_waitcnt vmcnt(0)
	v_fmac_f32_e32 v28, s23, v29
	v_mov_b32_e32 v26, v28
.LBB39_39:                              ;   in Loop: Header=BB39_25 Depth=1
	s_and_b64 vcc, exec, s[0:1]
	s_cbranch_vccnz .LBB39_55
; %bb.40:                               ;   in Loop: Header=BB39_25 Depth=1
	s_waitcnt vmcnt(0)
	v_mul_f32_e32 v27, s23, v25
	v_fma_f32 v27, s22, v27, v30
	s_cbranch_execnz .LBB39_42
.LBB39_41:                              ;   in Loop: Header=BB39_25 Depth=1
	s_waitcnt vmcnt(0)
	v_fmac_f32_e32 v30, s23, v25
	v_mov_b32_e32 v27, v30
.LBB39_42:                              ;   in Loop: Header=BB39_25 Depth=1
	s_and_b64 vcc, exec, s[0:1]
	s_cbranch_vccnz .LBB39_56
; %bb.43:                               ;   in Loop: Header=BB39_25 Depth=1
	s_waitcnt vmcnt(0)
	v_mul_f32_e32 v25, s23, v31
	v_fma_f32 v25, s22, v25, v32
	s_cbranch_execnz .LBB39_45
.LBB39_44:                              ;   in Loop: Header=BB39_25 Depth=1
	s_waitcnt vmcnt(0)
	v_fmac_f32_e32 v32, s23, v31
	v_mov_b32_e32 v25, v32
.LBB39_45:                              ;   in Loop: Header=BB39_25 Depth=1
	v_cmp_gt_u64_e32 vcc, s[10:11], v[0:1]
	s_and_saveexec_b64 s[0:1], vcc
	s_xor_b64 s[0:1], exec, s[0:1]
	s_cbranch_execz .LBB39_47
; %bb.46:                               ;   in Loop: Header=BB39_25 Depth=1
	s_waitcnt vmcnt(0)
	v_mov_b32_e32 v29, s7
	v_add_co_u32_e32 v28, vcc, s6, v2
	v_addc_co_u32_e32 v29, vcc, v3, v29, vcc
	global_store_dword v[28:29], v33, off
.LBB39_47:                              ;   in Loop: Header=BB39_25 Depth=1
	s_or_b64 exec, exec, s[0:1]
	v_cmp_gt_u64_e32 vcc, s[10:11], v[18:19]
	s_and_saveexec_b64 s[0:1], vcc
	s_cbranch_execnz .LBB39_50
; %bb.48:                               ;   in Loop: Header=BB39_25 Depth=1
	s_or_b64 exec, exec, s[0:1]
	v_cmp_gt_u64_e32 vcc, s[10:11], v[20:21]
	s_and_saveexec_b64 s[0:1], vcc
	s_cbranch_execnz .LBB39_51
.LBB39_49:                              ;   in Loop: Header=BB39_25 Depth=1
	s_or_b64 exec, exec, s[0:1]
	v_cmp_gt_u64_e32 vcc, s[10:11], v[22:23]
	s_and_saveexec_b64 s[0:1], vcc
	s_cbranch_execz .LBB39_24
	s_branch .LBB39_52
.LBB39_50:                              ;   in Loop: Header=BB39_25 Depth=1
	v_mov_b32_e32 v19, s7
	v_add_co_u32_e32 v18, vcc, s6, v14
	v_addc_co_u32_e32 v19, vcc, v15, v19, vcc
	global_store_dword v[18:19], v26, off
	s_or_b64 exec, exec, s[0:1]
	v_cmp_gt_u64_e32 vcc, s[10:11], v[20:21]
	s_and_saveexec_b64 s[0:1], vcc
	s_cbranch_execz .LBB39_49
.LBB39_51:                              ;   in Loop: Header=BB39_25 Depth=1
	v_mov_b32_e32 v19, s7
	v_add_co_u32_e32 v18, vcc, s6, v10
	v_addc_co_u32_e32 v19, vcc, v11, v19, vcc
	s_waitcnt vmcnt(0)
	global_store_dword v[18:19], v27, off
	s_or_b64 exec, exec, s[0:1]
	v_cmp_gt_u64_e32 vcc, s[10:11], v[22:23]
	s_and_saveexec_b64 s[0:1], vcc
	s_cbranch_execz .LBB39_24
.LBB39_52:                              ;   in Loop: Header=BB39_25 Depth=1
	v_mov_b32_e32 v19, s7
	v_add_co_u32_e32 v18, vcc, s6, v6
	v_addc_co_u32_e32 v19, vcc, v7, v19, vcc
	s_waitcnt vmcnt(0)
	global_store_dword v[18:19], v25, off
	s_branch .LBB39_24
.LBB39_53:                              ;   in Loop: Header=BB39_25 Depth=1
                                        ; implicit-def: $vgpr33
	s_branch .LBB39_35
.LBB39_54:                              ;   in Loop: Header=BB39_25 Depth=1
                                        ; implicit-def: $vgpr26
	s_branch .LBB39_38
.LBB39_55:                              ;   in Loop: Header=BB39_25 Depth=1
                                        ; implicit-def: $vgpr27
	s_branch .LBB39_41
.LBB39_56:                              ;   in Loop: Header=BB39_25 Depth=1
                                        ; implicit-def: $vgpr25
	s_branch .LBB39_44
.LBB39_57:
	s_endpgm
	.section	.rodata,"a",@progbits
	.p2align	6, 0x0
	.amdhsa_kernel _ZN2at6native12_GLOBAL__N_125multi_tensor_apply_kernelINS1_18TensorListMetadataILi3EEENS1_32PointwiseOpScalar0dTensorFunctorIfLi3ELi2ELi0EEEJSt10multipliesIfEfEEEvT_T0_DpT1_
		.amdhsa_group_segment_fixed_size 0
		.amdhsa_private_segment_fixed_size 0
		.amdhsa_kernarg_size 3408
		.amdhsa_user_sgpr_count 6
		.amdhsa_user_sgpr_private_segment_buffer 1
		.amdhsa_user_sgpr_dispatch_ptr 0
		.amdhsa_user_sgpr_queue_ptr 0
		.amdhsa_user_sgpr_kernarg_segment_ptr 1
		.amdhsa_user_sgpr_dispatch_id 0
		.amdhsa_user_sgpr_flat_scratch_init 0
		.amdhsa_user_sgpr_kernarg_preload_length 0
		.amdhsa_user_sgpr_kernarg_preload_offset 0
		.amdhsa_user_sgpr_private_segment_size 0
		.amdhsa_uses_dynamic_stack 0
		.amdhsa_system_sgpr_private_segment_wavefront_offset 0
		.amdhsa_system_sgpr_workgroup_id_x 1
		.amdhsa_system_sgpr_workgroup_id_y 0
		.amdhsa_system_sgpr_workgroup_id_z 0
		.amdhsa_system_sgpr_workgroup_info 0
		.amdhsa_system_vgpr_workitem_id 0
		.amdhsa_next_free_vgpr 38
		.amdhsa_next_free_sgpr 30
		.amdhsa_accum_offset 40
		.amdhsa_reserve_vcc 1
		.amdhsa_reserve_flat_scratch 0
		.amdhsa_float_round_mode_32 0
		.amdhsa_float_round_mode_16_64 0
		.amdhsa_float_denorm_mode_32 3
		.amdhsa_float_denorm_mode_16_64 3
		.amdhsa_dx10_clamp 1
		.amdhsa_ieee_mode 1
		.amdhsa_fp16_overflow 0
		.amdhsa_tg_split 0
		.amdhsa_exception_fp_ieee_invalid_op 0
		.amdhsa_exception_fp_denorm_src 0
		.amdhsa_exception_fp_ieee_div_zero 0
		.amdhsa_exception_fp_ieee_overflow 0
		.amdhsa_exception_fp_ieee_underflow 0
		.amdhsa_exception_fp_ieee_inexact 0
		.amdhsa_exception_int_div_zero 0
	.end_amdhsa_kernel
	.section	.text._ZN2at6native12_GLOBAL__N_125multi_tensor_apply_kernelINS1_18TensorListMetadataILi3EEENS1_32PointwiseOpScalar0dTensorFunctorIfLi3ELi2ELi0EEEJSt10multipliesIfEfEEEvT_T0_DpT1_,"axG",@progbits,_ZN2at6native12_GLOBAL__N_125multi_tensor_apply_kernelINS1_18TensorListMetadataILi3EEENS1_32PointwiseOpScalar0dTensorFunctorIfLi3ELi2ELi0EEEJSt10multipliesIfEfEEEvT_T0_DpT1_,comdat
.Lfunc_end39:
	.size	_ZN2at6native12_GLOBAL__N_125multi_tensor_apply_kernelINS1_18TensorListMetadataILi3EEENS1_32PointwiseOpScalar0dTensorFunctorIfLi3ELi2ELi0EEEJSt10multipliesIfEfEEEvT_T0_DpT1_, .Lfunc_end39-_ZN2at6native12_GLOBAL__N_125multi_tensor_apply_kernelINS1_18TensorListMetadataILi3EEENS1_32PointwiseOpScalar0dTensorFunctorIfLi3ELi2ELi0EEEJSt10multipliesIfEfEEEvT_T0_DpT1_
                                        ; -- End function
	.section	.AMDGPU.csdata,"",@progbits
; Kernel info:
; codeLenInByte = 1736
; NumSgprs: 34
; NumVgprs: 38
; NumAgprs: 0
; TotalNumVgprs: 38
; ScratchSize: 0
; MemoryBound: 1
; FloatMode: 240
; IeeeMode: 1
; LDSByteSize: 0 bytes/workgroup (compile time only)
; SGPRBlocks: 4
; VGPRBlocks: 4
; NumSGPRsForWavesPerEU: 34
; NumVGPRsForWavesPerEU: 38
; AccumOffset: 40
; Occupancy: 8
; WaveLimiterHint : 0
; COMPUTE_PGM_RSRC2:SCRATCH_EN: 0
; COMPUTE_PGM_RSRC2:USER_SGPR: 6
; COMPUTE_PGM_RSRC2:TRAP_HANDLER: 0
; COMPUTE_PGM_RSRC2:TGID_X_EN: 1
; COMPUTE_PGM_RSRC2:TGID_Y_EN: 0
; COMPUTE_PGM_RSRC2:TGID_Z_EN: 0
; COMPUTE_PGM_RSRC2:TIDIG_COMP_CNT: 0
; COMPUTE_PGM_RSRC3_GFX90A:ACCUM_OFFSET: 9
; COMPUTE_PGM_RSRC3_GFX90A:TG_SPLIT: 0
	.section	.text._ZN2at6native12_GLOBAL__N_125multi_tensor_apply_kernelINS1_18TensorListMetadataILi3EEENS1_32PointwiseOpScalar0dTensorFunctorIN3c107complexIdEELi3ELi2ELi0EEEJSt10multipliesIS8_ES8_EEEvT_T0_DpT1_,"axG",@progbits,_ZN2at6native12_GLOBAL__N_125multi_tensor_apply_kernelINS1_18TensorListMetadataILi3EEENS1_32PointwiseOpScalar0dTensorFunctorIN3c107complexIdEELi3ELi2ELi0EEEJSt10multipliesIS8_ES8_EEEvT_T0_DpT1_,comdat
	.globl	_ZN2at6native12_GLOBAL__N_125multi_tensor_apply_kernelINS1_18TensorListMetadataILi3EEENS1_32PointwiseOpScalar0dTensorFunctorIN3c107complexIdEELi3ELi2ELi0EEEJSt10multipliesIS8_ES8_EEEvT_T0_DpT1_ ; -- Begin function _ZN2at6native12_GLOBAL__N_125multi_tensor_apply_kernelINS1_18TensorListMetadataILi3EEENS1_32PointwiseOpScalar0dTensorFunctorIN3c107complexIdEELi3ELi2ELi0EEEJSt10multipliesIS8_ES8_EEEvT_T0_DpT1_
	.p2align	8
	.type	_ZN2at6native12_GLOBAL__N_125multi_tensor_apply_kernelINS1_18TensorListMetadataILi3EEENS1_32PointwiseOpScalar0dTensorFunctorIN3c107complexIdEELi3ELi2ELi0EEEJSt10multipliesIS8_ES8_EEEvT_T0_DpT1_,@function
_ZN2at6native12_GLOBAL__N_125multi_tensor_apply_kernelINS1_18TensorListMetadataILi3EEENS1_32PointwiseOpScalar0dTensorFunctorIN3c107complexIdEELi3ELi2ELi0EEEJSt10multipliesIS8_ES8_EEEvT_T0_DpT1_: ; @_ZN2at6native12_GLOBAL__N_125multi_tensor_apply_kernelINS1_18TensorListMetadataILi3EEENS1_32PointwiseOpScalar0dTensorFunctorIN3c107complexIdEELi3ELi2ELi0EEEJSt10multipliesIS8_ES8_EEEvT_T0_DpT1_
; %bb.0:
	v_mov_b32_e32 v1, s6
	global_load_ubyte v1, v1, s[4:5] offset:1536
	s_add_u32 s0, s4, s6
	s_mul_hi_u32 s1, s6, 3
	s_mul_i32 s6, s6, 3
	s_addc_u32 s2, s5, 0
	s_add_u32 s0, s0, s6
	s_addc_u32 s1, s2, s1
	s_load_dword s2, s[0:1], 0x740
	s_load_dwordx4 s[8:11], s[4:5], 0xc50
	s_mov_b32 s1, 0
	s_mov_b32 s7, s1
	s_waitcnt lgkmcnt(0)
	s_ashr_i32 s3, s2, 31
	s_lshl_b64 s[16:17], s[2:3], 20
	s_waitcnt vmcnt(0)
	v_readfirstlane_b32 s0, v1
	s_lshl_b32 s0, s0, 3
	s_load_dwordx2 s[24:25], s[4:5], s0 offset:0x0
	s_load_dwordx2 s[18:19], s[4:5], s0 offset:0x180
	;; [unrolled: 1-line block ×4, first 2 shown]
	s_waitcnt lgkmcnt(0)
	s_add_u32 s30, s24, s16
	s_addc_u32 s31, s25, s17
	s_add_u32 s0, s18, s16
	s_add_u32 s33, s22, s16
	s_addc_u32 s34, s23, s17
	s_or_b32 s6, s33, s0
	s_lshl_b64 s[2:3], s[2:3], 16
	s_and_b32 s0, s30, 63
	s_and_b32 s6, s6, 63
	s_cmp_lg_u32 s6, 0
	s_load_dwordx4 s[12:15], s[18:19], 0x0
	s_cselect_b64 s[26:27], -1, 0
	s_sub_u32 s18, s20, s2
	s_subb_u32 s19, s21, s3
	s_and_b32 s6, s20, 3
	s_or_b64 s[2:3], s[0:1], s[6:7]
	s_cmp_lg_u64 s[2:3], 0
	s_cselect_b64 s[2:3], -1, 0
	s_or_b64 s[2:3], s[26:27], s[2:3]
	s_andn2_b64 vcc, exec, s[2:3]
	s_mov_b64 s[2:3], -1
	s_cbranch_vccz .LBB40_5
; %bb.1:
	v_mov_b32_e32 v3, 0
	v_lshlrev_b32_e32 v2, 2, v0
	v_cmp_gt_i64_e32 vcc, s[18:19], v[2:3]
	s_and_saveexec_b64 s[20:21], vcc
	s_cbranch_execz .LBB40_4
; %bb.2:
	s_load_dword s0, s[4:5], 0xc6c
	v_cmp_eq_f64_e64 s[2:3], s[8:9], 1.0
	v_cmp_eq_f64_e64 s[6:7], s[10:11], 0
	s_mov_b64 s[26:27], 0
	s_and_b64 vcc, s[2:3], s[6:7]
	s_waitcnt lgkmcnt(0)
	s_and_b32 s0, s0, 0xffff
	v_add_lshl_u32 v2, v0, s0, 2
	s_lshl_b32 s35, s0, 2
	v_lshlrev_b32_e32 v4, 6, v0
	s_lshl_b32 s36, s0, 6
	s_mov_b64 s[28:29], 0xffff
	v_mov_b32_e32 v1, s1
.LBB40_3:                               ; =>This Inner Loop Header: Depth=1
	v_mov_b32_e32 v6, s34
	v_add_co_u32_e64 v38, s[0:1], s33, v4
	v_mov_b32_e32 v5, s31
	v_add_co_u32_e64 v40, s[2:3], s30, v4
	v_addc_co_u32_e64 v39, s[0:1], 0, v6, s[0:1]
	v_addc_co_u32_e64 v41, s[2:3], 0, v5, s[2:3]
	global_load_dwordx4 v[6:9], v[38:39], off
	global_load_dwordx4 v[10:13], v[38:39], off offset:16
	global_load_dwordx4 v[14:17], v[38:39], off offset:32
	;; [unrolled: 1-line block ×3, first 2 shown]
	global_load_dwordx4 v[22:25], v[40:41], off
	global_load_dwordx4 v[26:29], v[40:41], off offset:16
	global_load_dwordx4 v[30:33], v[40:41], off offset:32
	;; [unrolled: 1-line block ×3, first 2 shown]
	v_cmp_le_i64_e64 s[0:1], s[18:19], v[2:3]
	v_cmp_lt_u64_e64 s[2:3], s[28:29], v[2:3]
	s_or_b64 s[0:1], s[0:1], s[2:3]
	s_add_u32 s30, s30, s36
	s_addc_u32 s31, s31, 0
	s_add_u32 s33, s33, s36
	s_addc_u32 s34, s34, 0
	v_add_co_u32_e64 v2, s[6:7], s35, v2
	s_and_b64 s[0:1], exec, s[0:1]
	v_addc_co_u32_e64 v3, s[6:7], v3, v1, s[6:7]
	s_or_b64 s[26:27], s[0:1], s[26:27]
	s_waitcnt vmcnt(7)
	v_mul_f64 v[38:39], s[14:15], v[8:9]
	v_mul_f64 v[8:9], s[12:13], v[8:9]
	s_waitcnt vmcnt(6)
	v_mul_f64 v[42:43], s[14:15], v[12:13]
	v_mul_f64 v[12:13], s[12:13], v[12:13]
	;; [unrolled: 3-line block ×4, first 2 shown]
	v_fma_f64 v[38:39], s[12:13], v[6:7], -v[38:39]
	v_fmac_f64_e32 v[8:9], s[14:15], v[6:7]
	v_fma_f64 v[6:7], s[12:13], v[10:11], -v[42:43]
	v_fmac_f64_e32 v[12:13], s[14:15], v[10:11]
	v_fma_f64 v[10:11], s[12:13], v[14:15], -v[44:45]
	v_fmac_f64_e32 v[16:17], s[14:15], v[14:15]
	v_fma_f64 v[14:15], s[12:13], v[18:19], -v[46:47]
	v_fmac_f64_e32 v[20:21], s[14:15], v[18:19]
	v_mul_f64 v[18:19], s[10:11], v[8:9]
	v_mul_f64 v[42:43], s[10:11], v[38:39]
	v_mul_f64 v[44:45], s[10:11], v[12:13]
	v_mul_f64 v[46:47], s[10:11], v[6:7]
	v_mul_f64 v[48:49], s[10:11], v[16:17]
	v_mul_f64 v[50:51], s[10:11], v[10:11]
	v_mul_f64 v[52:53], s[10:11], v[20:21]
	v_mul_f64 v[54:55], s[10:11], v[14:15]
	v_fma_f64 v[18:19], s[8:9], v[38:39], -v[18:19]
	v_fmac_f64_e32 v[42:43], s[8:9], v[8:9]
	v_fma_f64 v[44:45], s[8:9], v[6:7], -v[44:45]
	v_fmac_f64_e32 v[46:47], s[8:9], v[12:13]
	v_fma_f64 v[48:49], s[8:9], v[10:11], -v[48:49]
	v_fmac_f64_e32 v[50:51], s[8:9], v[16:17]
	v_fma_f64 v[52:53], s[8:9], v[14:15], -v[52:53]
	v_fmac_f64_e32 v[54:55], s[8:9], v[20:21]
	v_cndmask_b32_e32 v19, v19, v39, vcc
	v_cndmask_b32_e32 v18, v18, v38, vcc
	;; [unrolled: 1-line block ×16, first 2 shown]
	s_waitcnt vmcnt(3)
	v_add_f64 v[8:9], v[24:25], v[8:9]
	v_add_f64 v[6:7], v[22:23], v[18:19]
	s_waitcnt vmcnt(2)
	v_add_f64 v[12:13], v[28:29], v[12:13]
	v_add_f64 v[10:11], v[26:27], v[38:39]
	;; [unrolled: 3-line block ×4, first 2 shown]
	global_store_dwordx4 v[40:41], v[6:9], off
	global_store_dwordx4 v[40:41], v[10:13], off offset:16
	global_store_dwordx4 v[40:41], v[14:17], off offset:32
	;; [unrolled: 1-line block ×3, first 2 shown]
	s_andn2_b64 exec, exec, s[26:27]
	s_cbranch_execnz .LBB40_3
.LBB40_4:
	s_or_b64 exec, exec, s[20:21]
	s_mov_b64 s[2:3], 0
.LBB40_5:
	s_andn2_b64 vcc, exec, s[2:3]
	s_cbranch_vccnz .LBB40_25
; %bb.6:
	v_cmp_lt_i64_e64 s[0:1], s[18:19], 1
	s_and_b64 vcc, exec, s[0:1]
	s_cbranch_vccnz .LBB40_25
; %bb.7:
	s_load_dword s4, s[4:5], 0xc6c
	v_mov_b32_e32 v2, 0x10000
	v_cmp_eq_f64_e64 s[0:1], s[8:9], 1.0
	v_cmp_eq_f64_e64 s[2:3], s[10:11], 0
	v_mov_b32_e32 v3, 0
	v_lshlrev_b32_e32 v4, 4, v0
	s_waitcnt lgkmcnt(0)
	s_and_b32 s27, s4, 0xffff
	s_and_b64 s[0:1], s[0:1], s[2:3]
	v_cmp_lt_u64_e32 vcc, s[18:19], v[2:3]
	v_or_b32_e32 v2, 8, v4
	s_and_b64 s[2:3], vcc, exec
	v_mov_b32_e32 v5, s23
	v_add_co_u32_e32 v34, vcc, s22, v2
	v_addc_co_u32_e32 v35, vcc, 0, v5, vcc
	v_add_lshl_u32 v6, v0, s27, 4
	v_mov_b32_e32 v7, s25
	v_add_co_u32_e32 v36, vcc, s24, v6
	v_addc_co_u32_e32 v37, vcc, 0, v7, vcc
	v_add_co_u32_e32 v38, vcc, s24, v2
	v_mov_b32_e32 v1, 0
	v_addc_co_u32_e32 v39, vcc, 0, v7, vcc
	v_mov_b32_e32 v3, v1
	v_add_co_u32_e32 v40, vcc, s22, v6
	v_addc_co_u32_e32 v41, vcc, 0, v5, vcc
	v_mad_u64_u32 v[2:3], s[2:3], s27, 48, v[2:3]
	v_add_co_u32_e32 v42, vcc, s22, v2
	v_addc_co_u32_e32 v43, vcc, v5, v3, vcc
	v_add_co_u32_e32 v44, vcc, s24, v2
	s_cselect_b32 s7, s19, 0
	s_cselect_b32 s6, s18, 0x10000
	v_addc_co_u32_e32 v45, vcc, v7, v3, vcc
	s_lshl_b32 s2, s27, 5
	v_add_co_u32_e32 v2, vcc, s2, v4
	v_addc_co_u32_e64 v3, s[2:3], 0, 0, vcc
	v_add_co_u32_e32 v46, vcc, s24, v2
	v_addc_co_u32_e32 v47, vcc, v7, v3, vcc
	v_mov_b32_e32 v4, s23
	v_add_co_u32_e32 v2, vcc, s22, v2
	s_mov_b32 s26, 0
	v_addc_co_u32_e32 v3, vcc, v3, v4, vcc
	s_lshl_b32 s20, s27, 2
	s_mov_b32 s21, s26
	v_add_co_u32_e32 v48, vcc, 8, v2
	s_mov_b64 s[4:5], 0x10000
	s_lshl_b32 s28, s27, 1
	s_mov_b32 s29, s26
	s_mul_i32 s30, s27, 3
	s_mov_b32 s31, s26
	s_lshl_b32 s33, s27, 6
	s_mov_b32 s34, s26
	v_addc_co_u32_e32 v49, vcc, 0, v3, vcc
	s_mov_b64 s[22:23], s[20:21]
	s_branch .LBB40_9
.LBB40_8:                               ;   in Loop: Header=BB40_9 Depth=1
	s_or_b64 exec, exec, s[2:3]
	s_waitcnt vmcnt(0)
	v_pk_mov_b32 v[2:3], s[18:19], s[18:19] op_sel:[0,1]
	v_cmp_ge_i64_e32 vcc, s[22:23], v[2:3]
	v_mov_b32_e32 v2, 0xffff
	v_mov_b32_e32 v3, 0
	v_cmp_gt_u64_e64 s[2:3], s[22:23], v[2:3]
	s_or_b64 s[2:3], vcc, s[2:3]
	v_mov_b32_e32 v2, s21
	v_add_co_u32_e32 v0, vcc, s20, v0
	v_addc_co_u32_e32 v1, vcc, v1, v2, vcc
	v_mov_b32_e32 v2, s34
	v_add_co_u32_e32 v34, vcc, s33, v34
	v_addc_co_u32_e32 v35, vcc, v35, v2, vcc
	v_add_co_u32_e32 v36, vcc, s33, v36
	v_addc_co_u32_e32 v37, vcc, v37, v2, vcc
	;; [unrolled: 2-line block ×7, first 2 shown]
	v_add_co_u32_e32 v48, vcc, s33, v48
	s_add_u32 s22, s22, s20
	v_addc_co_u32_e32 v49, vcc, v49, v2, vcc
	s_addc_u32 s23, s23, 0
	s_and_b64 vcc, exec, s[2:3]
	s_cbranch_vccnz .LBB40_25
.LBB40_9:                               ; =>This Inner Loop Header: Depth=1
	v_cmp_gt_i64_e32 vcc, s[18:19], v[0:1]
	v_cmp_gt_u64_e64 s[2:3], s[4:5], v[0:1]
	v_pk_mov_b32 v[4:5], 0, 0
	s_and_b64 s[24:25], vcc, s[2:3]
	v_pk_mov_b32 v[20:21], v[4:5], v[4:5] op_sel:[0,1]
	v_pk_mov_b32 v[18:19], v[4:5], v[4:5] op_sel:[0,1]
	v_pk_mov_b32 v[8:9], v[4:5], v[4:5] op_sel:[0,1]
	v_pk_mov_b32 v[6:7], v[4:5], v[4:5] op_sel:[0,1]
	s_and_saveexec_b64 s[2:3], s[24:25]
	s_cbranch_execz .LBB40_11
; %bb.10:                               ;   in Loop: Header=BB40_9 Depth=1
	v_mov_b32_e32 v6, s17
	v_add_co_u32_e32 v2, vcc, s16, v34
	v_addc_co_u32_e32 v3, vcc, v35, v6, vcc
	v_add_co_u32_e32 v10, vcc, s16, v38
	v_addc_co_u32_e32 v11, vcc, v39, v6, vcc
	global_load_dwordx4 v[6:9], v[10:11], off offset:-8
	global_load_dwordx4 v[18:21], v[2:3], off offset:-8
.LBB40_11:                              ;   in Loop: Header=BB40_9 Depth=1
	s_or_b64 exec, exec, s[2:3]
	v_mov_b32_e32 v2, s26
	v_add_co_u32_e32 v50, vcc, s27, v0
	v_addc_co_u32_e32 v51, vcc, v2, v1, vcc
	v_cmp_gt_i64_e32 vcc, s[18:19], v[50:51]
	v_cmp_gt_u64_e64 s[2:3], s[4:5], v[50:51]
	s_and_b64 s[24:25], vcc, s[2:3]
	v_pk_mov_b32 v[2:3], v[4:5], v[4:5] op_sel:[0,1]
	v_pk_mov_b32 v[12:13], v[4:5], v[4:5] op_sel:[0,1]
	;; [unrolled: 1-line block ×3, first 2 shown]
	s_and_saveexec_b64 s[2:3], s[24:25]
	s_cbranch_execz .LBB40_13
; %bb.12:                               ;   in Loop: Header=BB40_9 Depth=1
	v_mov_b32_e32 v2, s17
	v_add_co_u32_e32 v14, vcc, s16, v40
	v_addc_co_u32_e32 v15, vcc, v41, v2, vcc
	v_add_co_u32_e32 v16, vcc, s16, v36
	v_addc_co_u32_e32 v17, vcc, v37, v2, vcc
	global_load_dwordx4 v[10:13], v[16:17], off
	global_load_dwordx4 v[2:5], v[14:15], off
.LBB40_13:                              ;   in Loop: Header=BB40_9 Depth=1
	s_or_b64 exec, exec, s[2:3]
	v_mov_b32_e32 v14, s29
	v_add_co_u32_e32 v52, vcc, s28, v0
	v_addc_co_u32_e32 v53, vcc, v14, v1, vcc
	v_cmp_gt_i64_e32 vcc, s[18:19], v[52:53]
	v_cmp_gt_u64_e64 s[2:3], s[4:5], v[52:53]
	v_pk_mov_b32 v[16:17], 0, 0
	s_and_b64 s[24:25], vcc, s[2:3]
	v_pk_mov_b32 v[32:33], v[16:17], v[16:17] op_sel:[0,1]
	v_pk_mov_b32 v[30:31], v[16:17], v[16:17] op_sel:[0,1]
	v_pk_mov_b32 v[24:25], v[16:17], v[16:17] op_sel:[0,1]
	v_pk_mov_b32 v[22:23], v[16:17], v[16:17] op_sel:[0,1]
	s_and_saveexec_b64 s[2:3], s[24:25]
	s_cbranch_execz .LBB40_15
; %bb.14:                               ;   in Loop: Header=BB40_9 Depth=1
	v_mov_b32_e32 v22, s17
	v_add_co_u32_e32 v14, vcc, s16, v48
	v_addc_co_u32_e32 v15, vcc, v49, v22, vcc
	v_add_co_u32_e32 v26, vcc, s16, v46
	v_addc_co_u32_e32 v27, vcc, v47, v22, vcc
	global_load_dwordx4 v[22:25], v[26:27], off
	global_load_dwordx4 v[30:33], v[14:15], off offset:-8
.LBB40_15:                              ;   in Loop: Header=BB40_9 Depth=1
	s_or_b64 exec, exec, s[2:3]
	v_mov_b32_e32 v14, s31
	v_add_co_u32_e32 v54, vcc, s30, v0
	v_addc_co_u32_e32 v55, vcc, v14, v1, vcc
	v_cmp_gt_i64_e32 vcc, s[18:19], v[54:55]
	v_cmp_gt_u64_e64 s[2:3], s[4:5], v[54:55]
	s_and_b64 s[24:25], vcc, s[2:3]
	v_pk_mov_b32 v[14:15], v[16:17], v[16:17] op_sel:[0,1]
	v_pk_mov_b32 v[28:29], v[16:17], v[16:17] op_sel:[0,1]
	;; [unrolled: 1-line block ×3, first 2 shown]
	s_and_saveexec_b64 s[2:3], s[24:25]
	s_cbranch_execnz .LBB40_20
; %bb.16:                               ;   in Loop: Header=BB40_9 Depth=1
	s_or_b64 exec, exec, s[2:3]
	v_cmp_gt_u64_e32 vcc, s[6:7], v[0:1]
	s_and_saveexec_b64 s[2:3], vcc
	s_cbranch_execnz .LBB40_21
.LBB40_17:                              ;   in Loop: Header=BB40_9 Depth=1
	s_or_b64 exec, exec, s[2:3]
	v_cmp_gt_u64_e32 vcc, s[6:7], v[50:51]
	s_and_saveexec_b64 s[2:3], vcc
	s_cbranch_execnz .LBB40_22
.LBB40_18:                              ;   in Loop: Header=BB40_9 Depth=1
	s_or_b64 exec, exec, s[2:3]
	v_cmp_gt_u64_e32 vcc, s[6:7], v[52:53]
	s_and_saveexec_b64 s[2:3], vcc
	s_cbranch_execnz .LBB40_23
.LBB40_19:                              ;   in Loop: Header=BB40_9 Depth=1
	s_or_b64 exec, exec, s[2:3]
	v_cmp_gt_u64_e32 vcc, s[6:7], v[54:55]
	s_and_saveexec_b64 s[2:3], vcc
	s_cbranch_execz .LBB40_8
	s_branch .LBB40_24
.LBB40_20:                              ;   in Loop: Header=BB40_9 Depth=1
	v_mov_b32_e32 v14, s17
	v_add_co_u32_e32 v56, vcc, s16, v42
	v_addc_co_u32_e32 v57, vcc, v43, v14, vcc
	v_add_co_u32_e32 v58, vcc, s16, v44
	v_addc_co_u32_e32 v59, vcc, v45, v14, vcc
	global_load_dwordx4 v[26:29], v[58:59], off offset:-8
	global_load_dwordx4 v[14:17], v[56:57], off offset:-8
	s_or_b64 exec, exec, s[2:3]
	v_cmp_gt_u64_e32 vcc, s[6:7], v[0:1]
	s_and_saveexec_b64 s[2:3], vcc
	s_cbranch_execz .LBB40_17
.LBB40_21:                              ;   in Loop: Header=BB40_9 Depth=1
	s_waitcnt vmcnt(0)
	v_mul_f64 v[56:57], s[14:15], v[20:21]
	v_fma_f64 v[56:57], s[12:13], v[18:19], -v[56:57]
	v_mul_f64 v[18:19], s[14:15], v[18:19]
	v_fmac_f64_e32 v[18:19], s[12:13], v[20:21]
	v_mul_f64 v[20:21], s[10:11], v[18:19]
	v_fma_f64 v[20:21], s[8:9], v[56:57], -v[20:21]
	v_cndmask_b32_e64 v21, v21, v57, s[0:1]
	v_cndmask_b32_e64 v20, v20, v56, s[0:1]
	v_add_f64 v[6:7], v[6:7], v[20:21]
	v_mul_f64 v[20:21], s[10:11], v[56:57]
	v_fmac_f64_e32 v[20:21], s[8:9], v[18:19]
	v_cndmask_b32_e64 v19, v21, v19, s[0:1]
	v_cndmask_b32_e64 v18, v20, v18, s[0:1]
	v_add_f64 v[8:9], v[8:9], v[18:19]
	v_mov_b32_e32 v19, s17
	v_add_co_u32_e32 v18, vcc, s16, v38
	v_addc_co_u32_e32 v19, vcc, v39, v19, vcc
	global_store_dwordx4 v[18:19], v[6:9], off offset:-8
	s_or_b64 exec, exec, s[2:3]
	v_cmp_gt_u64_e32 vcc, s[6:7], v[50:51]
	s_and_saveexec_b64 s[2:3], vcc
	s_cbranch_execz .LBB40_18
.LBB40_22:                              ;   in Loop: Header=BB40_9 Depth=1
	s_waitcnt vmcnt(0)
	v_mul_f64 v[6:7], s[14:15], v[4:5]
	v_fma_f64 v[6:7], s[12:13], v[2:3], -v[6:7]
	v_mul_f64 v[2:3], s[14:15], v[2:3]
	v_fmac_f64_e32 v[2:3], s[12:13], v[4:5]
	v_mul_f64 v[4:5], s[10:11], v[2:3]
	v_mul_f64 v[8:9], s[10:11], v[6:7]
	v_fma_f64 v[4:5], s[8:9], v[6:7], -v[4:5]
	v_fmac_f64_e32 v[8:9], s[8:9], v[2:3]
	v_cndmask_b32_e64 v7, v5, v7, s[0:1]
	v_cndmask_b32_e64 v6, v4, v6, s[0:1]
	;; [unrolled: 1-line block ×4, first 2 shown]
	v_add_f64 v[4:5], v[12:13], v[2:3]
	v_add_f64 v[2:3], v[10:11], v[6:7]
	v_mov_b32_e32 v7, s17
	v_add_co_u32_e32 v6, vcc, s16, v36
	v_addc_co_u32_e32 v7, vcc, v37, v7, vcc
	global_store_dwordx4 v[6:7], v[2:5], off
	s_or_b64 exec, exec, s[2:3]
	v_cmp_gt_u64_e32 vcc, s[6:7], v[52:53]
	s_and_saveexec_b64 s[2:3], vcc
	s_cbranch_execz .LBB40_19
.LBB40_23:                              ;   in Loop: Header=BB40_9 Depth=1
	s_waitcnt vmcnt(0)
	v_mul_f64 v[2:3], s[14:15], v[32:33]
	v_mul_f64 v[4:5], s[14:15], v[30:31]
	v_fma_f64 v[2:3], s[12:13], v[30:31], -v[2:3]
	v_fmac_f64_e32 v[4:5], s[12:13], v[32:33]
	v_mul_f64 v[6:7], s[10:11], v[4:5]
	v_mul_f64 v[8:9], s[10:11], v[2:3]
	v_fma_f64 v[6:7], s[8:9], v[2:3], -v[6:7]
	v_fmac_f64_e32 v[8:9], s[8:9], v[4:5]
	v_cndmask_b32_e64 v3, v7, v3, s[0:1]
	v_cndmask_b32_e64 v2, v6, v2, s[0:1]
	;; [unrolled: 1-line block ×4, first 2 shown]
	v_mov_b32_e32 v7, s17
	v_add_co_u32_e32 v6, vcc, s16, v46
	v_add_f64 v[4:5], v[24:25], v[4:5]
	v_add_f64 v[2:3], v[22:23], v[2:3]
	v_addc_co_u32_e32 v7, vcc, v47, v7, vcc
	global_store_dwordx4 v[6:7], v[2:5], off
	s_or_b64 exec, exec, s[2:3]
	v_cmp_gt_u64_e32 vcc, s[6:7], v[54:55]
	s_and_saveexec_b64 s[2:3], vcc
	s_cbranch_execz .LBB40_8
.LBB40_24:                              ;   in Loop: Header=BB40_9 Depth=1
	s_waitcnt vmcnt(0)
	v_mul_f64 v[2:3], s[14:15], v[16:17]
	v_mul_f64 v[4:5], s[14:15], v[14:15]
	v_fma_f64 v[2:3], s[12:13], v[14:15], -v[2:3]
	v_fmac_f64_e32 v[4:5], s[12:13], v[16:17]
	v_mul_f64 v[6:7], s[10:11], v[4:5]
	v_mul_f64 v[8:9], s[10:11], v[2:3]
	v_fma_f64 v[6:7], s[8:9], v[2:3], -v[6:7]
	v_fmac_f64_e32 v[8:9], s[8:9], v[4:5]
	v_cndmask_b32_e64 v3, v7, v3, s[0:1]
	v_cndmask_b32_e64 v2, v6, v2, s[0:1]
	v_cndmask_b32_e64 v5, v9, v5, s[0:1]
	v_cndmask_b32_e64 v4, v8, v4, s[0:1]
	v_mov_b32_e32 v7, s17
	v_add_co_u32_e32 v6, vcc, s16, v44
	v_add_f64 v[4:5], v[28:29], v[4:5]
	v_add_f64 v[2:3], v[26:27], v[2:3]
	v_addc_co_u32_e32 v7, vcc, v45, v7, vcc
	global_store_dwordx4 v[6:7], v[2:5], off offset:-8
	s_branch .LBB40_8
.LBB40_25:
	s_endpgm
	.section	.rodata,"a",@progbits
	.p2align	6, 0x0
	.amdhsa_kernel _ZN2at6native12_GLOBAL__N_125multi_tensor_apply_kernelINS1_18TensorListMetadataILi3EEENS1_32PointwiseOpScalar0dTensorFunctorIN3c107complexIdEELi3ELi2ELi0EEEJSt10multipliesIS8_ES8_EEEvT_T0_DpT1_
		.amdhsa_group_segment_fixed_size 0
		.amdhsa_private_segment_fixed_size 0
		.amdhsa_kernarg_size 3424
		.amdhsa_user_sgpr_count 6
		.amdhsa_user_sgpr_private_segment_buffer 1
		.amdhsa_user_sgpr_dispatch_ptr 0
		.amdhsa_user_sgpr_queue_ptr 0
		.amdhsa_user_sgpr_kernarg_segment_ptr 1
		.amdhsa_user_sgpr_dispatch_id 0
		.amdhsa_user_sgpr_flat_scratch_init 0
		.amdhsa_user_sgpr_kernarg_preload_length 0
		.amdhsa_user_sgpr_kernarg_preload_offset 0
		.amdhsa_user_sgpr_private_segment_size 0
		.amdhsa_uses_dynamic_stack 0
		.amdhsa_system_sgpr_private_segment_wavefront_offset 0
		.amdhsa_system_sgpr_workgroup_id_x 1
		.amdhsa_system_sgpr_workgroup_id_y 0
		.amdhsa_system_sgpr_workgroup_id_z 0
		.amdhsa_system_sgpr_workgroup_info 0
		.amdhsa_system_vgpr_workitem_id 0
		.amdhsa_next_free_vgpr 60
		.amdhsa_next_free_sgpr 37
		.amdhsa_accum_offset 60
		.amdhsa_reserve_vcc 1
		.amdhsa_reserve_flat_scratch 0
		.amdhsa_float_round_mode_32 0
		.amdhsa_float_round_mode_16_64 0
		.amdhsa_float_denorm_mode_32 3
		.amdhsa_float_denorm_mode_16_64 3
		.amdhsa_dx10_clamp 1
		.amdhsa_ieee_mode 1
		.amdhsa_fp16_overflow 0
		.amdhsa_tg_split 0
		.amdhsa_exception_fp_ieee_invalid_op 0
		.amdhsa_exception_fp_denorm_src 0
		.amdhsa_exception_fp_ieee_div_zero 0
		.amdhsa_exception_fp_ieee_overflow 0
		.amdhsa_exception_fp_ieee_underflow 0
		.amdhsa_exception_fp_ieee_inexact 0
		.amdhsa_exception_int_div_zero 0
	.end_amdhsa_kernel
	.section	.text._ZN2at6native12_GLOBAL__N_125multi_tensor_apply_kernelINS1_18TensorListMetadataILi3EEENS1_32PointwiseOpScalar0dTensorFunctorIN3c107complexIdEELi3ELi2ELi0EEEJSt10multipliesIS8_ES8_EEEvT_T0_DpT1_,"axG",@progbits,_ZN2at6native12_GLOBAL__N_125multi_tensor_apply_kernelINS1_18TensorListMetadataILi3EEENS1_32PointwiseOpScalar0dTensorFunctorIN3c107complexIdEELi3ELi2ELi0EEEJSt10multipliesIS8_ES8_EEEvT_T0_DpT1_,comdat
.Lfunc_end40:
	.size	_ZN2at6native12_GLOBAL__N_125multi_tensor_apply_kernelINS1_18TensorListMetadataILi3EEENS1_32PointwiseOpScalar0dTensorFunctorIN3c107complexIdEELi3ELi2ELi0EEEJSt10multipliesIS8_ES8_EEEvT_T0_DpT1_, .Lfunc_end40-_ZN2at6native12_GLOBAL__N_125multi_tensor_apply_kernelINS1_18TensorListMetadataILi3EEENS1_32PointwiseOpScalar0dTensorFunctorIN3c107complexIdEELi3ELi2ELi0EEEJSt10multipliesIS8_ES8_EEEvT_T0_DpT1_
                                        ; -- End function
	.section	.AMDGPU.csdata,"",@progbits
; Kernel info:
; codeLenInByte = 2392
; NumSgprs: 41
; NumVgprs: 60
; NumAgprs: 0
; TotalNumVgprs: 60
; ScratchSize: 0
; MemoryBound: 1
; FloatMode: 240
; IeeeMode: 1
; LDSByteSize: 0 bytes/workgroup (compile time only)
; SGPRBlocks: 5
; VGPRBlocks: 7
; NumSGPRsForWavesPerEU: 41
; NumVGPRsForWavesPerEU: 60
; AccumOffset: 60
; Occupancy: 8
; WaveLimiterHint : 0
; COMPUTE_PGM_RSRC2:SCRATCH_EN: 0
; COMPUTE_PGM_RSRC2:USER_SGPR: 6
; COMPUTE_PGM_RSRC2:TRAP_HANDLER: 0
; COMPUTE_PGM_RSRC2:TGID_X_EN: 1
; COMPUTE_PGM_RSRC2:TGID_Y_EN: 0
; COMPUTE_PGM_RSRC2:TGID_Z_EN: 0
; COMPUTE_PGM_RSRC2:TIDIG_COMP_CNT: 0
; COMPUTE_PGM_RSRC3_GFX90A:ACCUM_OFFSET: 14
; COMPUTE_PGM_RSRC3_GFX90A:TG_SPLIT: 0
	.section	.text._ZN2at6native12_GLOBAL__N_125multi_tensor_apply_kernelINS1_18TensorListMetadataILi3EEENS1_32PointwiseOpScalar0dTensorFunctorIN3c107complexIfEELi3ELi2ELi0EEEJSt10multipliesIS8_ES8_EEEvT_T0_DpT1_,"axG",@progbits,_ZN2at6native12_GLOBAL__N_125multi_tensor_apply_kernelINS1_18TensorListMetadataILi3EEENS1_32PointwiseOpScalar0dTensorFunctorIN3c107complexIfEELi3ELi2ELi0EEEJSt10multipliesIS8_ES8_EEEvT_T0_DpT1_,comdat
	.globl	_ZN2at6native12_GLOBAL__N_125multi_tensor_apply_kernelINS1_18TensorListMetadataILi3EEENS1_32PointwiseOpScalar0dTensorFunctorIN3c107complexIfEELi3ELi2ELi0EEEJSt10multipliesIS8_ES8_EEEvT_T0_DpT1_ ; -- Begin function _ZN2at6native12_GLOBAL__N_125multi_tensor_apply_kernelINS1_18TensorListMetadataILi3EEENS1_32PointwiseOpScalar0dTensorFunctorIN3c107complexIfEELi3ELi2ELi0EEEJSt10multipliesIS8_ES8_EEEvT_T0_DpT1_
	.p2align	8
	.type	_ZN2at6native12_GLOBAL__N_125multi_tensor_apply_kernelINS1_18TensorListMetadataILi3EEENS1_32PointwiseOpScalar0dTensorFunctorIN3c107complexIfEELi3ELi2ELi0EEEJSt10multipliesIS8_ES8_EEEvT_T0_DpT1_,@function
_ZN2at6native12_GLOBAL__N_125multi_tensor_apply_kernelINS1_18TensorListMetadataILi3EEENS1_32PointwiseOpScalar0dTensorFunctorIN3c107complexIfEELi3ELi2ELi0EEEJSt10multipliesIS8_ES8_EEEvT_T0_DpT1_: ; @_ZN2at6native12_GLOBAL__N_125multi_tensor_apply_kernelINS1_18TensorListMetadataILi3EEENS1_32PointwiseOpScalar0dTensorFunctorIN3c107complexIfEELi3ELi2ELi0EEEJSt10multipliesIS8_ES8_EEEvT_T0_DpT1_
; %bb.0:
	v_mov_b32_e32 v1, s6
	global_load_ubyte v1, v1, s[4:5] offset:1536
	s_add_u32 s0, s4, s6
	s_mul_hi_u32 s1, s6, 3
	s_mul_i32 s6, s6, 3
	s_addc_u32 s2, s5, 0
	s_add_u32 s0, s0, s6
	s_addc_u32 s1, s2, s1
	s_load_dword s2, s[0:1], 0x740
	s_load_dwordx2 s[8:9], s[4:5], 0xc50
	s_mov_b32 s1, 0
	s_mov_b32 s7, s1
	s_waitcnt lgkmcnt(0)
	s_ashr_i32 s3, s2, 31
	s_lshl_b64 s[10:11], s[2:3], 19
	s_waitcnt vmcnt(0)
	v_readfirstlane_b32 s0, v1
	s_lshl_b32 s0, s0, 3
	s_load_dwordx2 s[18:19], s[4:5], s0 offset:0x0
	s_load_dwordx2 s[14:15], s[4:5], s0 offset:0x180
	;; [unrolled: 1-line block ×4, first 2 shown]
	s_waitcnt lgkmcnt(0)
	s_add_u32 s33, s18, s10
	s_addc_u32 s40, s19, s11
	s_add_u32 s0, s14, s10
	s_add_u32 s41, s20, s10
	s_addc_u32 s42, s21, s11
	s_or_b32 s6, s41, s0
	s_lshl_b64 s[2:3], s[2:3], 16
	s_and_b32 s0, s33, 31
	s_and_b32 s6, s6, 31
	s_cmp_lg_u32 s6, 0
	s_load_dwordx2 s[12:13], s[14:15], 0x0
	s_cselect_b64 s[22:23], -1, 0
	s_sub_u32 s14, s16, s2
	s_subb_u32 s15, s17, s3
	s_and_b32 s6, s16, 3
	s_or_b64 s[2:3], s[0:1], s[6:7]
	s_cmp_lg_u64 s[2:3], 0
	s_cselect_b64 s[2:3], -1, 0
	s_or_b64 s[2:3], s[22:23], s[2:3]
	s_andn2_b64 vcc, exec, s[2:3]
	s_mov_b64 s[2:3], -1
	s_cbranch_vccz .LBB41_5
; %bb.1:
	v_mov_b32_e32 v3, 0
	v_lshlrev_b32_e32 v2, 2, v0
	v_cmp_gt_i64_e32 vcc, s[14:15], v[2:3]
	s_and_saveexec_b64 s[16:17], vcc
	s_cbranch_execz .LBB41_4
; %bb.2:
	s_and_b32 s0, s9, 0x7fffffff
	s_cmp_eq_u32 s0, 0
	s_load_dword s0, s[4:5], 0xc64
	v_cmp_eq_f32_e64 s[2:3], s8, 1.0
	s_cselect_b64 s[6:7], -1, 0
	s_mov_b32 s22, s8
	s_mov_b32 s23, s9
	s_waitcnt lgkmcnt(0)
	s_and_b32 s0, s0, 0xffff
	s_and_b64 vcc, s[2:3], s[6:7]
	s_mov_b32 s24, s12
	s_mov_b32 s25, s12
	;; [unrolled: 1-line block ×10, first 2 shown]
	v_lshlrev_b32_e32 v4, 5, v0
	s_lshl_b32 s43, s0, 5
	v_add_lshl_u32 v2, v0, s0, 2
	s_lshl_b32 s44, s0, 2
	s_mov_b64 s[36:37], 0
	s_mov_b64 s[38:39], 0xffff
	v_mov_b32_e32 v1, s1
.LBB41_3:                               ; =>This Inner Loop Header: Depth=1
	v_mov_b32_e32 v6, s42
	v_add_co_u32_e64 v22, s[0:1], s41, v4
	v_mov_b32_e32 v5, s40
	v_add_co_u32_e64 v24, s[2:3], s33, v4
	v_addc_co_u32_e64 v23, s[0:1], 0, v6, s[0:1]
	v_addc_co_u32_e64 v25, s[2:3], 0, v5, s[2:3]
	global_load_dwordx4 v[6:9], v[22:23], off offset:16
	global_load_dwordx4 v[10:13], v[22:23], off
	global_load_dwordx4 v[14:17], v[24:25], off offset:16
	global_load_dwordx4 v[18:21], v[24:25], off
	v_cmp_le_i64_e64 s[0:1], s[14:15], v[2:3]
	v_cmp_lt_u64_e64 s[2:3], s[38:39], v[2:3]
	s_or_b64 s[0:1], s[0:1], s[2:3]
	s_add_u32 s33, s33, s43
	s_addc_u32 s40, s40, 0
	s_add_u32 s41, s41, s43
	s_addc_u32 s42, s42, 0
	v_add_co_u32_e64 v2, s[6:7], s44, v2
	s_and_b64 s[0:1], exec, s[0:1]
	v_addc_co_u32_e64 v3, s[6:7], v3, v1, s[6:7]
	s_or_b64 s[36:37], s[0:1], s[36:37]
	s_waitcnt vmcnt(3)
	v_mul_f32_e32 v5, s13, v7
	v_mul_f32_e32 v30, s12, v7
	;; [unrolled: 1-line block ×4, first 2 shown]
	s_waitcnt vmcnt(2)
	v_mov_b32_e32 v22, v13
	v_mov_b32_e32 v23, v12
	v_pk_mul_f32 v[26:27], v[10:11], s[26:27] op_sel:[1,0]
	v_fma_f32 v5, v6, s12, -v5
	v_fmac_f32_e32 v30, s13, v6
	v_fma_f32 v32, v8, s12, -v7
	v_fmac_f32_e32 v31, s13, v8
	v_pk_mul_f32 v[6:7], v[22:23], s[28:29]
	v_pk_fma_f32 v[8:9], v[10:11], s[12:13], v[26:27] neg_lo:[0,0,1] neg_hi:[0,0,1]
	v_pk_fma_f32 v[10:11], v[10:11], s[12:13], v[26:27] op_sel_hi:[0,1,1]
	v_mul_f32_e32 v26, s9, v30
	v_mul_f32_e32 v33, s9, v5
	;; [unrolled: 1-line block ×4, first 2 shown]
	v_pk_fma_f32 v[22:23], v[12:13], s[24:25], v[6:7] neg_lo:[0,0,1] neg_hi:[0,0,1]
	v_pk_fma_f32 v[12:13], v[12:13], s[24:25], v[6:7]
	v_pk_mul_f32 v[6:7], v[10:11], s[30:31] op_sel:[1,0]
	v_fma_f32 v10, v5, s8, -v26
	v_fmac_f32_e32 v33, s8, v30
	v_fma_f32 v35, v32, s8, -v27
	v_fmac_f32_e32 v34, s8, v31
	v_pk_mul_f32 v[26:27], v[12:13], s[34:35] op_sel:[1,0]
	v_pk_fma_f32 v[28:29], v[8:9], s[8:9], v[6:7] op_sel_hi:[0,1,1] neg_lo:[0,0,1] neg_hi:[0,0,1]
	v_pk_fma_f32 v[6:7], v[8:9], s[8:9], v[6:7] op_sel_hi:[0,1,1]
	v_cndmask_b32_e32 v5, v10, v5, vcc
	v_cndmask_b32_e32 v9, v33, v30, vcc
	;; [unrolled: 1-line block ×4, first 2 shown]
	v_pk_fma_f32 v[30:31], v[22:23], s[22:23], v[26:27] op_sel_hi:[0,1,1] neg_lo:[0,0,1] neg_hi:[0,0,1]
	v_pk_fma_f32 v[26:27], v[22:23], s[22:23], v[26:27] op_sel_hi:[0,1,1]
	v_cndmask_b32_e32 v11, v7, v11, vcc
	v_cndmask_b32_e32 v10, v28, v8, vcc
	s_waitcnt vmcnt(1)
	v_add_f32_e32 v6, v14, v5
	v_add_f32_e32 v7, v15, v9
	;; [unrolled: 1-line block ×4, first 2 shown]
	v_cndmask_b32_e32 v13, v27, v13, vcc
	v_cndmask_b32_e32 v12, v30, v22, vcc
	s_waitcnt vmcnt(0)
	v_pk_add_f32 v[10:11], v[18:19], v[10:11]
	v_pk_add_f32 v[12:13], v[20:21], v[12:13]
	global_store_dwordx4 v[24:25], v[6:9], off offset:16
	global_store_dwordx4 v[24:25], v[10:13], off
	s_andn2_b64 exec, exec, s[36:37]
	s_cbranch_execnz .LBB41_3
.LBB41_4:
	s_or_b64 exec, exec, s[16:17]
	s_mov_b64 s[2:3], 0
.LBB41_5:
	s_andn2_b64 vcc, exec, s[2:3]
	s_cbranch_vccnz .LBB41_25
; %bb.6:
	v_cmp_lt_i64_e64 s[0:1], s[14:15], 1
	s_and_b64 vcc, exec, s[0:1]
	s_cbranch_vccnz .LBB41_25
; %bb.7:
	s_load_dword s2, s[4:5], 0xc64
	s_and_b32 s3, s9, 0x7fffffff
	v_mov_b32_e32 v2, 0x10000
	v_cmp_eq_f32_e64 s[0:1], s8, 1.0
	v_mov_b32_e32 v3, 0
	s_waitcnt lgkmcnt(0)
	s_and_b32 s23, s2, 0xffff
	s_cmp_eq_u32 s3, 0
	s_cselect_b64 s[2:3], -1, 0
	s_and_b64 s[0:1], s[0:1], s[2:3]
	v_cmp_lt_u64_e32 vcc, s[14:15], v[2:3]
	v_lshlrev_b32_e32 v10, 3, v0
	s_and_b64 s[2:3], vcc, exec
	v_mov_b32_e32 v15, s19
	v_add_co_u32_e32 v2, vcc, s18, v10
	v_mov_b32_e32 v1, 0
	v_addc_co_u32_e32 v3, vcc, 0, v15, vcc
	v_mov_b32_e32 v11, v1
	v_mov_b32_e32 v17, s21
	v_add_co_u32_e32 v4, vcc, s20, v10
	v_addc_co_u32_e32 v5, vcc, 0, v17, vcc
	v_mad_u64_u32 v[8:9], s[2:3], s23, 24, v[10:11]
	v_add_co_u32_e32 v6, vcc, s18, v8
	v_addc_co_u32_e32 v7, vcc, v15, v9, vcc
	v_add_co_u32_e32 v8, vcc, s20, v8
	s_cselect_b32 s7, s15, 0
	s_cselect_b32 s6, s14, 0x10000
	v_addc_co_u32_e32 v9, vcc, v17, v9, vcc
	s_lshl_b32 s2, s23, 4
	v_add_co_u32_e32 v12, vcc, s2, v10
	v_addc_co_u32_e64 v13, s[2:3], 0, 0, vcc
	v_add_co_u32_e32 v10, vcc, s18, v12
	v_addc_co_u32_e32 v11, vcc, v15, v13, vcc
	v_add_co_u32_e32 v12, vcc, s20, v12
	v_addc_co_u32_e32 v13, vcc, v17, v13, vcc
	v_add_lshl_u32 v16, v0, s23, 3
	v_add_co_u32_e32 v14, vcc, s18, v16
	s_mov_b32 s22, 0
	v_addc_co_u32_e32 v15, vcc, 0, v15, vcc
	s_lshl_b32 s16, s23, 2
	s_mov_b32 s17, s22
	v_add_co_u32_e32 v16, vcc, s20, v16
	s_mov_b64 s[4:5], 0x10000
	s_lshl_b32 s24, s23, 1
	s_mov_b32 s25, s22
	s_mul_i32 s26, s23, 3
	s_mov_b32 s27, s22
	s_lshl_b32 s28, s23, 5
	s_mov_b32 s29, s22
	v_addc_co_u32_e32 v17, vcc, 0, v17, vcc
	s_mov_b64 s[18:19], s[16:17]
	s_branch .LBB41_9
.LBB41_8:                               ;   in Loop: Header=BB41_9 Depth=1
	s_or_b64 exec, exec, s[2:3]
	s_waitcnt vmcnt(0)
	v_pk_mov_b32 v[18:19], s[14:15], s[14:15] op_sel:[0,1]
	v_cmp_ge_i64_e32 vcc, s[18:19], v[18:19]
	v_mov_b32_e32 v18, 0xffff
	v_mov_b32_e32 v19, 0
	v_cmp_gt_u64_e64 s[2:3], s[18:19], v[18:19]
	s_or_b64 s[2:3], vcc, s[2:3]
	v_mov_b32_e32 v18, s29
	v_add_co_u32_e32 v2, vcc, s28, v2
	v_addc_co_u32_e32 v3, vcc, v3, v18, vcc
	v_add_co_u32_e32 v4, vcc, s28, v4
	v_addc_co_u32_e32 v5, vcc, v5, v18, vcc
	v_mov_b32_e32 v19, s17
	v_add_co_u32_e32 v0, vcc, s16, v0
	v_addc_co_u32_e32 v1, vcc, v1, v19, vcc
	v_add_co_u32_e32 v6, vcc, s28, v6
	v_addc_co_u32_e32 v7, vcc, v7, v18, vcc
	;; [unrolled: 2-line block ×6, first 2 shown]
	v_add_co_u32_e32 v16, vcc, s28, v16
	s_add_u32 s18, s18, s16
	v_addc_co_u32_e32 v17, vcc, v17, v18, vcc
	s_addc_u32 s19, s19, 0
	s_and_b64 vcc, exec, s[2:3]
	s_cbranch_vccnz .LBB41_25
.LBB41_9:                               ; =>This Inner Loop Header: Depth=1
	v_cmp_gt_i64_e32 vcc, s[14:15], v[0:1]
	v_cmp_gt_u64_e64 s[2:3], s[4:5], v[0:1]
	s_and_b64 s[20:21], vcc, s[2:3]
	v_mov_b32_e32 v22, 0
	v_mov_b32_e32 v23, 0
	;; [unrolled: 1-line block ×4, first 2 shown]
	s_and_saveexec_b64 s[2:3], s[20:21]
	s_cbranch_execz .LBB41_11
; %bb.10:                               ;   in Loop: Header=BB41_9 Depth=1
	v_mov_b32_e32 v20, s11
	v_add_co_u32_e32 v18, vcc, s10, v4
	v_addc_co_u32_e32 v19, vcc, v5, v20, vcc
	v_add_co_u32_e32 v24, vcc, s10, v2
	v_addc_co_u32_e32 v25, vcc, v3, v20, vcc
	global_load_dwordx2 v[20:21], v[24:25], off
	global_load_dwordx2 v[22:23], v[18:19], off
.LBB41_11:                              ;   in Loop: Header=BB41_9 Depth=1
	s_or_b64 exec, exec, s[2:3]
	v_mov_b32_e32 v18, s22
	v_add_co_u32_e32 v24, vcc, s23, v0
	v_addc_co_u32_e32 v25, vcc, v18, v1, vcc
	v_cmp_gt_i64_e32 vcc, s[14:15], v[24:25]
	v_cmp_gt_u64_e64 s[2:3], s[4:5], v[24:25]
	s_and_b64 s[20:21], vcc, s[2:3]
	v_mov_b32_e32 v18, 0
	v_mov_b32_e32 v28, 0
	;; [unrolled: 1-line block ×5, first 2 shown]
	s_and_saveexec_b64 s[2:3], s[20:21]
	s_cbranch_execz .LBB41_13
; %bb.12:                               ;   in Loop: Header=BB41_9 Depth=1
	v_mov_b32_e32 v19, s11
	v_add_co_u32_e32 v30, vcc, s10, v16
	v_addc_co_u32_e32 v31, vcc, v17, v19, vcc
	v_add_co_u32_e32 v32, vcc, s10, v14
	v_addc_co_u32_e32 v33, vcc, v15, v19, vcc
	global_load_dwordx2 v[26:27], v[32:33], off
	global_load_dwordx2 v[28:29], v[30:31], off
.LBB41_13:                              ;   in Loop: Header=BB41_9 Depth=1
	s_or_b64 exec, exec, s[2:3]
	v_mov_b32_e32 v19, s25
	v_add_co_u32_e32 v30, vcc, s24, v0
	v_addc_co_u32_e32 v31, vcc, v19, v1, vcc
	v_cmp_gt_i64_e32 vcc, s[14:15], v[30:31]
	v_cmp_gt_u64_e64 s[2:3], s[4:5], v[30:31]
	s_and_b64 s[20:21], vcc, s[2:3]
	v_mov_b32_e32 v19, 0
	v_mov_b32_e32 v32, 0
	;; [unrolled: 1-line block ×3, first 2 shown]
	s_and_saveexec_b64 s[2:3], s[20:21]
	s_cbranch_execz .LBB41_15
; %bb.14:                               ;   in Loop: Header=BB41_9 Depth=1
	v_mov_b32_e32 v18, s11
	v_add_co_u32_e32 v34, vcc, s10, v12
	v_addc_co_u32_e32 v35, vcc, v13, v18, vcc
	v_add_co_u32_e32 v36, vcc, s10, v10
	v_addc_co_u32_e32 v37, vcc, v11, v18, vcc
	global_load_dwordx2 v[32:33], v[36:37], off
	global_load_dwordx2 v[18:19], v[34:35], off
.LBB41_15:                              ;   in Loop: Header=BB41_9 Depth=1
	s_or_b64 exec, exec, s[2:3]
	v_mov_b32_e32 v35, s27
	v_add_co_u32_e32 v34, vcc, s26, v0
	v_addc_co_u32_e32 v35, vcc, v35, v1, vcc
	v_cmp_gt_i64_e32 vcc, s[14:15], v[34:35]
	v_cmp_gt_u64_e64 s[2:3], s[4:5], v[34:35]
	s_and_b64 s[20:21], vcc, s[2:3]
	v_mov_b32_e32 v38, 0
	v_mov_b32_e32 v39, 0
	;; [unrolled: 1-line block ×4, first 2 shown]
	s_and_saveexec_b64 s[2:3], s[20:21]
	s_cbranch_execnz .LBB41_20
; %bb.16:                               ;   in Loop: Header=BB41_9 Depth=1
	s_or_b64 exec, exec, s[2:3]
	v_cmp_gt_u64_e32 vcc, s[6:7], v[0:1]
	s_and_saveexec_b64 s[2:3], vcc
	s_cbranch_execnz .LBB41_21
.LBB41_17:                              ;   in Loop: Header=BB41_9 Depth=1
	s_or_b64 exec, exec, s[2:3]
	v_cmp_gt_u64_e32 vcc, s[6:7], v[24:25]
	s_and_saveexec_b64 s[2:3], vcc
	s_cbranch_execnz .LBB41_22
.LBB41_18:                              ;   in Loop: Header=BB41_9 Depth=1
	s_or_b64 exec, exec, s[2:3]
	v_cmp_gt_u64_e32 vcc, s[6:7], v[30:31]
	s_and_saveexec_b64 s[2:3], vcc
	s_cbranch_execnz .LBB41_23
.LBB41_19:                              ;   in Loop: Header=BB41_9 Depth=1
	s_or_b64 exec, exec, s[2:3]
	v_cmp_gt_u64_e32 vcc, s[6:7], v[34:35]
	s_and_saveexec_b64 s[2:3], vcc
	s_cbranch_execz .LBB41_8
	s_branch .LBB41_24
.LBB41_20:                              ;   in Loop: Header=BB41_9 Depth=1
	v_mov_b32_e32 v36, s11
	v_add_co_u32_e32 v40, vcc, s10, v8
	v_addc_co_u32_e32 v41, vcc, v9, v36, vcc
	v_add_co_u32_e32 v42, vcc, s10, v6
	v_addc_co_u32_e32 v43, vcc, v7, v36, vcc
	global_load_dwordx2 v[36:37], v[42:43], off
	global_load_dwordx2 v[38:39], v[40:41], off
	s_or_b64 exec, exec, s[2:3]
	v_cmp_gt_u64_e32 vcc, s[6:7], v[0:1]
	s_and_saveexec_b64 s[2:3], vcc
	s_cbranch_execz .LBB41_17
.LBB41_21:                              ;   in Loop: Header=BB41_9 Depth=1
	s_waitcnt vmcnt(0)
	v_mul_f32_e32 v40, s13, v22
	v_fmac_f32_e32 v40, s12, v23
	v_mul_f32_e32 v23, s13, v23
	v_fma_f32 v22, v22, s12, -v23
	v_mul_f32_e32 v23, s9, v22
	v_fmac_f32_e32 v23, s8, v40
	v_cndmask_b32_e64 v23, v23, v40, s[0:1]
	v_add_f32_e32 v21, v21, v23
	v_mul_f32_e32 v23, s9, v40
	v_fma_f32 v23, v22, s8, -v23
	v_cndmask_b32_e64 v22, v23, v22, s[0:1]
	v_add_f32_e32 v20, v20, v22
	v_mov_b32_e32 v23, s11
	v_add_co_u32_e32 v22, vcc, s10, v2
	v_addc_co_u32_e32 v23, vcc, v3, v23, vcc
	global_store_dwordx2 v[22:23], v[20:21], off
	s_or_b64 exec, exec, s[2:3]
	v_cmp_gt_u64_e32 vcc, s[6:7], v[24:25]
	s_and_saveexec_b64 s[2:3], vcc
	s_cbranch_execz .LBB41_18
.LBB41_22:                              ;   in Loop: Header=BB41_9 Depth=1
	s_waitcnt vmcnt(0)
	v_mul_f32_e32 v20, s13, v29
	v_mul_f32_e32 v21, s13, v28
	v_fma_f32 v20, v28, s12, -v20
	v_fmac_f32_e32 v21, s12, v29
	v_mul_f32_e32 v22, s9, v21
	v_mul_f32_e32 v23, s9, v20
	v_fma_f32 v22, v20, s8, -v22
	v_fmac_f32_e32 v23, s8, v21
	v_cndmask_b32_e64 v20, v22, v20, s[0:1]
	v_cndmask_b32_e64 v21, v23, v21, s[0:1]
	v_mov_b32_e32 v23, s11
	v_add_co_u32_e32 v22, vcc, s10, v14
	v_add_f32_e32 v20, v26, v20
	v_add_f32_e32 v21, v27, v21
	v_addc_co_u32_e32 v23, vcc, v15, v23, vcc
	global_store_dwordx2 v[22:23], v[20:21], off
	s_or_b64 exec, exec, s[2:3]
	v_cmp_gt_u64_e32 vcc, s[6:7], v[30:31]
	s_and_saveexec_b64 s[2:3], vcc
	s_cbranch_execz .LBB41_19
.LBB41_23:                              ;   in Loop: Header=BB41_9 Depth=1
	s_waitcnt vmcnt(0)
	v_mul_f32_e32 v20, s13, v19
	v_fma_f32 v20, v18, s12, -v20
	v_mul_f32_e32 v18, s13, v18
	v_fmac_f32_e32 v18, s12, v19
	v_mul_f32_e32 v19, s9, v18
	v_mul_f32_e32 v21, s9, v20
	v_fma_f32 v19, v20, s8, -v19
	v_fmac_f32_e32 v21, s8, v18
	v_cndmask_b32_e64 v19, v19, v20, s[0:1]
	v_cndmask_b32_e64 v20, v21, v18, s[0:1]
	v_add_f32_e32 v18, v32, v19
	v_add_f32_e32 v19, v33, v20
	v_mov_b32_e32 v21, s11
	v_add_co_u32_e32 v20, vcc, s10, v10
	v_addc_co_u32_e32 v21, vcc, v11, v21, vcc
	global_store_dwordx2 v[20:21], v[18:19], off
	s_or_b64 exec, exec, s[2:3]
	v_cmp_gt_u64_e32 vcc, s[6:7], v[34:35]
	s_and_saveexec_b64 s[2:3], vcc
	s_cbranch_execz .LBB41_8
.LBB41_24:                              ;   in Loop: Header=BB41_9 Depth=1
	s_waitcnt vmcnt(0)
	v_mul_f32_e32 v18, s13, v39
	v_mul_f32_e32 v19, s13, v38
	v_fma_f32 v18, v38, s12, -v18
	v_fmac_f32_e32 v19, s12, v39
	v_mul_f32_e32 v20, s9, v19
	v_mul_f32_e32 v21, s9, v18
	v_fma_f32 v20, v18, s8, -v20
	v_fmac_f32_e32 v21, s8, v19
	v_cndmask_b32_e64 v18, v20, v18, s[0:1]
	v_cndmask_b32_e64 v19, v21, v19, s[0:1]
	v_mov_b32_e32 v21, s11
	v_add_co_u32_e32 v20, vcc, s10, v6
	v_add_f32_e32 v18, v36, v18
	v_add_f32_e32 v19, v37, v19
	v_addc_co_u32_e32 v21, vcc, v7, v21, vcc
	global_store_dwordx2 v[20:21], v[18:19], off
	s_branch .LBB41_8
.LBB41_25:
	s_endpgm
	.section	.rodata,"a",@progbits
	.p2align	6, 0x0
	.amdhsa_kernel _ZN2at6native12_GLOBAL__N_125multi_tensor_apply_kernelINS1_18TensorListMetadataILi3EEENS1_32PointwiseOpScalar0dTensorFunctorIN3c107complexIfEELi3ELi2ELi0EEEJSt10multipliesIS8_ES8_EEEvT_T0_DpT1_
		.amdhsa_group_segment_fixed_size 0
		.amdhsa_private_segment_fixed_size 0
		.amdhsa_kernarg_size 3416
		.amdhsa_user_sgpr_count 6
		.amdhsa_user_sgpr_private_segment_buffer 1
		.amdhsa_user_sgpr_dispatch_ptr 0
		.amdhsa_user_sgpr_queue_ptr 0
		.amdhsa_user_sgpr_kernarg_segment_ptr 1
		.amdhsa_user_sgpr_dispatch_id 0
		.amdhsa_user_sgpr_flat_scratch_init 0
		.amdhsa_user_sgpr_kernarg_preload_length 0
		.amdhsa_user_sgpr_kernarg_preload_offset 0
		.amdhsa_user_sgpr_private_segment_size 0
		.amdhsa_uses_dynamic_stack 0
		.amdhsa_system_sgpr_private_segment_wavefront_offset 0
		.amdhsa_system_sgpr_workgroup_id_x 1
		.amdhsa_system_sgpr_workgroup_id_y 0
		.amdhsa_system_sgpr_workgroup_id_z 0
		.amdhsa_system_sgpr_workgroup_info 0
		.amdhsa_system_vgpr_workitem_id 0
		.amdhsa_next_free_vgpr 44
		.amdhsa_next_free_sgpr 45
		.amdhsa_accum_offset 44
		.amdhsa_reserve_vcc 1
		.amdhsa_reserve_flat_scratch 0
		.amdhsa_float_round_mode_32 0
		.amdhsa_float_round_mode_16_64 0
		.amdhsa_float_denorm_mode_32 3
		.amdhsa_float_denorm_mode_16_64 3
		.amdhsa_dx10_clamp 1
		.amdhsa_ieee_mode 1
		.amdhsa_fp16_overflow 0
		.amdhsa_tg_split 0
		.amdhsa_exception_fp_ieee_invalid_op 0
		.amdhsa_exception_fp_denorm_src 0
		.amdhsa_exception_fp_ieee_div_zero 0
		.amdhsa_exception_fp_ieee_overflow 0
		.amdhsa_exception_fp_ieee_underflow 0
		.amdhsa_exception_fp_ieee_inexact 0
		.amdhsa_exception_int_div_zero 0
	.end_amdhsa_kernel
	.section	.text._ZN2at6native12_GLOBAL__N_125multi_tensor_apply_kernelINS1_18TensorListMetadataILi3EEENS1_32PointwiseOpScalar0dTensorFunctorIN3c107complexIfEELi3ELi2ELi0EEEJSt10multipliesIS8_ES8_EEEvT_T0_DpT1_,"axG",@progbits,_ZN2at6native12_GLOBAL__N_125multi_tensor_apply_kernelINS1_18TensorListMetadataILi3EEENS1_32PointwiseOpScalar0dTensorFunctorIN3c107complexIfEELi3ELi2ELi0EEEJSt10multipliesIS8_ES8_EEEvT_T0_DpT1_,comdat
.Lfunc_end41:
	.size	_ZN2at6native12_GLOBAL__N_125multi_tensor_apply_kernelINS1_18TensorListMetadataILi3EEENS1_32PointwiseOpScalar0dTensorFunctorIN3c107complexIfEELi3ELi2ELi0EEEJSt10multipliesIS8_ES8_EEEvT_T0_DpT1_, .Lfunc_end41-_ZN2at6native12_GLOBAL__N_125multi_tensor_apply_kernelINS1_18TensorListMetadataILi3EEENS1_32PointwiseOpScalar0dTensorFunctorIN3c107complexIfEELi3ELi2ELi0EEEJSt10multipliesIS8_ES8_EEEvT_T0_DpT1_
                                        ; -- End function
	.section	.AMDGPU.csdata,"",@progbits
; Kernel info:
; codeLenInByte = 2048
; NumSgprs: 49
; NumVgprs: 44
; NumAgprs: 0
; TotalNumVgprs: 44
; ScratchSize: 0
; MemoryBound: 0
; FloatMode: 240
; IeeeMode: 1
; LDSByteSize: 0 bytes/workgroup (compile time only)
; SGPRBlocks: 6
; VGPRBlocks: 5
; NumSGPRsForWavesPerEU: 49
; NumVGPRsForWavesPerEU: 44
; AccumOffset: 44
; Occupancy: 8
; WaveLimiterHint : 0
; COMPUTE_PGM_RSRC2:SCRATCH_EN: 0
; COMPUTE_PGM_RSRC2:USER_SGPR: 6
; COMPUTE_PGM_RSRC2:TRAP_HANDLER: 0
; COMPUTE_PGM_RSRC2:TGID_X_EN: 1
; COMPUTE_PGM_RSRC2:TGID_Y_EN: 0
; COMPUTE_PGM_RSRC2:TGID_Z_EN: 0
; COMPUTE_PGM_RSRC2:TIDIG_COMP_CNT: 0
; COMPUTE_PGM_RSRC3_GFX90A:ACCUM_OFFSET: 10
; COMPUTE_PGM_RSRC3_GFX90A:TG_SPLIT: 0
	.section	.text._ZN2at6native12_GLOBAL__N_125multi_tensor_apply_kernelINS1_18TensorListMetadataILi3EEENS1_32PointwiseOpScalar0dTensorFunctorIN3c104HalfELi3ELi2ELi0EEEJSt10multipliesIfEfEEEvT_T0_DpT1_,"axG",@progbits,_ZN2at6native12_GLOBAL__N_125multi_tensor_apply_kernelINS1_18TensorListMetadataILi3EEENS1_32PointwiseOpScalar0dTensorFunctorIN3c104HalfELi3ELi2ELi0EEEJSt10multipliesIfEfEEEvT_T0_DpT1_,comdat
	.globl	_ZN2at6native12_GLOBAL__N_125multi_tensor_apply_kernelINS1_18TensorListMetadataILi3EEENS1_32PointwiseOpScalar0dTensorFunctorIN3c104HalfELi3ELi2ELi0EEEJSt10multipliesIfEfEEEvT_T0_DpT1_ ; -- Begin function _ZN2at6native12_GLOBAL__N_125multi_tensor_apply_kernelINS1_18TensorListMetadataILi3EEENS1_32PointwiseOpScalar0dTensorFunctorIN3c104HalfELi3ELi2ELi0EEEJSt10multipliesIfEfEEEvT_T0_DpT1_
	.p2align	8
	.type	_ZN2at6native12_GLOBAL__N_125multi_tensor_apply_kernelINS1_18TensorListMetadataILi3EEENS1_32PointwiseOpScalar0dTensorFunctorIN3c104HalfELi3ELi2ELi0EEEJSt10multipliesIfEfEEEvT_T0_DpT1_,@function
_ZN2at6native12_GLOBAL__N_125multi_tensor_apply_kernelINS1_18TensorListMetadataILi3EEENS1_32PointwiseOpScalar0dTensorFunctorIN3c104HalfELi3ELi2ELi0EEEJSt10multipliesIfEfEEEvT_T0_DpT1_: ; @_ZN2at6native12_GLOBAL__N_125multi_tensor_apply_kernelINS1_18TensorListMetadataILi3EEENS1_32PointwiseOpScalar0dTensorFunctorIN3c104HalfELi3ELi2ELi0EEEJSt10multipliesIfEfEEEvT_T0_DpT1_
; %bb.0:
	v_mov_b32_e32 v1, s6
	global_load_ubyte v1, v1, s[4:5] offset:1536
	s_add_u32 s0, s4, s6
	s_mul_hi_u32 s1, s6, 3
	s_mul_i32 s6, s6, 3
	s_addc_u32 s2, s5, 0
	s_add_u32 s0, s0, s6
	s_addc_u32 s1, s2, s1
	s_load_dword s0, s[0:1], 0x740
	v_mov_b32_e32 v3, 0
	s_mov_b32 s3, 0
	s_mov_b32 s13, s3
	s_waitcnt vmcnt(0)
	v_readfirstlane_b32 s1, v1
	s_lshl_b32 s1, s1, 3
	s_load_dwordx2 s[8:9], s[4:5], s1 offset:0x180
	s_load_dwordx2 s[14:15], s[4:5], s1 offset:0x300
	s_waitcnt lgkmcnt(0)
	global_load_ushort v1, v3, s[8:9]
	s_load_dword s22, s[4:5], 0xc4c
	s_load_dwordx2 s[16:17], s[4:5], s1 offset:0x0
	s_load_dwordx2 s[10:11], s[4:5], s1 offset:0x480
	s_ashr_i32 s1, s0, 31
	s_lshl_b64 s[6:7], s[0:1], 17
	s_waitcnt lgkmcnt(0)
	s_add_u32 s23, s16, s6
	s_addc_u32 s24, s17, s7
	s_and_b32 s2, s23, 7
	s_add_u32 s8, s8, s6
	s_add_u32 s25, s14, s6
	s_addc_u32 s26, s15, s7
	s_or_b32 s8, s25, s8
	s_and_b32 s8, s8, 7
	s_cmp_lg_u32 s8, 0
	s_cselect_b64 s[18:19], -1, 0
	s_lshl_b64 s[0:1], s[0:1], 16
	s_sub_u32 s8, s10, s0
	s_subb_u32 s9, s11, s1
	s_and_b32 s12, s10, 3
	s_or_b64 s[0:1], s[2:3], s[12:13]
	s_cmp_lg_u64 s[0:1], 0
	s_cselect_b64 s[0:1], -1, 0
	s_or_b64 s[0:1], s[18:19], s[0:1]
	s_andn2_b64 vcc, exec, s[0:1]
	s_mov_b64 s[0:1], -1
	s_waitcnt vmcnt(0)
	v_cvt_f32_f16_e32 v24, v1
	s_cbranch_vccz .LBB42_21
; %bb.1:
	v_lshlrev_b32_e32 v2, 2, v0
	v_cmp_gt_i64_e32 vcc, s[8:9], v[2:3]
	s_and_saveexec_b64 s[10:11], vcc
	s_cbranch_execz .LBB42_20
; %bb.2:
	s_load_dword s0, s[4:5], 0xc5c
	v_cmp_neq_f32_e64 s[18:19], s22, 1.0
	v_cndmask_b32_e64 v1, 0, 1, s[18:19]
	v_mov_b32_e32 v3, 0
	v_lshlrev_b32_e32 v4, 3, v0
	s_waitcnt lgkmcnt(0)
	s_and_b32 s0, s0, 0xffff
	v_add_lshl_u32 v2, v0, s0, 2
	s_lshl_b32 s27, s0, 2
	s_lshl_b32 s28, s0, 3
	s_mov_b64 s[12:13], 0
	v_cmp_ne_u32_e64 s[0:1], 1, v1
	s_mov_b64 s[20:21], 0xffff
	v_mov_b32_e32 v1, s3
	s_branch .LBB42_4
.LBB42_3:                               ;   in Loop: Header=BB42_4 Depth=1
	v_cmp_le_i64_e32 vcc, s[8:9], v[2:3]
	v_cmp_lt_u64_e64 s[2:3], s[20:21], v[2:3]
	s_or_b64 s[2:3], vcc, s[2:3]
	s_add_u32 s23, s23, s28
	v_cvt_f16_f32_e32 v9, v10
	v_cvt_f16_f32_e32 v8, v8
	;; [unrolled: 1-line block ×4, first 2 shown]
	s_addc_u32 s24, s24, 0
	s_add_u32 s25, s25, s28
	s_addc_u32 s26, s26, 0
	s_and_b64 s[2:3], exec, s[2:3]
	v_add_co_u32_e32 v2, vcc, s27, v2
	v_pack_b32_f16 v9, v9, v10
	v_pack_b32_f16 v8, v5, v8
	s_or_b64 s[12:13], s[2:3], s[12:13]
	v_addc_co_u32_e32 v3, vcc, v3, v1, vcc
	global_store_dwordx2 v[6:7], v[8:9], off
	s_andn2_b64 exec, exec, s[12:13]
	s_cbranch_execz .LBB42_20
.LBB42_4:                               ; =>This Inner Loop Header: Depth=1
	v_mov_b32_e32 v5, s24
	v_add_co_u32_e32 v6, vcc, s23, v4
	v_addc_co_u32_e32 v7, vcc, 0, v5, vcc
	v_mov_b32_e32 v5, s26
	v_add_co_u32_e32 v10, vcc, s25, v4
	v_addc_co_u32_e32 v11, vcc, 0, v5, vcc
	global_load_dwordx2 v[8:9], v[6:7], off
	s_and_b64 vcc, exec, s[18:19]
	global_load_dwordx2 v[10:11], v[10:11], off
	s_waitcnt vmcnt(1)
	v_cvt_f32_f16_e32 v12, v8
	s_waitcnt vmcnt(0)
	v_cvt_f32_f16_e32 v13, v10
	s_cbranch_vccz .LBB42_15
; %bb.5:                                ;   in Loop: Header=BB42_4 Depth=1
	v_mul_f32_e32 v5, v24, v13
	v_fma_f32 v5, s22, v5, v12
	s_cbranch_execnz .LBB42_7
.LBB42_6:                               ;   in Loop: Header=BB42_4 Depth=1
	v_fmac_f32_e32 v12, v24, v13
	v_mov_b32_e32 v5, v12
.LBB42_7:                               ;   in Loop: Header=BB42_4 Depth=1
	v_cvt_f32_f16_sdwa v12, v8 dst_sel:DWORD dst_unused:UNUSED_PAD src0_sel:WORD_1
	v_cvt_f32_f16_sdwa v10, v10 dst_sel:DWORD dst_unused:UNUSED_PAD src0_sel:WORD_1
	s_and_b64 vcc, exec, s[0:1]
	s_cbranch_vccnz .LBB42_16
; %bb.8:                                ;   in Loop: Header=BB42_4 Depth=1
	v_mul_f32_e32 v8, v24, v10
	v_fma_f32 v8, s22, v8, v12
	s_cbranch_execnz .LBB42_10
.LBB42_9:                               ;   in Loop: Header=BB42_4 Depth=1
	v_fmac_f32_e32 v12, v24, v10
	v_mov_b32_e32 v8, v12
.LBB42_10:                              ;   in Loop: Header=BB42_4 Depth=1
	v_cvt_f32_f16_e32 v12, v9
	v_cvt_f32_f16_e32 v13, v11
	s_and_b64 vcc, exec, s[0:1]
	s_cbranch_vccnz .LBB42_17
; %bb.11:                               ;   in Loop: Header=BB42_4 Depth=1
	v_mul_f32_e32 v10, v24, v13
	v_fma_f32 v10, s22, v10, v12
	s_cbranch_execnz .LBB42_13
.LBB42_12:                              ;   in Loop: Header=BB42_4 Depth=1
	v_fmac_f32_e32 v12, v24, v13
	v_mov_b32_e32 v10, v12
.LBB42_13:                              ;   in Loop: Header=BB42_4 Depth=1
	v_cvt_f32_f16_sdwa v9, v9 dst_sel:DWORD dst_unused:UNUSED_PAD src0_sel:WORD_1
	v_cvt_f32_f16_sdwa v11, v11 dst_sel:DWORD dst_unused:UNUSED_PAD src0_sel:WORD_1
	s_and_b64 vcc, exec, s[0:1]
	s_cbranch_vccnz .LBB42_18
; %bb.14:                               ;   in Loop: Header=BB42_4 Depth=1
	v_mul_f32_e32 v12, v24, v11
	v_fma_f32 v12, s22, v12, v9
	s_cbranch_execnz .LBB42_3
	s_branch .LBB42_19
.LBB42_15:                              ;   in Loop: Header=BB42_4 Depth=1
                                        ; implicit-def: $vgpr5
	s_branch .LBB42_6
.LBB42_16:                              ;   in Loop: Header=BB42_4 Depth=1
                                        ; implicit-def: $vgpr8
	s_branch .LBB42_9
.LBB42_17:                              ;   in Loop: Header=BB42_4 Depth=1
                                        ; implicit-def: $vgpr10
	s_branch .LBB42_12
.LBB42_18:                              ;   in Loop: Header=BB42_4 Depth=1
                                        ; implicit-def: $vgpr12
.LBB42_19:                              ;   in Loop: Header=BB42_4 Depth=1
	v_fmac_f32_e32 v9, v24, v11
	v_mov_b32_e32 v12, v9
	s_branch .LBB42_3
.LBB42_20:
	s_or_b64 exec, exec, s[10:11]
	s_mov_b64 s[0:1], 0
.LBB42_21:
	s_andn2_b64 vcc, exec, s[0:1]
	s_cbranch_vccnz .LBB42_57
; %bb.22:
	v_cmp_lt_i64_e64 s[0:1], s[8:9], 1
	s_and_b64 vcc, exec, s[0:1]
	s_cbranch_vccnz .LBB42_57
; %bb.23:
	s_load_dword s0, s[4:5], 0xc5c
	v_mov_b32_e32 v2, 0x10000
	v_mov_b32_e32 v3, 0
	v_cmp_lt_u64_e32 vcc, s[8:9], v[2:3]
	v_lshlrev_b32_e32 v10, 1, v0
	s_waitcnt lgkmcnt(0)
	s_and_b32 s18, s0, 0xffff
	s_and_b64 s[0:1], vcc, exec
	v_mov_b32_e32 v15, s17
	v_add_co_u32_e32 v2, vcc, s16, v10
	v_mov_b32_e32 v1, 0
	v_addc_co_u32_e32 v3, vcc, 0, v15, vcc
	v_mov_b32_e32 v11, v1
	v_mov_b32_e32 v17, s15
	v_add_co_u32_e32 v4, vcc, s14, v10
	v_addc_co_u32_e32 v5, vcc, 0, v17, vcc
	v_mad_u64_u32 v[8:9], s[0:1], s18, 6, v[10:11]
	v_add_co_u32_e32 v6, vcc, s16, v8
	v_addc_co_u32_e32 v7, vcc, v15, v9, vcc
	v_add_co_u32_e32 v8, vcc, s14, v8
	s_cselect_b32 s11, s9, 0
	s_cselect_b32 s10, s8, 0x10000
	s_lshl_b32 s12, s18, 2
	v_addc_co_u32_e32 v9, vcc, v17, v9, vcc
	v_add_co_u32_e32 v12, vcc, s12, v10
	v_addc_co_u32_e64 v13, s[0:1], 0, 0, vcc
	v_add_co_u32_e32 v10, vcc, s16, v12
	v_addc_co_u32_e32 v11, vcc, v15, v13, vcc
	v_add_co_u32_e32 v12, vcc, s14, v12
	v_addc_co_u32_e32 v13, vcc, v17, v13, vcc
	v_add_lshl_u32 v16, v0, s18, 1
	v_add_co_u32_e32 v14, vcc, s16, v16
	s_mov_b32 s26, 0
	v_addc_co_u32_e32 v15, vcc, 0, v15, vcc
	s_mov_b32 s13, s26
	v_add_co_u32_e32 v16, vcc, s14, v16
	v_cmp_neq_f32_e64 s[2:3], s22, 1.0
	s_mov_b64 s[4:5], 0x10000
	s_lshl_b32 s19, s18, 1
	s_mov_b32 s20, s26
	s_mul_i32 s21, s18, 3
	s_mov_b32 s23, s26
	s_lshl_b32 s24, s18, 3
	s_mov_b32 s25, s26
	v_addc_co_u32_e32 v17, vcc, 0, v17, vcc
	v_mov_b32_e32 v25, s26
	s_mov_b64 s[14:15], s[12:13]
	s_branch .LBB42_25
.LBB42_24:                              ;   in Loop: Header=BB42_25 Depth=1
	s_or_b64 exec, exec, s[0:1]
	v_pk_mov_b32 v[18:19], s[8:9], s[8:9] op_sel:[0,1]
	v_cmp_ge_i64_e32 vcc, s[14:15], v[18:19]
	v_mov_b32_e32 v18, 0xffff
	v_mov_b32_e32 v19, 0
	v_cmp_gt_u64_e64 s[0:1], s[14:15], v[18:19]
	s_or_b64 s[0:1], vcc, s[0:1]
	v_mov_b32_e32 v18, s25
	v_add_co_u32_e32 v2, vcc, s24, v2
	v_addc_co_u32_e32 v3, vcc, v3, v18, vcc
	v_add_co_u32_e32 v4, vcc, s24, v4
	v_addc_co_u32_e32 v5, vcc, v5, v18, vcc
	v_mov_b32_e32 v19, s13
	v_add_co_u32_e32 v0, vcc, s12, v0
	v_addc_co_u32_e32 v1, vcc, v1, v19, vcc
	v_add_co_u32_e32 v6, vcc, s24, v6
	v_addc_co_u32_e32 v7, vcc, v7, v18, vcc
	;; [unrolled: 2-line block ×6, first 2 shown]
	v_add_co_u32_e32 v16, vcc, s24, v16
	s_add_u32 s14, s14, s12
	v_addc_co_u32_e32 v17, vcc, v17, v18, vcc
	s_addc_u32 s15, s15, 0
	s_and_b64 vcc, exec, s[0:1]
	s_cbranch_vccnz .LBB42_57
.LBB42_25:                              ; =>This Inner Loop Header: Depth=1
	v_cmp_gt_i64_e32 vcc, s[8:9], v[0:1]
	v_cmp_gt_u64_e64 s[0:1], s[4:5], v[0:1]
	s_and_b64 s[16:17], vcc, s[0:1]
	v_mov_b32_e32 v27, 0
	v_mov_b32_e32 v28, 0
	s_and_saveexec_b64 s[0:1], s[16:17]
	s_cbranch_execz .LBB42_27
; %bb.26:                               ;   in Loop: Header=BB42_25 Depth=1
	v_mov_b32_e32 v21, s7
	v_add_co_u32_e32 v18, vcc, s6, v2
	v_addc_co_u32_e32 v19, vcc, v3, v21, vcc
	v_add_co_u32_e32 v20, vcc, s6, v4
	v_addc_co_u32_e32 v21, vcc, v5, v21, vcc
	global_load_ushort v28, v[18:19], off
	global_load_ushort v27, v[20:21], off
.LBB42_27:                              ;   in Loop: Header=BB42_25 Depth=1
	s_or_b64 exec, exec, s[0:1]
	v_add_co_u32_e32 v18, vcc, s18, v0
	v_addc_co_u32_e32 v19, vcc, v25, v1, vcc
	v_cmp_gt_i64_e32 vcc, s[8:9], v[18:19]
	v_cmp_gt_u64_e64 s[0:1], s[4:5], v[18:19]
	s_and_b64 s[16:17], vcc, s[0:1]
	v_mov_b32_e32 v26, 0
	v_mov_b32_e32 v29, 0
	;; [unrolled: 1-line block ×3, first 2 shown]
	s_and_saveexec_b64 s[0:1], s[16:17]
	s_cbranch_execz .LBB42_29
; %bb.28:                               ;   in Loop: Header=BB42_25 Depth=1
	v_mov_b32_e32 v23, s7
	v_add_co_u32_e32 v20, vcc, s6, v14
	v_addc_co_u32_e32 v21, vcc, v15, v23, vcc
	v_add_co_u32_e32 v22, vcc, s6, v16
	v_addc_co_u32_e32 v23, vcc, v17, v23, vcc
	global_load_ushort v30, v[20:21], off
	global_load_ushort v29, v[22:23], off
.LBB42_29:                              ;   in Loop: Header=BB42_25 Depth=1
	s_or_b64 exec, exec, s[0:1]
	v_mov_b32_e32 v21, s20
	v_add_co_u32_e32 v20, vcc, s19, v0
	v_addc_co_u32_e32 v21, vcc, v21, v1, vcc
	v_cmp_gt_i64_e32 vcc, s[8:9], v[20:21]
	v_cmp_gt_u64_e64 s[0:1], s[4:5], v[20:21]
	s_and_b64 s[16:17], vcc, s[0:1]
	v_mov_b32_e32 v31, 0
	s_and_saveexec_b64 s[0:1], s[16:17]
	s_cbranch_execz .LBB42_31
; %bb.30:                               ;   in Loop: Header=BB42_25 Depth=1
	v_mov_b32_e32 v26, s7
	v_add_co_u32_e32 v22, vcc, s6, v10
	v_addc_co_u32_e32 v23, vcc, v11, v26, vcc
	v_add_co_u32_e32 v32, vcc, s6, v12
	v_addc_co_u32_e32 v33, vcc, v13, v26, vcc
	global_load_ushort v31, v[22:23], off
	global_load_ushort v26, v[32:33], off
.LBB42_31:                              ;   in Loop: Header=BB42_25 Depth=1
	s_or_b64 exec, exec, s[0:1]
	v_mov_b32_e32 v23, s23
	v_add_co_u32_e32 v22, vcc, s21, v0
	v_addc_co_u32_e32 v23, vcc, v23, v1, vcc
	v_cmp_gt_i64_e32 vcc, s[8:9], v[22:23]
	v_cmp_gt_u64_e64 s[0:1], s[4:5], v[22:23]
	s_and_b64 s[16:17], vcc, s[0:1]
	v_mov_b32_e32 v32, 0
	v_mov_b32_e32 v33, 0
	s_and_saveexec_b64 s[0:1], s[16:17]
	s_cbranch_execz .LBB42_33
; %bb.32:                               ;   in Loop: Header=BB42_25 Depth=1
	v_mov_b32_e32 v32, s7
	v_add_co_u32_e32 v34, vcc, s6, v6
	v_addc_co_u32_e32 v35, vcc, v7, v32, vcc
	v_add_co_u32_e32 v36, vcc, s6, v8
	v_addc_co_u32_e32 v37, vcc, v9, v32, vcc
	global_load_ushort v33, v[34:35], off
	global_load_ushort v32, v[36:37], off
.LBB42_33:                              ;   in Loop: Header=BB42_25 Depth=1
	s_or_b64 exec, exec, s[0:1]
	s_waitcnt vmcnt(1)
	v_cvt_f32_f16_e32 v28, v28
	s_waitcnt vmcnt(0)
	v_cvt_f32_f16_e32 v34, v27
	s_and_b64 vcc, exec, s[2:3]
	s_cbranch_vccz .LBB42_53
; %bb.34:                               ;   in Loop: Header=BB42_25 Depth=1
	v_mul_f32_e32 v27, v24, v34
	v_fma_f32 v27, s22, v27, v28
	s_cbranch_execnz .LBB42_36
.LBB42_35:                              ;   in Loop: Header=BB42_25 Depth=1
	v_fmac_f32_e32 v28, v24, v34
	v_mov_b32_e32 v27, v28
.LBB42_36:                              ;   in Loop: Header=BB42_25 Depth=1
	v_cvt_f32_f16_e32 v30, v30
	v_cvt_f32_f16_e32 v29, v29
	v_cndmask_b32_e64 v28, 0, 1, s[2:3]
	v_cmp_ne_u32_e64 s[0:1], 1, v28
	s_andn2_b64 vcc, exec, s[2:3]
	s_cbranch_vccnz .LBB42_54
; %bb.37:                               ;   in Loop: Header=BB42_25 Depth=1
	v_mul_f32_e32 v28, v24, v29
	v_fma_f32 v28, s22, v28, v30
	s_cbranch_execnz .LBB42_39
.LBB42_38:                              ;   in Loop: Header=BB42_25 Depth=1
	v_fmac_f32_e32 v30, v24, v29
	v_mov_b32_e32 v28, v30
.LBB42_39:                              ;   in Loop: Header=BB42_25 Depth=1
	v_cvt_f32_f16_e32 v29, v31
	v_cvt_f32_f16_e32 v30, v26
	s_and_b64 vcc, exec, s[0:1]
	s_cbranch_vccnz .LBB42_55
; %bb.40:                               ;   in Loop: Header=BB42_25 Depth=1
	v_mul_f32_e32 v26, v24, v30
	v_fma_f32 v26, s22, v26, v29
	s_cbranch_execnz .LBB42_42
.LBB42_41:                              ;   in Loop: Header=BB42_25 Depth=1
	v_fmac_f32_e32 v29, v24, v30
	v_mov_b32_e32 v26, v29
.LBB42_42:                              ;   in Loop: Header=BB42_25 Depth=1
	v_cvt_f32_f16_e32 v30, v33
	v_cvt_f32_f16_e32 v31, v32
	s_and_b64 vcc, exec, s[0:1]
	s_cbranch_vccnz .LBB42_56
; %bb.43:                               ;   in Loop: Header=BB42_25 Depth=1
	v_mul_f32_e32 v29, v24, v31
	v_fma_f32 v29, s22, v29, v30
	s_cbranch_execnz .LBB42_45
.LBB42_44:                              ;   in Loop: Header=BB42_25 Depth=1
	v_fmac_f32_e32 v30, v24, v31
	v_mov_b32_e32 v29, v30
.LBB42_45:                              ;   in Loop: Header=BB42_25 Depth=1
	v_cmp_gt_u64_e32 vcc, s[10:11], v[0:1]
	s_and_saveexec_b64 s[0:1], vcc
	s_xor_b64 s[0:1], exec, s[0:1]
	s_cbranch_execz .LBB42_47
; %bb.46:                               ;   in Loop: Header=BB42_25 Depth=1
	v_cvt_f16_f32_e32 v27, v27
	v_mov_b32_e32 v31, s7
	v_add_co_u32_e32 v30, vcc, s6, v2
	v_addc_co_u32_e32 v31, vcc, v3, v31, vcc
	global_store_short v[30:31], v27, off
.LBB42_47:                              ;   in Loop: Header=BB42_25 Depth=1
	s_or_b64 exec, exec, s[0:1]
	v_cmp_gt_u64_e32 vcc, s[10:11], v[18:19]
	s_and_saveexec_b64 s[0:1], vcc
	s_cbranch_execnz .LBB42_50
; %bb.48:                               ;   in Loop: Header=BB42_25 Depth=1
	s_or_b64 exec, exec, s[0:1]
	v_cmp_gt_u64_e32 vcc, s[10:11], v[20:21]
	s_and_saveexec_b64 s[0:1], vcc
	s_cbranch_execnz .LBB42_51
.LBB42_49:                              ;   in Loop: Header=BB42_25 Depth=1
	s_or_b64 exec, exec, s[0:1]
	v_cmp_gt_u64_e32 vcc, s[10:11], v[22:23]
	s_and_saveexec_b64 s[0:1], vcc
	s_cbranch_execz .LBB42_24
	s_branch .LBB42_52
.LBB42_50:                              ;   in Loop: Header=BB42_25 Depth=1
	v_cvt_f16_f32_e32 v27, v28
	v_mov_b32_e32 v19, s7
	v_add_co_u32_e32 v18, vcc, s6, v14
	v_addc_co_u32_e32 v19, vcc, v15, v19, vcc
	global_store_short v[18:19], v27, off
	s_or_b64 exec, exec, s[0:1]
	v_cmp_gt_u64_e32 vcc, s[10:11], v[20:21]
	s_and_saveexec_b64 s[0:1], vcc
	s_cbranch_execz .LBB42_49
.LBB42_51:                              ;   in Loop: Header=BB42_25 Depth=1
	v_cvt_f16_f32_e32 v20, v26
	v_mov_b32_e32 v19, s7
	v_add_co_u32_e32 v18, vcc, s6, v10
	v_addc_co_u32_e32 v19, vcc, v11, v19, vcc
	global_store_short v[18:19], v20, off
	s_or_b64 exec, exec, s[0:1]
	v_cmp_gt_u64_e32 vcc, s[10:11], v[22:23]
	s_and_saveexec_b64 s[0:1], vcc
	s_cbranch_execz .LBB42_24
.LBB42_52:                              ;   in Loop: Header=BB42_25 Depth=1
	v_cvt_f16_f32_e32 v20, v29
	v_mov_b32_e32 v19, s7
	v_add_co_u32_e32 v18, vcc, s6, v6
	v_addc_co_u32_e32 v19, vcc, v7, v19, vcc
	global_store_short v[18:19], v20, off
	s_branch .LBB42_24
.LBB42_53:                              ;   in Loop: Header=BB42_25 Depth=1
                                        ; implicit-def: $vgpr27
	s_branch .LBB42_35
.LBB42_54:                              ;   in Loop: Header=BB42_25 Depth=1
                                        ; implicit-def: $vgpr28
	s_branch .LBB42_38
.LBB42_55:                              ;   in Loop: Header=BB42_25 Depth=1
                                        ; implicit-def: $vgpr26
	s_branch .LBB42_41
.LBB42_56:                              ;   in Loop: Header=BB42_25 Depth=1
                                        ; implicit-def: $vgpr29
	s_branch .LBB42_44
.LBB42_57:
	s_endpgm
	.section	.rodata,"a",@progbits
	.p2align	6, 0x0
	.amdhsa_kernel _ZN2at6native12_GLOBAL__N_125multi_tensor_apply_kernelINS1_18TensorListMetadataILi3EEENS1_32PointwiseOpScalar0dTensorFunctorIN3c104HalfELi3ELi2ELi0EEEJSt10multipliesIfEfEEEvT_T0_DpT1_
		.amdhsa_group_segment_fixed_size 0
		.amdhsa_private_segment_fixed_size 0
		.amdhsa_kernarg_size 3408
		.amdhsa_user_sgpr_count 6
		.amdhsa_user_sgpr_private_segment_buffer 1
		.amdhsa_user_sgpr_dispatch_ptr 0
		.amdhsa_user_sgpr_queue_ptr 0
		.amdhsa_user_sgpr_kernarg_segment_ptr 1
		.amdhsa_user_sgpr_dispatch_id 0
		.amdhsa_user_sgpr_flat_scratch_init 0
		.amdhsa_user_sgpr_kernarg_preload_length 0
		.amdhsa_user_sgpr_kernarg_preload_offset 0
		.amdhsa_user_sgpr_private_segment_size 0
		.amdhsa_uses_dynamic_stack 0
		.amdhsa_system_sgpr_private_segment_wavefront_offset 0
		.amdhsa_system_sgpr_workgroup_id_x 1
		.amdhsa_system_sgpr_workgroup_id_y 0
		.amdhsa_system_sgpr_workgroup_id_z 0
		.amdhsa_system_sgpr_workgroup_info 0
		.amdhsa_system_vgpr_workitem_id 0
		.amdhsa_next_free_vgpr 38
		.amdhsa_next_free_sgpr 29
		.amdhsa_accum_offset 40
		.amdhsa_reserve_vcc 1
		.amdhsa_reserve_flat_scratch 0
		.amdhsa_float_round_mode_32 0
		.amdhsa_float_round_mode_16_64 0
		.amdhsa_float_denorm_mode_32 3
		.amdhsa_float_denorm_mode_16_64 3
		.amdhsa_dx10_clamp 1
		.amdhsa_ieee_mode 1
		.amdhsa_fp16_overflow 0
		.amdhsa_tg_split 0
		.amdhsa_exception_fp_ieee_invalid_op 0
		.amdhsa_exception_fp_denorm_src 0
		.amdhsa_exception_fp_ieee_div_zero 0
		.amdhsa_exception_fp_ieee_overflow 0
		.amdhsa_exception_fp_ieee_underflow 0
		.amdhsa_exception_fp_ieee_inexact 0
		.amdhsa_exception_int_div_zero 0
	.end_amdhsa_kernel
	.section	.text._ZN2at6native12_GLOBAL__N_125multi_tensor_apply_kernelINS1_18TensorListMetadataILi3EEENS1_32PointwiseOpScalar0dTensorFunctorIN3c104HalfELi3ELi2ELi0EEEJSt10multipliesIfEfEEEvT_T0_DpT1_,"axG",@progbits,_ZN2at6native12_GLOBAL__N_125multi_tensor_apply_kernelINS1_18TensorListMetadataILi3EEENS1_32PointwiseOpScalar0dTensorFunctorIN3c104HalfELi3ELi2ELi0EEEJSt10multipliesIfEfEEEvT_T0_DpT1_,comdat
.Lfunc_end42:
	.size	_ZN2at6native12_GLOBAL__N_125multi_tensor_apply_kernelINS1_18TensorListMetadataILi3EEENS1_32PointwiseOpScalar0dTensorFunctorIN3c104HalfELi3ELi2ELi0EEEJSt10multipliesIfEfEEEvT_T0_DpT1_, .Lfunc_end42-_ZN2at6native12_GLOBAL__N_125multi_tensor_apply_kernelINS1_18TensorListMetadataILi3EEENS1_32PointwiseOpScalar0dTensorFunctorIN3c104HalfELi3ELi2ELi0EEEJSt10multipliesIfEfEEEvT_T0_DpT1_
                                        ; -- End function
	.section	.AMDGPU.csdata,"",@progbits
; Kernel info:
; codeLenInByte = 1788
; NumSgprs: 33
; NumVgprs: 38
; NumAgprs: 0
; TotalNumVgprs: 38
; ScratchSize: 0
; MemoryBound: 0
; FloatMode: 240
; IeeeMode: 1
; LDSByteSize: 0 bytes/workgroup (compile time only)
; SGPRBlocks: 4
; VGPRBlocks: 4
; NumSGPRsForWavesPerEU: 33
; NumVGPRsForWavesPerEU: 38
; AccumOffset: 40
; Occupancy: 8
; WaveLimiterHint : 0
; COMPUTE_PGM_RSRC2:SCRATCH_EN: 0
; COMPUTE_PGM_RSRC2:USER_SGPR: 6
; COMPUTE_PGM_RSRC2:TRAP_HANDLER: 0
; COMPUTE_PGM_RSRC2:TGID_X_EN: 1
; COMPUTE_PGM_RSRC2:TGID_Y_EN: 0
; COMPUTE_PGM_RSRC2:TGID_Z_EN: 0
; COMPUTE_PGM_RSRC2:TIDIG_COMP_CNT: 0
; COMPUTE_PGM_RSRC3_GFX90A:ACCUM_OFFSET: 9
; COMPUTE_PGM_RSRC3_GFX90A:TG_SPLIT: 0
	.section	.text._ZN2at6native12_GLOBAL__N_125multi_tensor_apply_kernelINS1_18TensorListMetadataILi3EEENS1_32PointwiseOpScalar0dTensorFunctorIN3c108BFloat16ELi3ELi2ELi0EEEJSt10multipliesIfEfEEEvT_T0_DpT1_,"axG",@progbits,_ZN2at6native12_GLOBAL__N_125multi_tensor_apply_kernelINS1_18TensorListMetadataILi3EEENS1_32PointwiseOpScalar0dTensorFunctorIN3c108BFloat16ELi3ELi2ELi0EEEJSt10multipliesIfEfEEEvT_T0_DpT1_,comdat
	.globl	_ZN2at6native12_GLOBAL__N_125multi_tensor_apply_kernelINS1_18TensorListMetadataILi3EEENS1_32PointwiseOpScalar0dTensorFunctorIN3c108BFloat16ELi3ELi2ELi0EEEJSt10multipliesIfEfEEEvT_T0_DpT1_ ; -- Begin function _ZN2at6native12_GLOBAL__N_125multi_tensor_apply_kernelINS1_18TensorListMetadataILi3EEENS1_32PointwiseOpScalar0dTensorFunctorIN3c108BFloat16ELi3ELi2ELi0EEEJSt10multipliesIfEfEEEvT_T0_DpT1_
	.p2align	8
	.type	_ZN2at6native12_GLOBAL__N_125multi_tensor_apply_kernelINS1_18TensorListMetadataILi3EEENS1_32PointwiseOpScalar0dTensorFunctorIN3c108BFloat16ELi3ELi2ELi0EEEJSt10multipliesIfEfEEEvT_T0_DpT1_,@function
_ZN2at6native12_GLOBAL__N_125multi_tensor_apply_kernelINS1_18TensorListMetadataILi3EEENS1_32PointwiseOpScalar0dTensorFunctorIN3c108BFloat16ELi3ELi2ELi0EEEJSt10multipliesIfEfEEEvT_T0_DpT1_: ; @_ZN2at6native12_GLOBAL__N_125multi_tensor_apply_kernelINS1_18TensorListMetadataILi3EEENS1_32PointwiseOpScalar0dTensorFunctorIN3c108BFloat16ELi3ELi2ELi0EEEJSt10multipliesIfEfEEEvT_T0_DpT1_
; %bb.0:
	v_mov_b32_e32 v1, s6
	global_load_ubyte v1, v1, s[4:5] offset:1536
	s_add_u32 s0, s4, s6
	s_mul_hi_u32 s1, s6, 3
	s_mul_i32 s6, s6, 3
	s_addc_u32 s2, s5, 0
	s_add_u32 s0, s0, s6
	s_addc_u32 s1, s2, s1
	s_load_dword s0, s[0:1], 0x740
	v_mov_b32_e32 v3, 0
	s_mov_b32 s3, 0
	s_mov_b32 s13, s3
	s_waitcnt vmcnt(0)
	v_readfirstlane_b32 s1, v1
	s_lshl_b32 s1, s1, 3
	s_load_dwordx2 s[8:9], s[4:5], s1 offset:0x180
	s_load_dwordx2 s[14:15], s[4:5], s1 offset:0x300
	s_waitcnt lgkmcnt(0)
	global_load_ushort v1, v3, s[8:9]
	s_load_dword s22, s[4:5], 0xc4c
	s_load_dwordx2 s[16:17], s[4:5], s1 offset:0x0
	s_load_dwordx2 s[10:11], s[4:5], s1 offset:0x480
	s_ashr_i32 s1, s0, 31
	s_lshl_b64 s[6:7], s[0:1], 17
	s_add_u32 s8, s8, s6
	s_or_b32 s8, s14, s8
	s_waitcnt lgkmcnt(0)
	s_and_b32 s2, s16, 7
	s_and_b32 s8, s8, 7
	s_cmp_lg_u32 s8, 0
	s_cselect_b64 s[18:19], -1, 0
	s_lshl_b64 s[0:1], s[0:1], 16
	s_sub_u32 s8, s10, s0
	s_subb_u32 s9, s11, s1
	s_and_b32 s12, s10, 3
	s_or_b64 s[0:1], s[2:3], s[12:13]
	s_cmp_lg_u64 s[0:1], 0
	s_cselect_b64 s[0:1], -1, 0
	s_or_b64 s[0:1], s[18:19], s[0:1]
	s_andn2_b64 vcc, exec, s[0:1]
	s_mov_b64 s[0:1], -1
	s_waitcnt vmcnt(0)
	v_lshlrev_b32_e32 v28, 16, v1
	s_cbranch_vccz .LBB43_21
; %bb.1:
	v_lshlrev_b32_e32 v2, 2, v0
	v_cmp_gt_i64_e32 vcc, s[8:9], v[2:3]
	s_and_saveexec_b64 s[10:11], vcc
	s_cbranch_execz .LBB43_20
; %bb.2:
	s_load_dword s0, s[4:5], 0xc5c
	v_lshlrev_b32_e32 v1, 3, v0
	v_cmp_neq_f32_e64 s[18:19], s22, 1.0
	v_mov_b32_e32 v2, s7
	v_add_co_u32_e32 v4, vcc, s6, v1
	s_waitcnt lgkmcnt(0)
	s_and_b32 s0, s0, 0xffff
	v_cndmask_b32_e64 v6, 0, 1, s[18:19]
	v_mov_b32_e32 v3, 0
	v_addc_co_u32_e32 v1, vcc, 0, v2, vcc
	s_lshl_b32 s23, s0, 3
	v_add_lshl_u32 v2, v0, s0, 2
	s_lshl_b32 s24, s0, 2
	s_mov_b64 s[12:13], 0
	v_mov_b32_e32 v5, s17
	v_mov_b32_e32 v12, s15
	v_cmp_ne_u32_e64 s[0:1], 1, v6
	s_movk_i32 s25, 0x7fff
	v_mov_b32_e32 v13, 0x7fc0
	v_mov_b32_e32 v14, 0x7fc00000
	s_mov_b64 s[20:21], 0xffff
	v_mov_b32_e32 v15, s3
	v_mov_b32_e32 v16, s3
	s_branch .LBB43_4
.LBB43_3:                               ;   in Loop: Header=BB43_4 Depth=1
	v_bfe_u32 v10, v17, 16, 1
	v_add3_u32 v10, v17, v10, s25
	v_bfe_u32 v11, v18, 16, 1
	v_lshrrev_b32_e32 v10, 16, v10
	v_cmp_o_f32_e32 vcc, v17, v17
	v_add3_u32 v11, v18, v11, s25
	v_cndmask_b32_e32 v10, v13, v10, vcc
	v_and_b32_e32 v11, 0xffff0000, v11
	v_cmp_o_f32_e32 vcc, v18, v18
	v_cndmask_b32_e32 v11, v14, v11, vcc
	v_or_b32_e32 v10, v11, v10
	v_bfe_u32 v11, v8, 16, 1
	v_add3_u32 v11, v8, v11, s25
	v_lshrrev_b32_e32 v11, 16, v11
	v_cmp_o_f32_e32 vcc, v8, v8
	v_cndmask_b32_e32 v8, v13, v11, vcc
	v_bfe_u32 v11, v9, 16, 1
	v_add3_u32 v11, v9, v11, s25
	v_and_b32_e32 v11, 0xffff0000, v11
	v_cmp_o_f32_e32 vcc, v9, v9
	v_cndmask_b32_e32 v9, v14, v11, vcc
	v_cmp_le_i64_e32 vcc, s[8:9], v[2:3]
	v_cmp_lt_u64_e64 s[2:3], s[20:21], v[2:3]
	s_or_b64 s[2:3], vcc, s[2:3]
	v_add_co_u32_e32 v4, vcc, s23, v4
	v_addc_co_u32_e32 v1, vcc, v1, v15, vcc
	s_and_b64 s[2:3], exec, s[2:3]
	v_add_co_u32_e32 v2, vcc, s24, v2
	v_or3_b32 v9, 0, v8, v9
	v_or3_b32 v8, v10, 0, 0
	s_or_b64 s[12:13], s[2:3], s[12:13]
	v_addc_co_u32_e32 v3, vcc, v3, v16, vcc
	global_store_dwordx2 v[6:7], v[8:9], off
	s_andn2_b64 exec, exec, s[12:13]
	s_cbranch_execz .LBB43_20
.LBB43_4:                               ; =>This Inner Loop Header: Depth=1
	v_add_co_u32_e32 v6, vcc, s16, v4
	v_addc_co_u32_e32 v7, vcc, v5, v1, vcc
	v_add_co_u32_e32 v10, vcc, s14, v4
	v_addc_co_u32_e32 v11, vcc, v12, v1, vcc
	global_load_dwordx2 v[8:9], v[6:7], off
	s_and_b64 vcc, exec, s[18:19]
	global_load_dwordx2 v[10:11], v[10:11], off
	s_waitcnt vmcnt(1)
	v_lshlrev_b32_e32 v18, 16, v8
	s_waitcnt vmcnt(0)
	v_lshlrev_b32_e32 v19, 16, v10
	s_cbranch_vccz .LBB43_15
; %bb.5:                                ;   in Loop: Header=BB43_4 Depth=1
	v_mul_f32_e32 v17, v28, v19
	v_fma_f32 v17, s22, v17, v18
	s_cbranch_execnz .LBB43_7
.LBB43_6:                               ;   in Loop: Header=BB43_4 Depth=1
	v_fmac_f32_e32 v18, v28, v19
	v_mov_b32_e32 v17, v18
.LBB43_7:                               ;   in Loop: Header=BB43_4 Depth=1
	v_and_b32_e32 v19, 0xffff0000, v8
	s_and_b64 vcc, exec, s[0:1]
	v_and_b32_e32 v20, 0xffff0000, v10
	s_cbranch_vccnz .LBB43_16
; %bb.8:                                ;   in Loop: Header=BB43_4 Depth=1
	v_mul_f32_e32 v18, v28, v20
	v_fma_f32 v18, s22, v18, v19
	s_cbranch_execnz .LBB43_10
.LBB43_9:                               ;   in Loop: Header=BB43_4 Depth=1
	v_fmac_f32_e32 v19, v28, v20
	v_mov_b32_e32 v18, v19
.LBB43_10:                              ;   in Loop: Header=BB43_4 Depth=1
	v_alignbit_b32 v8, v9, v8, 16
	v_and_b32_e32 v19, 0xffff0000, v8
	v_alignbit_b32 v8, v11, v10, 16
	s_and_b64 vcc, exec, s[0:1]
	v_and_b32_e32 v10, 0xffff0000, v8
	s_cbranch_vccnz .LBB43_17
; %bb.11:                               ;   in Loop: Header=BB43_4 Depth=1
	v_mul_f32_e32 v8, v28, v10
	v_fma_f32 v8, s22, v8, v19
	s_cbranch_execnz .LBB43_13
.LBB43_12:                              ;   in Loop: Header=BB43_4 Depth=1
	v_fmac_f32_e32 v19, v28, v10
	v_mov_b32_e32 v8, v19
.LBB43_13:                              ;   in Loop: Header=BB43_4 Depth=1
	v_and_b32_e32 v10, 0xffff0000, v9
	s_and_b64 vcc, exec, s[0:1]
	v_and_b32_e32 v11, 0xffff0000, v11
	s_cbranch_vccnz .LBB43_18
; %bb.14:                               ;   in Loop: Header=BB43_4 Depth=1
	v_mul_f32_e32 v9, v28, v11
	v_fma_f32 v9, s22, v9, v10
	s_cbranch_execnz .LBB43_3
	s_branch .LBB43_19
.LBB43_15:                              ;   in Loop: Header=BB43_4 Depth=1
                                        ; implicit-def: $vgpr17
	s_branch .LBB43_6
.LBB43_16:                              ;   in Loop: Header=BB43_4 Depth=1
                                        ; implicit-def: $vgpr18
	s_branch .LBB43_9
.LBB43_17:                              ;   in Loop: Header=BB43_4 Depth=1
                                        ; implicit-def: $vgpr8
	s_branch .LBB43_12
.LBB43_18:                              ;   in Loop: Header=BB43_4 Depth=1
                                        ; implicit-def: $vgpr9
.LBB43_19:                              ;   in Loop: Header=BB43_4 Depth=1
	v_fmac_f32_e32 v10, v28, v11
	v_mov_b32_e32 v9, v10
	s_branch .LBB43_3
.LBB43_20:
	s_or_b64 exec, exec, s[10:11]
	s_mov_b64 s[0:1], 0
.LBB43_21:
	s_andn2_b64 vcc, exec, s[0:1]
	s_cbranch_vccnz .LBB43_57
; %bb.22:
	v_cmp_lt_i64_e64 s[0:1], s[8:9], 1
	s_and_b64 vcc, exec, s[0:1]
	s_cbranch_vccnz .LBB43_57
; %bb.23:
	s_load_dword s0, s[4:5], 0xc5c
	v_mov_b32_e32 v2, 0x10000
	v_mov_b32_e32 v3, 0
	v_cmp_lt_u64_e32 vcc, s[8:9], v[2:3]
	v_lshlrev_b32_e32 v10, 1, v0
	s_waitcnt lgkmcnt(0)
	s_and_b32 s19, s0, 0xffff
	s_and_b64 s[0:1], vcc, exec
	v_mov_b32_e32 v15, s17
	v_add_co_u32_e32 v2, vcc, s16, v10
	v_mov_b32_e32 v1, 0
	v_addc_co_u32_e32 v3, vcc, 0, v15, vcc
	v_mov_b32_e32 v11, v1
	v_mov_b32_e32 v17, s15
	v_add_co_u32_e32 v4, vcc, s14, v10
	v_addc_co_u32_e32 v5, vcc, 0, v17, vcc
	v_mad_u64_u32 v[8:9], s[0:1], s19, 6, v[10:11]
	v_add_co_u32_e32 v6, vcc, s16, v8
	v_addc_co_u32_e32 v7, vcc, v15, v9, vcc
	v_add_co_u32_e32 v8, vcc, s14, v8
	s_cselect_b32 s11, s9, 0
	s_cselect_b32 s10, s8, 0x10000
	s_lshl_b32 s12, s19, 2
	v_addc_co_u32_e32 v9, vcc, v17, v9, vcc
	v_add_co_u32_e32 v12, vcc, s12, v10
	v_addc_co_u32_e64 v13, s[0:1], 0, 0, vcc
	v_add_co_u32_e32 v10, vcc, s16, v12
	v_addc_co_u32_e32 v11, vcc, v15, v13, vcc
	v_add_co_u32_e32 v12, vcc, s14, v12
	v_addc_co_u32_e32 v13, vcc, v17, v13, vcc
	v_add_lshl_u32 v16, v0, s19, 1
	v_add_co_u32_e32 v14, vcc, s16, v16
	s_mov_b32 s18, 0
	v_addc_co_u32_e32 v15, vcc, 0, v15, vcc
	s_mov_b32 s13, s18
	v_add_co_u32_e32 v16, vcc, s14, v16
	v_cmp_neq_f32_e64 s[2:3], s22, 1.0
	s_mov_b64 s[4:5], 0x10000
	s_lshl_b32 s20, s19, 1
	s_mov_b32 s21, s18
	s_mul_i32 s23, s19, 3
	s_mov_b32 s24, s18
	s_lshl_b32 s25, s19, 3
	s_mov_b32 s26, s18
	v_addc_co_u32_e32 v17, vcc, 0, v17, vcc
	s_movk_i32 s27, 0x7fff
	v_mov_b32_e32 v29, 0x7fc0
	s_mov_b64 s[14:15], s[12:13]
	s_branch .LBB43_25
.LBB43_24:                              ;   in Loop: Header=BB43_25 Depth=1
	s_or_b64 exec, exec, s[0:1]
	v_pk_mov_b32 v[18:19], s[8:9], s[8:9] op_sel:[0,1]
	v_cmp_ge_i64_e32 vcc, s[14:15], v[18:19]
	v_mov_b32_e32 v18, 0xffff
	v_mov_b32_e32 v19, 0
	v_cmp_gt_u64_e64 s[0:1], s[14:15], v[18:19]
	s_or_b64 s[0:1], vcc, s[0:1]
	v_mov_b32_e32 v18, s26
	v_add_co_u32_e32 v2, vcc, s25, v2
	v_addc_co_u32_e32 v3, vcc, v3, v18, vcc
	v_add_co_u32_e32 v4, vcc, s25, v4
	v_addc_co_u32_e32 v5, vcc, v5, v18, vcc
	v_mov_b32_e32 v19, s13
	v_add_co_u32_e32 v0, vcc, s12, v0
	v_addc_co_u32_e32 v1, vcc, v1, v19, vcc
	v_add_co_u32_e32 v6, vcc, s25, v6
	v_addc_co_u32_e32 v7, vcc, v7, v18, vcc
	;; [unrolled: 2-line block ×6, first 2 shown]
	v_add_co_u32_e32 v16, vcc, s25, v16
	s_add_u32 s14, s14, s12
	v_addc_co_u32_e32 v17, vcc, v17, v18, vcc
	s_addc_u32 s15, s15, 0
	s_and_b64 vcc, exec, s[0:1]
	s_cbranch_vccnz .LBB43_57
.LBB43_25:                              ; =>This Inner Loop Header: Depth=1
	v_cmp_gt_i64_e32 vcc, s[8:9], v[0:1]
	v_cmp_gt_u64_e64 s[0:1], s[4:5], v[0:1]
	v_pk_mov_b32 v[22:23], 0, 0
	s_and_b64 s[16:17], vcc, s[0:1]
	v_pk_mov_b32 v[24:25], v[22:23], v[22:23] op_sel:[0,1]
	s_and_saveexec_b64 s[0:1], s[16:17]
	s_cbranch_execz .LBB43_27
; %bb.26:                               ;   in Loop: Header=BB43_25 Depth=1
	v_mov_b32_e32 v21, s7
	v_add_co_u32_e32 v18, vcc, s6, v2
	v_addc_co_u32_e32 v19, vcc, v3, v21, vcc
	v_add_co_u32_e32 v20, vcc, s6, v4
	v_addc_co_u32_e32 v21, vcc, v5, v21, vcc
	global_load_ushort v22, v[18:19], off
	global_load_ushort v23, v[20:21], off
	v_mov_b32_e32 v25, s18
	s_waitcnt vmcnt(1)
	v_and_b32_e32 v24, 0xffff, v22
	s_waitcnt vmcnt(0)
	v_and_b32_e32 v22, 0xffff, v23
	v_mov_b32_e32 v23, s18
.LBB43_27:                              ;   in Loop: Header=BB43_25 Depth=1
	s_or_b64 exec, exec, s[0:1]
	v_mov_b32_e32 v19, s18
	v_add_co_u32_e32 v18, vcc, s19, v0
	v_addc_co_u32_e32 v19, vcc, v19, v1, vcc
	v_cmp_gt_i64_e32 vcc, s[8:9], v[18:19]
	v_cmp_gt_u64_e64 s[0:1], s[4:5], v[18:19]
	s_and_b64 s[16:17], vcc, s[0:1]
	s_and_saveexec_b64 s[0:1], s[16:17]
	s_cbranch_execz .LBB43_29
; %bb.28:                               ;   in Loop: Header=BB43_25 Depth=1
	v_mov_b32_e32 v27, s7
	v_add_co_u32_e32 v20, vcc, s6, v16
	v_addc_co_u32_e32 v21, vcc, v17, v27, vcc
	v_add_co_u32_e32 v26, vcc, s6, v14
	v_addc_co_u32_e32 v27, vcc, v15, v27, vcc
	global_load_ushort v30, v[26:27], off
	global_load_ushort v31, v[20:21], off
	s_waitcnt vmcnt(1)
	v_lshl_or_b32 v24, v30, 16, v24
	s_waitcnt vmcnt(0)
	v_lshl_or_b32 v22, v31, 16, v22
.LBB43_29:                              ;   in Loop: Header=BB43_25 Depth=1
	s_or_b64 exec, exec, s[0:1]
	v_mov_b32_e32 v21, s21
	v_add_co_u32_e32 v20, vcc, s20, v0
	v_addc_co_u32_e32 v21, vcc, v21, v1, vcc
	v_cmp_gt_i64_e32 vcc, s[8:9], v[20:21]
	v_cmp_gt_u64_e64 s[0:1], s[4:5], v[20:21]
	s_and_b64 s[16:17], vcc, s[0:1]
	s_and_saveexec_b64 s[0:1], s[16:17]
	s_cbranch_execz .LBB43_31
; %bb.30:                               ;   in Loop: Header=BB43_25 Depth=1
	v_mov_b32_e32 v31, s7
	v_add_co_u32_e32 v26, vcc, s6, v12
	v_addc_co_u32_e32 v27, vcc, v13, v31, vcc
	v_add_co_u32_e32 v30, vcc, s6, v10
	v_addc_co_u32_e32 v31, vcc, v11, v31, vcc
	global_load_ushort v32, v[30:31], off
	global_load_ushort v33, v[26:27], off
	s_waitcnt vmcnt(1)
	v_or_b32_e32 v25, v32, v25
	s_waitcnt vmcnt(0)
	v_or_b32_e32 v23, v33, v23
.LBB43_31:                              ;   in Loop: Header=BB43_25 Depth=1
	s_or_b64 exec, exec, s[0:1]
	v_mov_b32_e32 v27, s24
	v_add_co_u32_e32 v26, vcc, s23, v0
	v_addc_co_u32_e32 v27, vcc, v27, v1, vcc
	v_cmp_gt_i64_e32 vcc, s[8:9], v[26:27]
	v_cmp_gt_u64_e64 s[0:1], s[4:5], v[26:27]
	s_and_b64 s[16:17], vcc, s[0:1]
	s_and_saveexec_b64 s[0:1], s[16:17]
	s_cbranch_execz .LBB43_33
; %bb.32:                               ;   in Loop: Header=BB43_25 Depth=1
	v_mov_b32_e32 v33, s7
	v_add_co_u32_e32 v30, vcc, s6, v8
	v_addc_co_u32_e32 v31, vcc, v9, v33, vcc
	v_add_co_u32_e32 v32, vcc, s6, v6
	v_addc_co_u32_e32 v33, vcc, v7, v33, vcc
	global_load_ushort v34, v[32:33], off
	global_load_ushort v35, v[30:31], off
	s_waitcnt vmcnt(1)
	v_lshlrev_b32_e32 v30, 16, v34
	s_waitcnt vmcnt(0)
	v_lshlrev_b32_e32 v31, 16, v35
	v_or_b32_e32 v25, v30, v25
	v_or_b32_e32 v23, v31, v23
.LBB43_33:                              ;   in Loop: Header=BB43_25 Depth=1
	s_or_b64 exec, exec, s[0:1]
	v_lshlrev_b32_e32 v31, 16, v24
	v_lshlrev_b32_e32 v32, 16, v22
	s_and_b64 vcc, exec, s[2:3]
	s_cbranch_vccz .LBB43_53
; %bb.34:                               ;   in Loop: Header=BB43_25 Depth=1
	v_mul_f32_e32 v30, v28, v32
	v_fma_f32 v30, s22, v30, v31
	s_cbranch_execnz .LBB43_36
.LBB43_35:                              ;   in Loop: Header=BB43_25 Depth=1
	v_fmac_f32_e32 v31, v28, v32
	v_mov_b32_e32 v30, v31
.LBB43_36:                              ;   in Loop: Header=BB43_25 Depth=1
	v_cndmask_b32_e64 v31, 0, 1, s[2:3]
	v_and_b32_e32 v32, 0xffff0000, v24
	v_cmp_ne_u32_e64 s[0:1], 1, v31
	s_andn2_b64 vcc, exec, s[2:3]
	v_and_b32_e32 v33, 0xffff0000, v22
	s_cbranch_vccnz .LBB43_54
; %bb.37:                               ;   in Loop: Header=BB43_25 Depth=1
	v_mul_f32_e32 v31, v28, v33
	v_fma_f32 v31, s22, v31, v32
	s_cbranch_execnz .LBB43_39
.LBB43_38:                              ;   in Loop: Header=BB43_25 Depth=1
	v_fmac_f32_e32 v32, v28, v33
	v_mov_b32_e32 v31, v32
.LBB43_39:                              ;   in Loop: Header=BB43_25 Depth=1
	v_alignbit_b32 v24, v25, v24, 16
	v_alignbit_b32 v22, v23, v22, 16
	v_and_b32_e32 v24, 0xffff0000, v24
	s_and_b64 vcc, exec, s[0:1]
	v_and_b32_e32 v32, 0xffff0000, v22
	s_cbranch_vccnz .LBB43_55
; %bb.40:                               ;   in Loop: Header=BB43_25 Depth=1
	v_mul_f32_e32 v22, v28, v32
	v_fma_f32 v22, s22, v22, v24
	s_cbranch_execnz .LBB43_42
.LBB43_41:                              ;   in Loop: Header=BB43_25 Depth=1
	v_fmac_f32_e32 v24, v28, v32
	v_mov_b32_e32 v22, v24
.LBB43_42:                              ;   in Loop: Header=BB43_25 Depth=1
	v_and_b32_e32 v24, 0xffff0000, v25
	s_and_b64 vcc, exec, s[0:1]
	v_and_b32_e32 v25, 0xffff0000, v23
	s_cbranch_vccnz .LBB43_56
; %bb.43:                               ;   in Loop: Header=BB43_25 Depth=1
	v_mul_f32_e32 v23, v28, v25
	v_fma_f32 v23, s22, v23, v24
	s_cbranch_execnz .LBB43_45
.LBB43_44:                              ;   in Loop: Header=BB43_25 Depth=1
	v_fmac_f32_e32 v24, v28, v25
	v_mov_b32_e32 v23, v24
.LBB43_45:                              ;   in Loop: Header=BB43_25 Depth=1
	v_cmp_gt_u64_e32 vcc, s[10:11], v[0:1]
	s_and_saveexec_b64 s[0:1], vcc
	s_xor_b64 s[0:1], exec, s[0:1]
	s_cbranch_execz .LBB43_47
; %bb.46:                               ;   in Loop: Header=BB43_25 Depth=1
	v_bfe_u32 v24, v30, 16, 1
	v_add3_u32 v24, v30, v24, s27
	v_lshrrev_b32_e32 v24, 16, v24
	v_cmp_o_f32_e32 vcc, v30, v30
	v_cndmask_b32_e32 v30, v29, v24, vcc
	v_mov_b32_e32 v25, s7
	v_add_co_u32_e32 v24, vcc, s6, v2
	v_addc_co_u32_e32 v25, vcc, v3, v25, vcc
	global_store_short v[24:25], v30, off
.LBB43_47:                              ;   in Loop: Header=BB43_25 Depth=1
	s_or_b64 exec, exec, s[0:1]
	v_cmp_gt_u64_e32 vcc, s[10:11], v[18:19]
	s_and_saveexec_b64 s[0:1], vcc
	s_cbranch_execnz .LBB43_50
; %bb.48:                               ;   in Loop: Header=BB43_25 Depth=1
	s_or_b64 exec, exec, s[0:1]
	v_cmp_gt_u64_e32 vcc, s[10:11], v[20:21]
	s_and_saveexec_b64 s[0:1], vcc
	s_cbranch_execnz .LBB43_51
.LBB43_49:                              ;   in Loop: Header=BB43_25 Depth=1
	s_or_b64 exec, exec, s[0:1]
	v_cmp_gt_u64_e32 vcc, s[10:11], v[26:27]
	s_and_saveexec_b64 s[0:1], vcc
	s_cbranch_execz .LBB43_24
	s_branch .LBB43_52
.LBB43_50:                              ;   in Loop: Header=BB43_25 Depth=1
	v_bfe_u32 v18, v31, 16, 1
	v_add3_u32 v18, v31, v18, s27
	v_lshrrev_b32_e32 v18, 16, v18
	v_cmp_o_f32_e32 vcc, v31, v31
	v_cndmask_b32_e32 v24, v29, v18, vcc
	v_mov_b32_e32 v19, s7
	v_add_co_u32_e32 v18, vcc, s6, v14
	v_addc_co_u32_e32 v19, vcc, v15, v19, vcc
	global_store_short v[18:19], v24, off
	s_or_b64 exec, exec, s[0:1]
	v_cmp_gt_u64_e32 vcc, s[10:11], v[20:21]
	s_and_saveexec_b64 s[0:1], vcc
	s_cbranch_execz .LBB43_49
.LBB43_51:                              ;   in Loop: Header=BB43_25 Depth=1
	v_bfe_u32 v18, v22, 16, 1
	v_add3_u32 v18, v22, v18, s27
	v_lshrrev_b32_e32 v18, 16, v18
	v_cmp_o_f32_e32 vcc, v22, v22
	v_cndmask_b32_e32 v20, v29, v18, vcc
	v_mov_b32_e32 v19, s7
	v_add_co_u32_e32 v18, vcc, s6, v10
	v_addc_co_u32_e32 v19, vcc, v11, v19, vcc
	global_store_short v[18:19], v20, off
	s_or_b64 exec, exec, s[0:1]
	v_cmp_gt_u64_e32 vcc, s[10:11], v[26:27]
	s_and_saveexec_b64 s[0:1], vcc
	s_cbranch_execz .LBB43_24
.LBB43_52:                              ;   in Loop: Header=BB43_25 Depth=1
	v_bfe_u32 v18, v23, 16, 1
	v_add3_u32 v18, v23, v18, s27
	v_lshrrev_b32_e32 v18, 16, v18
	v_cmp_o_f32_e32 vcc, v23, v23
	v_cndmask_b32_e32 v20, v29, v18, vcc
	v_mov_b32_e32 v19, s7
	v_add_co_u32_e32 v18, vcc, s6, v6
	v_addc_co_u32_e32 v19, vcc, v7, v19, vcc
	global_store_short v[18:19], v20, off
	s_branch .LBB43_24
.LBB43_53:                              ;   in Loop: Header=BB43_25 Depth=1
                                        ; implicit-def: $vgpr30
	s_branch .LBB43_35
.LBB43_54:                              ;   in Loop: Header=BB43_25 Depth=1
                                        ; implicit-def: $vgpr31
	s_branch .LBB43_38
.LBB43_55:                              ;   in Loop: Header=BB43_25 Depth=1
                                        ; implicit-def: $vgpr22
	s_branch .LBB43_41
.LBB43_56:                              ;   in Loop: Header=BB43_25 Depth=1
                                        ; implicit-def: $vgpr23
	s_branch .LBB43_44
.LBB43_57:
	s_endpgm
	.section	.rodata,"a",@progbits
	.p2align	6, 0x0
	.amdhsa_kernel _ZN2at6native12_GLOBAL__N_125multi_tensor_apply_kernelINS1_18TensorListMetadataILi3EEENS1_32PointwiseOpScalar0dTensorFunctorIN3c108BFloat16ELi3ELi2ELi0EEEJSt10multipliesIfEfEEEvT_T0_DpT1_
		.amdhsa_group_segment_fixed_size 0
		.amdhsa_private_segment_fixed_size 0
		.amdhsa_kernarg_size 3408
		.amdhsa_user_sgpr_count 6
		.amdhsa_user_sgpr_private_segment_buffer 1
		.amdhsa_user_sgpr_dispatch_ptr 0
		.amdhsa_user_sgpr_queue_ptr 0
		.amdhsa_user_sgpr_kernarg_segment_ptr 1
		.amdhsa_user_sgpr_dispatch_id 0
		.amdhsa_user_sgpr_flat_scratch_init 0
		.amdhsa_user_sgpr_kernarg_preload_length 0
		.amdhsa_user_sgpr_kernarg_preload_offset 0
		.amdhsa_user_sgpr_private_segment_size 0
		.amdhsa_uses_dynamic_stack 0
		.amdhsa_system_sgpr_private_segment_wavefront_offset 0
		.amdhsa_system_sgpr_workgroup_id_x 1
		.amdhsa_system_sgpr_workgroup_id_y 0
		.amdhsa_system_sgpr_workgroup_id_z 0
		.amdhsa_system_sgpr_workgroup_info 0
		.amdhsa_system_vgpr_workitem_id 0
		.amdhsa_next_free_vgpr 36
		.amdhsa_next_free_sgpr 28
		.amdhsa_accum_offset 36
		.amdhsa_reserve_vcc 1
		.amdhsa_reserve_flat_scratch 0
		.amdhsa_float_round_mode_32 0
		.amdhsa_float_round_mode_16_64 0
		.amdhsa_float_denorm_mode_32 3
		.amdhsa_float_denorm_mode_16_64 3
		.amdhsa_dx10_clamp 1
		.amdhsa_ieee_mode 1
		.amdhsa_fp16_overflow 0
		.amdhsa_tg_split 0
		.amdhsa_exception_fp_ieee_invalid_op 0
		.amdhsa_exception_fp_denorm_src 0
		.amdhsa_exception_fp_ieee_div_zero 0
		.amdhsa_exception_fp_ieee_overflow 0
		.amdhsa_exception_fp_ieee_underflow 0
		.amdhsa_exception_fp_ieee_inexact 0
		.amdhsa_exception_int_div_zero 0
	.end_amdhsa_kernel
	.section	.text._ZN2at6native12_GLOBAL__N_125multi_tensor_apply_kernelINS1_18TensorListMetadataILi3EEENS1_32PointwiseOpScalar0dTensorFunctorIN3c108BFloat16ELi3ELi2ELi0EEEJSt10multipliesIfEfEEEvT_T0_DpT1_,"axG",@progbits,_ZN2at6native12_GLOBAL__N_125multi_tensor_apply_kernelINS1_18TensorListMetadataILi3EEENS1_32PointwiseOpScalar0dTensorFunctorIN3c108BFloat16ELi3ELi2ELi0EEEJSt10multipliesIfEfEEEvT_T0_DpT1_,comdat
.Lfunc_end43:
	.size	_ZN2at6native12_GLOBAL__N_125multi_tensor_apply_kernelINS1_18TensorListMetadataILi3EEENS1_32PointwiseOpScalar0dTensorFunctorIN3c108BFloat16ELi3ELi2ELi0EEEJSt10multipliesIfEfEEEvT_T0_DpT1_, .Lfunc_end43-_ZN2at6native12_GLOBAL__N_125multi_tensor_apply_kernelINS1_18TensorListMetadataILi3EEENS1_32PointwiseOpScalar0dTensorFunctorIN3c108BFloat16ELi3ELi2ELi0EEEJSt10multipliesIfEfEEEvT_T0_DpT1_
                                        ; -- End function
	.section	.AMDGPU.csdata,"",@progbits
; Kernel info:
; codeLenInByte = 2152
; NumSgprs: 32
; NumVgprs: 36
; NumAgprs: 0
; TotalNumVgprs: 36
; ScratchSize: 0
; MemoryBound: 0
; FloatMode: 240
; IeeeMode: 1
; LDSByteSize: 0 bytes/workgroup (compile time only)
; SGPRBlocks: 3
; VGPRBlocks: 4
; NumSGPRsForWavesPerEU: 32
; NumVGPRsForWavesPerEU: 36
; AccumOffset: 36
; Occupancy: 8
; WaveLimiterHint : 0
; COMPUTE_PGM_RSRC2:SCRATCH_EN: 0
; COMPUTE_PGM_RSRC2:USER_SGPR: 6
; COMPUTE_PGM_RSRC2:TRAP_HANDLER: 0
; COMPUTE_PGM_RSRC2:TGID_X_EN: 1
; COMPUTE_PGM_RSRC2:TGID_Y_EN: 0
; COMPUTE_PGM_RSRC2:TGID_Z_EN: 0
; COMPUTE_PGM_RSRC2:TIDIG_COMP_CNT: 0
; COMPUTE_PGM_RSRC3_GFX90A:ACCUM_OFFSET: 8
; COMPUTE_PGM_RSRC3_GFX90A:TG_SPLIT: 0
	.section	.text._ZN2at6native12_GLOBAL__N_125multi_tensor_apply_kernelINS1_18TensorListMetadataILi4EEENS1_24PointwiseOpScalarFunctorIhLi4ELi3ELi3EEEJSt7dividesIhEhEEEvT_T0_DpT1_,"axG",@progbits,_ZN2at6native12_GLOBAL__N_125multi_tensor_apply_kernelINS1_18TensorListMetadataILi4EEENS1_24PointwiseOpScalarFunctorIhLi4ELi3ELi3EEEJSt7dividesIhEhEEEvT_T0_DpT1_,comdat
	.globl	_ZN2at6native12_GLOBAL__N_125multi_tensor_apply_kernelINS1_18TensorListMetadataILi4EEENS1_24PointwiseOpScalarFunctorIhLi4ELi3ELi3EEEJSt7dividesIhEhEEEvT_T0_DpT1_ ; -- Begin function _ZN2at6native12_GLOBAL__N_125multi_tensor_apply_kernelINS1_18TensorListMetadataILi4EEENS1_24PointwiseOpScalarFunctorIhLi4ELi3ELi3EEEJSt7dividesIhEhEEEvT_T0_DpT1_
	.p2align	8
	.type	_ZN2at6native12_GLOBAL__N_125multi_tensor_apply_kernelINS1_18TensorListMetadataILi4EEENS1_24PointwiseOpScalarFunctorIhLi4ELi3ELi3EEEJSt7dividesIhEhEEEvT_T0_DpT1_,@function
_ZN2at6native12_GLOBAL__N_125multi_tensor_apply_kernelINS1_18TensorListMetadataILi4EEENS1_24PointwiseOpScalarFunctorIhLi4ELi3ELi3EEEJSt7dividesIhEhEEEvT_T0_DpT1_: ; @_ZN2at6native12_GLOBAL__N_125multi_tensor_apply_kernelINS1_18TensorListMetadataILi4EEENS1_24PointwiseOpScalarFunctorIhLi4ELi3ELi3EEEJSt7dividesIhEhEEEvT_T0_DpT1_
; %bb.0:
	v_mov_b32_e32 v1, s6
	global_load_ubyte v1, v1, s[4:5] offset:1440
	s_add_u32 s0, s4, s6
	s_mul_hi_u32 s1, s6, 3
	s_mul_i32 s6, s6, 3
	s_addc_u32 s2, s5, 0
	s_add_u32 s0, s0, s6
	s_addc_u32 s1, s2, s1
	s_load_dword s0, s[0:1], 0x6e0
	s_mov_b32 s15, 0
	s_waitcnt lgkmcnt(0)
	s_ashr_i32 s1, s0, 31
	s_lshl_b64 s[16:17], s[0:1], 16
	s_waitcnt vmcnt(0)
	v_readfirstlane_b32 s0, v1
	s_lshl_b32 s10, s0, 3
	s_load_dwordx2 s[0:1], s[4:5], s10 offset:0x0
	s_load_dword s23, s[4:5], 0xbe8
	s_load_dwordx2 s[18:19], s[4:5], s10 offset:0x480
	s_load_dwordx2 s[2:3], s[4:5], s10 offset:0x120
	;; [unrolled: 1-line block ×4, first 2 shown]
	s_waitcnt lgkmcnt(0)
	s_add_u32 s10, s0, s16
	s_addc_u32 s11, s1, s17
	s_add_u32 s20, s2, s16
	s_addc_u32 s24, s3, s17
	s_and_b32 s14, s20, 3
	s_cmp_eq_u64 s[14:15], 0
	s_cselect_b64 s[12:13], -1, 0
	s_add_u32 s21, s6, s16
	s_addc_u32 s25, s7, s17
	s_add_u32 s22, s8, s16
	s_addc_u32 s26, s9, s17
	s_or_b32 s14, s22, s21
	s_and_b32 s14, s14, 3
	s_cmp_eq_u32 s14, 0
	s_cselect_b64 s[28:29], -1, 0
	s_and_b64 s[28:29], s[28:29], s[12:13]
	s_sub_u32 s12, s18, s16
	s_subb_u32 s13, s19, s17
	s_or_b64 s[18:19], s[18:19], s[10:11]
	s_and_b32 s14, s18, 3
	s_cmp_eq_u64 s[14:15], 0
	s_cselect_b64 s[14:15], -1, 0
	s_and_b64 s[18:19], s[28:29], s[14:15]
	s_mov_b64 s[14:15], -1
	s_and_b64 vcc, exec, s[18:19]
	s_cbranch_vccnz .LBB44_29
; %bb.1:
	v_cmp_lt_i64_e64 s[14:15], s[12:13], 1
	s_and_b64 vcc, exec, s[14:15]
	s_cbranch_vccnz .LBB44_28
; %bb.2:
	s_load_dword s14, s[4:5], 0xbfc
	v_mov_b32_e32 v2, 0x10000
	v_mov_b32_e32 v3, 0
	v_cmp_lt_u64_e32 vcc, s[12:13], v[2:3]
	v_mov_b32_e32 v1, s17
	s_waitcnt lgkmcnt(0)
	s_and_b32 s28, s14, 0xffff
	s_and_b64 s[14:15], vcc, exec
	v_add_co_u32_e32 v29, vcc, s16, v0
	v_addc_co_u32_e32 v30, vcc, 0, v1, vcc
	v_mov_b32_e32 v31, s1
	v_add_co_u32_e32 v1, vcc, s0, v29
	v_addc_co_u32_e32 v2, vcc, v31, v30, vcc
	v_mov_b32_e32 v32, s3
	;; [unrolled: 3-line block ×3, first 2 shown]
	v_add_co_u32_e32 v5, vcc, s6, v29
	s_cselect_b32 s15, s13, 0
	s_cselect_b32 s14, s12, 0x10000
	s_lshl_b32 s29, s28, 1
	s_mul_i32 s18, s28, 3
	s_lshl_b32 s27, s28, 2
	v_addc_co_u32_e32 v6, vcc, v34, v30, vcc
	v_mov_b32_e32 v36, s9
	v_add_co_u32_e32 v7, vcc, s8, v29
	s_add_u32 s1, s16, s18
	v_addc_co_u32_e32 v8, vcc, v36, v30, vcc
	s_addc_u32 s3, s17, 0
	v_mov_b32_e32 v9, s3
	v_add_co_u32_e32 v15, vcc, s1, v0
	v_addc_co_u32_e32 v16, vcc, 0, v9, vcc
	v_add_co_u32_e32 v9, vcc, s0, v15
	v_addc_co_u32_e32 v10, vcc, v31, v16, vcc
	;; [unrolled: 2-line block ×5, first 2 shown]
	s_add_u32 s1, s16, s29
	v_add_co_u32_e32 v17, vcc, s18, v0
	s_addc_u32 s3, s17, 0
	v_addc_co_u32_e64 v18, s[18:19], 0, 0, vcc
	v_mov_b32_e32 v19, s3
	v_add_co_u32_e32 v25, vcc, s1, v0
	v_addc_co_u32_e32 v26, vcc, 0, v19, vcc
	v_add_co_u32_e32 v19, vcc, s0, v25
	v_addc_co_u32_e32 v20, vcc, v31, v26, vcc
	;; [unrolled: 2-line block ×5, first 2 shown]
	v_add_co_u32_e32 v27, vcc, s29, v0
	v_addc_co_u32_e64 v28, s[16:17], 0, 0, vcc
	v_add_co_u32_e32 v35, vcc, s28, v29
	v_addc_co_u32_e32 v37, vcc, 0, v30, vcc
	v_add_co_u32_e32 v29, vcc, s0, v35
	v_addc_co_u32_e32 v30, vcc, v31, v37, vcc
	;; [unrolled: 2-line block ×5, first 2 shown]
	v_add_co_u32_e32 v37, vcc, s28, v0
	v_addc_co_u32_e64 v38, s[0:1], 0, 0, vcc
	s_mov_b64 s[16:17], 0
	s_lshr_b32 s28, s23, 16
	s_branch .LBB44_4
.LBB44_3:                               ;   in Loop: Header=BB44_4 Depth=1
	s_or_b64 exec, exec, s[0:1]
	s_add_u32 s16, s16, s27
	s_addc_u32 s17, s17, 0
	s_waitcnt vmcnt(0)
	v_pk_mov_b32 v[40:41], s[12:13], s[12:13] op_sel:[0,1]
	v_cmp_lt_i64_e32 vcc, s[16:17], v[40:41]
	v_mov_b32_e32 v40, 0x10000
	v_mov_b32_e32 v41, 0
	v_cmp_lt_u64_e64 s[0:1], s[16:17], v[40:41]
	s_and_b64 s[0:1], vcc, s[0:1]
	s_and_b64 vcc, exec, s[0:1]
	s_cbranch_vccz .LBB44_28
.LBB44_4:                               ; =>This Inner Loop Header: Depth=1
	v_mov_b32_e32 v39, s17
	v_add_co_u32_e32 v40, vcc, s16, v0
	v_addc_co_u32_e32 v41, vcc, 0, v39, vcc
	v_cmp_gt_u64_e32 vcc, s[14:15], v[40:41]
	v_mov_b32_e32 v40, 0
	v_mov_b32_e32 v41, 0
	s_and_saveexec_b64 s[2:3], vcc
	s_cbranch_execz .LBB44_6
; %bb.5:                                ;   in Loop: Header=BB44_4 Depth=1
	v_mov_b32_e32 v39, s17
	v_add_co_u32_e64 v42, s[0:1], s16, v1
	v_addc_co_u32_e64 v43, s[0:1], v2, v39, s[0:1]
	v_add_co_u32_e64 v44, s[0:1], s16, v3
	v_addc_co_u32_e64 v45, s[0:1], v4, v39, s[0:1]
	global_load_ubyte v40, v[42:43], off
	global_load_ubyte v41, v[44:45], off
.LBB44_6:                               ;   in Loop: Header=BB44_4 Depth=1
	s_or_b64 exec, exec, s[2:3]
	v_mov_b32_e32 v39, 0
	v_mov_b32_e32 v43, 0
	s_and_saveexec_b64 s[2:3], vcc
	s_cbranch_execz .LBB44_8
; %bb.7:                                ;   in Loop: Header=BB44_4 Depth=1
	v_mov_b32_e32 v43, s17
	v_add_co_u32_e64 v42, s[0:1], s16, v5
	v_addc_co_u32_e64 v43, s[0:1], v6, v43, s[0:1]
	global_load_ubyte v43, v[42:43], off
.LBB44_8:                               ;   in Loop: Header=BB44_4 Depth=1
	s_or_b64 exec, exec, s[2:3]
	v_mov_b32_e32 v42, s17
	v_add_co_u32_e64 v44, s[0:1], s16, v37
	v_addc_co_u32_e64 v45, s[0:1], v38, v42, s[0:1]
	v_cmp_gt_u64_e64 s[0:1], s[14:15], v[44:45]
	v_mov_b32_e32 v45, 0
	s_and_saveexec_b64 s[6:7], s[0:1]
	s_cbranch_execz .LBB44_10
; %bb.9:                                ;   in Loop: Header=BB44_4 Depth=1
	v_mov_b32_e32 v39, s17
	v_add_co_u32_e64 v46, s[2:3], s16, v31
	v_addc_co_u32_e64 v47, s[2:3], v32, v39, s[2:3]
	v_add_co_u32_e64 v48, s[2:3], s16, v29
	v_addc_co_u32_e64 v49, s[2:3], v30, v39, s[2:3]
	global_load_ubyte v39, v[48:49], off
	global_load_ubyte v45, v[46:47], off
.LBB44_10:                              ;   in Loop: Header=BB44_4 Depth=1
	s_or_b64 exec, exec, s[6:7]
	v_mov_b32_e32 v42, 0
	v_mov_b32_e32 v47, 0
	s_and_saveexec_b64 s[6:7], s[0:1]
	s_cbranch_execz .LBB44_12
; %bb.11:                               ;   in Loop: Header=BB44_4 Depth=1
	v_mov_b32_e32 v44, s17
	v_add_co_u32_e64 v46, s[2:3], s16, v33
	v_addc_co_u32_e64 v47, s[2:3], v34, v44, s[2:3]
	global_load_ubyte v47, v[46:47], off
.LBB44_12:                              ;   in Loop: Header=BB44_4 Depth=1
	s_or_b64 exec, exec, s[6:7]
	v_mov_b32_e32 v44, s17
	v_add_co_u32_e64 v48, s[2:3], s16, v27
	v_addc_co_u32_e64 v49, s[2:3], v28, v44, s[2:3]
	v_cmp_gt_u64_e64 s[2:3], s[14:15], v[48:49]
	v_mov_b32_e32 v46, 0
	s_and_saveexec_b64 s[8:9], s[2:3]
	s_cbranch_execz .LBB44_14
; %bb.13:                               ;   in Loop: Header=BB44_4 Depth=1
	v_mov_b32_e32 v42, s17
	v_add_co_u32_e64 v48, s[6:7], s16, v21
	v_addc_co_u32_e64 v49, s[6:7], v22, v42, s[6:7]
	v_add_co_u32_e64 v50, s[6:7], s16, v19
	v_addc_co_u32_e64 v51, s[6:7], v20, v42, s[6:7]
	global_load_ubyte v42, v[50:51], off
	global_load_ubyte v46, v[48:49], off
.LBB44_14:                              ;   in Loop: Header=BB44_4 Depth=1
	s_or_b64 exec, exec, s[8:9]
	v_mov_b32_e32 v44, 0
	v_mov_b32_e32 v49, 0
	s_and_saveexec_b64 s[8:9], s[2:3]
	s_cbranch_execz .LBB44_16
; %bb.15:                               ;   in Loop: Header=BB44_4 Depth=1
	v_mov_b32_e32 v49, s17
	v_add_co_u32_e64 v48, s[6:7], s16, v23
	v_addc_co_u32_e64 v49, s[6:7], v24, v49, s[6:7]
	global_load_ubyte v49, v[48:49], off
.LBB44_16:                              ;   in Loop: Header=BB44_4 Depth=1
	s_or_b64 exec, exec, s[8:9]
	v_mov_b32_e32 v48, s17
	v_add_co_u32_e64 v50, s[6:7], s16, v17
	v_addc_co_u32_e64 v51, s[6:7], v18, v48, s[6:7]
	v_cmp_gt_u64_e64 s[6:7], s[14:15], v[50:51]
	v_mov_b32_e32 v48, 0
	s_and_saveexec_b64 s[18:19], s[6:7]
	s_cbranch_execnz .LBB44_22
; %bb.17:                               ;   in Loop: Header=BB44_4 Depth=1
	s_or_b64 exec, exec, s[18:19]
	v_mov_b32_e32 v50, 0
	s_and_saveexec_b64 s[18:19], s[6:7]
	s_cbranch_execnz .LBB44_23
.LBB44_18:                              ;   in Loop: Header=BB44_4 Depth=1
	s_or_b64 exec, exec, s[18:19]
	s_and_saveexec_b64 s[8:9], vcc
	s_cbranch_execnz .LBB44_24
.LBB44_19:                              ;   in Loop: Header=BB44_4 Depth=1
	s_or_b64 exec, exec, s[8:9]
	s_and_saveexec_b64 s[8:9], s[0:1]
	s_cbranch_execnz .LBB44_25
.LBB44_20:                              ;   in Loop: Header=BB44_4 Depth=1
	s_or_b64 exec, exec, s[8:9]
	s_and_saveexec_b64 s[0:1], s[2:3]
	s_cbranch_execnz .LBB44_26
.LBB44_21:                              ;   in Loop: Header=BB44_4 Depth=1
	s_or_b64 exec, exec, s[0:1]
	s_and_saveexec_b64 s[0:1], s[6:7]
	s_cbranch_execz .LBB44_3
	s_branch .LBB44_27
.LBB44_22:                              ;   in Loop: Header=BB44_4 Depth=1
	v_mov_b32_e32 v44, s17
	v_add_co_u32_e64 v50, s[8:9], s16, v11
	v_addc_co_u32_e64 v51, s[8:9], v12, v44, s[8:9]
	v_add_co_u32_e64 v52, s[8:9], s16, v9
	v_addc_co_u32_e64 v53, s[8:9], v10, v44, s[8:9]
	global_load_ubyte v44, v[52:53], off
	global_load_ubyte v48, v[50:51], off
	s_or_b64 exec, exec, s[18:19]
	v_mov_b32_e32 v50, 0
	s_and_saveexec_b64 s[18:19], s[6:7]
	s_cbranch_execz .LBB44_18
.LBB44_23:                              ;   in Loop: Header=BB44_4 Depth=1
	v_mov_b32_e32 v51, s17
	v_add_co_u32_e64 v50, s[8:9], s16, v13
	v_addc_co_u32_e64 v51, s[8:9], v14, v51, s[8:9]
	global_load_ubyte v50, v[50:51], off
	s_or_b64 exec, exec, s[18:19]
	s_and_saveexec_b64 s[8:9], vcc
	s_cbranch_execz .LBB44_19
.LBB44_24:                              ;   in Loop: Header=BB44_4 Depth=1
	s_waitcnt vmcnt(0)
	v_cvt_f32_ubyte0_e32 v43, v43
	v_rcp_iflag_f32_e32 v54, v43
	v_mov_b32_e32 v51, s17
	v_add_co_u32_e32 v52, vcc, s16, v7
	v_cvt_f32_ubyte0_e32 v41, v41
	v_addc_co_u32_e32 v53, vcc, v8, v51, vcc
	v_mul_f32_e32 v51, v41, v54
	v_trunc_f32_e32 v51, v51
	v_cvt_u32_f32_e32 v54, v51
	v_mad_f32 v41, -v51, v43, v41
	v_cmp_ge_f32_e64 vcc, |v41|, v43
	v_addc_co_u32_e32 v41, vcc, 0, v54, vcc
	v_mad_legacy_u16 v40, v41, s28, v40
	global_store_byte v[52:53], v40, off
	s_or_b64 exec, exec, s[8:9]
	s_and_saveexec_b64 s[8:9], s[0:1]
	s_cbranch_execz .LBB44_20
.LBB44_25:                              ;   in Loop: Header=BB44_4 Depth=1
	s_waitcnt vmcnt(0)
	v_cvt_f32_ubyte0_e32 v40, v47
	v_rcp_iflag_f32_e32 v41, v40
	v_cvt_f32_ubyte0_e32 v43, v45
	v_mov_b32_e32 v45, s17
	v_mul_f32_e32 v41, v43, v41
	v_trunc_f32_e32 v41, v41
	v_cvt_u32_f32_e32 v47, v41
	v_mad_f32 v41, -v41, v40, v43
	v_cmp_ge_f32_e64 vcc, |v41|, v40
	v_addc_co_u32_e32 v40, vcc, 0, v47, vcc
	v_mad_legacy_u16 v39, v40, s28, v39
	v_add_co_u32_e32 v40, vcc, s16, v35
	v_addc_co_u32_e32 v41, vcc, v36, v45, vcc
	global_store_byte v[40:41], v39, off
	s_or_b64 exec, exec, s[8:9]
	s_and_saveexec_b64 s[0:1], s[2:3]
	s_cbranch_execz .LBB44_21
.LBB44_26:                              ;   in Loop: Header=BB44_4 Depth=1
	s_waitcnt vmcnt(0)
	v_cvt_f32_ubyte0_e32 v39, v49
	v_rcp_iflag_f32_e32 v40, v39
	v_cvt_f32_ubyte0_e32 v41, v46
	v_mov_b32_e32 v43, s17
	v_mul_f32_e32 v40, v41, v40
	v_trunc_f32_e32 v40, v40
	v_cvt_u32_f32_e32 v45, v40
	v_mad_f32 v40, -v40, v39, v41
	v_cmp_ge_f32_e64 vcc, |v40|, v39
	v_addc_co_u32_e32 v39, vcc, 0, v45, vcc
	v_add_co_u32_e32 v40, vcc, s16, v25
	v_mad_legacy_u16 v39, v39, s28, v42
	v_addc_co_u32_e32 v41, vcc, v26, v43, vcc
	global_store_byte v[40:41], v39, off
	s_or_b64 exec, exec, s[0:1]
	s_and_saveexec_b64 s[0:1], s[6:7]
	s_cbranch_execz .LBB44_3
.LBB44_27:                              ;   in Loop: Header=BB44_4 Depth=1
	s_waitcnt vmcnt(0)
	v_cvt_f32_ubyte0_e32 v39, v50
	v_rcp_iflag_f32_e32 v40, v39
	v_cvt_f32_ubyte0_e32 v41, v48
	v_mov_b32_e32 v42, s17
	v_mul_f32_e32 v40, v41, v40
	v_trunc_f32_e32 v40, v40
	v_cvt_u32_f32_e32 v43, v40
	v_mad_f32 v40, -v40, v39, v41
	v_cmp_ge_f32_e64 vcc, |v40|, v39
	v_addc_co_u32_e32 v39, vcc, 0, v43, vcc
	v_add_co_u32_e32 v40, vcc, s16, v15
	v_mad_legacy_u16 v39, v39, s28, v44
	v_addc_co_u32_e32 v41, vcc, v16, v42, vcc
	global_store_byte v[40:41], v39, off
	s_branch .LBB44_3
.LBB44_28:
	s_mov_b64 s[14:15], 0
.LBB44_29:
	s_andn2_b64 vcc, exec, s[14:15]
	s_cbranch_vccnz .LBB44_33
; %bb.30:
	v_lshlrev_b32_e32 v0, 2, v0
	v_mov_b32_e32 v1, 0
	v_cmp_gt_i64_e32 vcc, s[12:13], v[0:1]
	s_and_saveexec_b64 s[0:1], vcc
	s_cbranch_execz .LBB44_33
; %bb.31:
	s_load_dword s0, s[4:5], 0xbfc
	s_mov_b32 s1, 0
	s_mov_b64 s[6:7], 0
	s_lshr_b32 s14, s23, 16
	v_mov_b32_e32 v2, s11
	s_waitcnt lgkmcnt(0)
	s_and_b32 s0, s0, 0xffff
	s_lshl_b32 s11, s0, 2
	v_mov_b32_e32 v3, s24
	v_mov_b32_e32 v4, s25
	s_mov_b32 s15, 0x6050400
	v_mov_b32_e32 v5, s26
	v_mov_b32_e32 v6, s1
	s_mov_b64 s[8:9], 0xffff
.LBB44_32:                              ; =>This Inner Loop Header: Depth=1
	v_add_co_u32_e32 v8, vcc, s10, v0
	v_addc_co_u32_e32 v9, vcc, v2, v1, vcc
	v_add_co_u32_e32 v10, vcc, s20, v0
	v_addc_co_u32_e32 v11, vcc, v3, v1, vcc
	;; [unrolled: 2-line block ×3, first 2 shown]
	global_load_dword v7, v[10:11], off
	global_load_dword v14, v[12:13], off
	;; [unrolled: 1-line block ×3, first 2 shown]
	v_add_co_u32_e32 v8, vcc, s22, v0
	v_addc_co_u32_e32 v9, vcc, v5, v1, vcc
	v_add_co_u32_e32 v0, vcc, s11, v0
	v_addc_co_u32_e32 v1, vcc, v6, v1, vcc
	v_cmp_le_i64_e32 vcc, s[12:13], v[0:1]
	v_cmp_lt_u64_e64 s[0:1], s[8:9], v[0:1]
	s_or_b64 s[0:1], vcc, s[0:1]
	s_and_b64 s[0:1], exec, s[0:1]
	s_or_b64 s[6:7], s[0:1], s[6:7]
	s_waitcnt vmcnt(2)
	v_cvt_f32_ubyte1_e32 v13, v7
	s_waitcnt vmcnt(1)
	v_cvt_f32_ubyte1_e32 v16, v14
	v_cvt_f32_ubyte2_e32 v19, v14
	v_cvt_f32_ubyte0_e32 v11, v14
	v_cvt_f32_ubyte3_e32 v14, v14
	v_rcp_iflag_f32_e32 v22, v16
	v_rcp_iflag_f32_e32 v23, v19
	;; [unrolled: 1-line block ×4, first 2 shown]
	v_cvt_f32_ubyte2_e32 v18, v7
	v_cvt_f32_ubyte0_e32 v10, v7
	v_cvt_f32_ubyte3_e32 v7, v7
	v_mul_f32_e32 v22, v13, v22
	v_mul_f32_e32 v23, v18, v23
	;; [unrolled: 1-line block ×4, first 2 shown]
	v_trunc_f32_e32 v22, v22
	v_trunc_f32_e32 v23, v23
	;; [unrolled: 1-line block ×4, first 2 shown]
	v_mad_f32 v13, -v22, v16, v13
	v_cvt_u32_f32_e32 v22, v22
	v_mad_f32 v18, -v23, v19, v18
	v_cvt_u32_f32_e32 v23, v23
	;; [unrolled: 2-line block ×4, first 2 shown]
	v_cmp_ge_f32_e64 vcc, |v13|, v16
	v_cmp_ge_f32_e64 s[0:1], |v18|, v19
	s_waitcnt vmcnt(0)
	v_lshrrev_b32_e32 v12, 8, v15
	v_lshrrev_b32_e32 v17, 16, v15
	v_cmp_ge_f32_e64 s[2:3], |v7|, v14
	v_cmp_ge_f32_e64 s[4:5], |v10|, v11
	v_addc_co_u32_e32 v10, vcc, 0, v22, vcc
	v_addc_co_u32_e64 v11, vcc, 0, v23, s[0:1]
	v_lshrrev_b32_e32 v20, 24, v15
	v_addc_co_u32_e64 v7, s[4:5], 0, v21, s[4:5]
	v_addc_co_u32_e64 v13, vcc, 0, v24, s[2:3]
	v_mad_legacy_u16 v10, v10, s14, v12
	v_mad_legacy_u16 v11, v11, s14, v17
	;; [unrolled: 1-line block ×4, first 2 shown]
	v_and_b32_e32 v10, 0xff, v10
	v_and_b32_e32 v11, 0xff, v11
	v_lshlrev_b32_e32 v12, 24, v12
	v_perm_b32 v7, v10, v7, s15
	v_lshlrev_b32_e32 v10, 16, v11
	v_or3_b32 v7, v7, v10, v12
	global_store_dword v[8:9], v7, off
	s_andn2_b64 exec, exec, s[6:7]
	s_cbranch_execnz .LBB44_32
.LBB44_33:
	s_endpgm
	.section	.rodata,"a",@progbits
	.p2align	6, 0x0
	.amdhsa_kernel _ZN2at6native12_GLOBAL__N_125multi_tensor_apply_kernelINS1_18TensorListMetadataILi4EEENS1_24PointwiseOpScalarFunctorIhLi4ELi3ELi3EEEJSt7dividesIhEhEEEvT_T0_DpT1_
		.amdhsa_group_segment_fixed_size 0
		.amdhsa_private_segment_fixed_size 0
		.amdhsa_kernarg_size 3312
		.amdhsa_user_sgpr_count 6
		.amdhsa_user_sgpr_private_segment_buffer 1
		.amdhsa_user_sgpr_dispatch_ptr 0
		.amdhsa_user_sgpr_queue_ptr 0
		.amdhsa_user_sgpr_kernarg_segment_ptr 1
		.amdhsa_user_sgpr_dispatch_id 0
		.amdhsa_user_sgpr_flat_scratch_init 0
		.amdhsa_user_sgpr_kernarg_preload_length 0
		.amdhsa_user_sgpr_kernarg_preload_offset 0
		.amdhsa_user_sgpr_private_segment_size 0
		.amdhsa_uses_dynamic_stack 0
		.amdhsa_system_sgpr_private_segment_wavefront_offset 0
		.amdhsa_system_sgpr_workgroup_id_x 1
		.amdhsa_system_sgpr_workgroup_id_y 0
		.amdhsa_system_sgpr_workgroup_id_z 0
		.amdhsa_system_sgpr_workgroup_info 0
		.amdhsa_system_vgpr_workitem_id 0
		.amdhsa_next_free_vgpr 55
		.amdhsa_next_free_sgpr 30
		.amdhsa_accum_offset 56
		.amdhsa_reserve_vcc 1
		.amdhsa_reserve_flat_scratch 0
		.amdhsa_float_round_mode_32 0
		.amdhsa_float_round_mode_16_64 0
		.amdhsa_float_denorm_mode_32 3
		.amdhsa_float_denorm_mode_16_64 3
		.amdhsa_dx10_clamp 1
		.amdhsa_ieee_mode 1
		.amdhsa_fp16_overflow 0
		.amdhsa_tg_split 0
		.amdhsa_exception_fp_ieee_invalid_op 0
		.amdhsa_exception_fp_denorm_src 0
		.amdhsa_exception_fp_ieee_div_zero 0
		.amdhsa_exception_fp_ieee_overflow 0
		.amdhsa_exception_fp_ieee_underflow 0
		.amdhsa_exception_fp_ieee_inexact 0
		.amdhsa_exception_int_div_zero 0
	.end_amdhsa_kernel
	.section	.text._ZN2at6native12_GLOBAL__N_125multi_tensor_apply_kernelINS1_18TensorListMetadataILi4EEENS1_24PointwiseOpScalarFunctorIhLi4ELi3ELi3EEEJSt7dividesIhEhEEEvT_T0_DpT1_,"axG",@progbits,_ZN2at6native12_GLOBAL__N_125multi_tensor_apply_kernelINS1_18TensorListMetadataILi4EEENS1_24PointwiseOpScalarFunctorIhLi4ELi3ELi3EEEJSt7dividesIhEhEEEvT_T0_DpT1_,comdat
.Lfunc_end44:
	.size	_ZN2at6native12_GLOBAL__N_125multi_tensor_apply_kernelINS1_18TensorListMetadataILi4EEENS1_24PointwiseOpScalarFunctorIhLi4ELi3ELi3EEEJSt7dividesIhEhEEEvT_T0_DpT1_, .Lfunc_end44-_ZN2at6native12_GLOBAL__N_125multi_tensor_apply_kernelINS1_18TensorListMetadataILi4EEENS1_24PointwiseOpScalarFunctorIhLi4ELi3ELi3EEEJSt7dividesIhEhEEEvT_T0_DpT1_
                                        ; -- End function
	.section	.AMDGPU.csdata,"",@progbits
; Kernel info:
; codeLenInByte = 2100
; NumSgprs: 34
; NumVgprs: 55
; NumAgprs: 0
; TotalNumVgprs: 55
; ScratchSize: 0
; MemoryBound: 0
; FloatMode: 240
; IeeeMode: 1
; LDSByteSize: 0 bytes/workgroup (compile time only)
; SGPRBlocks: 4
; VGPRBlocks: 6
; NumSGPRsForWavesPerEU: 34
; NumVGPRsForWavesPerEU: 55
; AccumOffset: 56
; Occupancy: 8
; WaveLimiterHint : 0
; COMPUTE_PGM_RSRC2:SCRATCH_EN: 0
; COMPUTE_PGM_RSRC2:USER_SGPR: 6
; COMPUTE_PGM_RSRC2:TRAP_HANDLER: 0
; COMPUTE_PGM_RSRC2:TGID_X_EN: 1
; COMPUTE_PGM_RSRC2:TGID_Y_EN: 0
; COMPUTE_PGM_RSRC2:TGID_Z_EN: 0
; COMPUTE_PGM_RSRC2:TIDIG_COMP_CNT: 0
; COMPUTE_PGM_RSRC3_GFX90A:ACCUM_OFFSET: 13
; COMPUTE_PGM_RSRC3_GFX90A:TG_SPLIT: 0
	.section	.text._ZN2at6native12_GLOBAL__N_125multi_tensor_apply_kernelINS1_18TensorListMetadataILi4EEENS1_24PointwiseOpScalarFunctorIaLi4ELi3ELi3EEEJSt7dividesIaEaEEEvT_T0_DpT1_,"axG",@progbits,_ZN2at6native12_GLOBAL__N_125multi_tensor_apply_kernelINS1_18TensorListMetadataILi4EEENS1_24PointwiseOpScalarFunctorIaLi4ELi3ELi3EEEJSt7dividesIaEaEEEvT_T0_DpT1_,comdat
	.globl	_ZN2at6native12_GLOBAL__N_125multi_tensor_apply_kernelINS1_18TensorListMetadataILi4EEENS1_24PointwiseOpScalarFunctorIaLi4ELi3ELi3EEEJSt7dividesIaEaEEEvT_T0_DpT1_ ; -- Begin function _ZN2at6native12_GLOBAL__N_125multi_tensor_apply_kernelINS1_18TensorListMetadataILi4EEENS1_24PointwiseOpScalarFunctorIaLi4ELi3ELi3EEEJSt7dividesIaEaEEEvT_T0_DpT1_
	.p2align	8
	.type	_ZN2at6native12_GLOBAL__N_125multi_tensor_apply_kernelINS1_18TensorListMetadataILi4EEENS1_24PointwiseOpScalarFunctorIaLi4ELi3ELi3EEEJSt7dividesIaEaEEEvT_T0_DpT1_,@function
_ZN2at6native12_GLOBAL__N_125multi_tensor_apply_kernelINS1_18TensorListMetadataILi4EEENS1_24PointwiseOpScalarFunctorIaLi4ELi3ELi3EEEJSt7dividesIaEaEEEvT_T0_DpT1_: ; @_ZN2at6native12_GLOBAL__N_125multi_tensor_apply_kernelINS1_18TensorListMetadataILi4EEENS1_24PointwiseOpScalarFunctorIaLi4ELi3ELi3EEEJSt7dividesIaEaEEEvT_T0_DpT1_
; %bb.0:
	v_mov_b32_e32 v1, s6
	global_load_ubyte v1, v1, s[4:5] offset:1440
	s_add_u32 s0, s4, s6
	s_mul_hi_u32 s1, s6, 3
	s_mul_i32 s6, s6, 3
	s_addc_u32 s2, s5, 0
	s_add_u32 s0, s0, s6
	s_addc_u32 s1, s2, s1
	s_load_dword s0, s[0:1], 0x6e0
	s_mov_b32 s15, 0
	s_waitcnt lgkmcnt(0)
	s_ashr_i32 s1, s0, 31
	s_lshl_b64 s[16:17], s[0:1], 16
	s_waitcnt vmcnt(0)
	v_readfirstlane_b32 s0, v1
	s_lshl_b32 s10, s0, 3
	s_load_dwordx2 s[0:1], s[4:5], s10 offset:0x0
	s_load_dword s23, s[4:5], 0xbe8
	s_load_dwordx2 s[18:19], s[4:5], s10 offset:0x480
	s_load_dwordx2 s[2:3], s[4:5], s10 offset:0x120
	s_load_dwordx2 s[6:7], s[4:5], s10 offset:0x240
	s_load_dwordx2 s[8:9], s[4:5], s10 offset:0x360
	s_waitcnt lgkmcnt(0)
	s_add_u32 s10, s0, s16
	s_addc_u32 s11, s1, s17
	s_add_u32 s20, s2, s16
	s_addc_u32 s24, s3, s17
	s_and_b32 s14, s20, 3
	s_cmp_eq_u64 s[14:15], 0
	s_cselect_b64 s[12:13], -1, 0
	s_add_u32 s21, s6, s16
	s_addc_u32 s25, s7, s17
	s_add_u32 s22, s8, s16
	s_addc_u32 s26, s9, s17
	s_or_b32 s14, s22, s21
	s_and_b32 s14, s14, 3
	s_cmp_eq_u32 s14, 0
	s_cselect_b64 s[28:29], -1, 0
	s_and_b64 s[28:29], s[28:29], s[12:13]
	s_sub_u32 s12, s18, s16
	s_subb_u32 s13, s19, s17
	s_or_b64 s[18:19], s[18:19], s[10:11]
	s_and_b32 s14, s18, 3
	s_cmp_eq_u64 s[14:15], 0
	s_cselect_b64 s[14:15], -1, 0
	s_and_b64 s[18:19], s[28:29], s[14:15]
	s_mov_b64 s[14:15], -1
	s_and_b64 vcc, exec, s[18:19]
	s_cbranch_vccnz .LBB45_29
; %bb.1:
	v_cmp_lt_i64_e64 s[14:15], s[12:13], 1
	s_and_b64 vcc, exec, s[14:15]
	s_cbranch_vccnz .LBB45_28
; %bb.2:
	s_load_dword s14, s[4:5], 0xbfc
	v_mov_b32_e32 v2, 0x10000
	v_mov_b32_e32 v3, 0
	v_cmp_lt_u64_e32 vcc, s[12:13], v[2:3]
	v_mov_b32_e32 v1, s17
	s_waitcnt lgkmcnt(0)
	s_and_b32 s28, s14, 0xffff
	s_and_b64 s[14:15], vcc, exec
	v_add_co_u32_e32 v29, vcc, s16, v0
	v_addc_co_u32_e32 v30, vcc, 0, v1, vcc
	v_mov_b32_e32 v31, s1
	v_add_co_u32_e32 v1, vcc, s0, v29
	v_addc_co_u32_e32 v2, vcc, v31, v30, vcc
	v_mov_b32_e32 v32, s3
	;; [unrolled: 3-line block ×3, first 2 shown]
	v_add_co_u32_e32 v5, vcc, s6, v29
	s_cselect_b32 s15, s13, 0
	s_cselect_b32 s14, s12, 0x10000
	s_lshl_b32 s29, s28, 1
	s_mul_i32 s18, s28, 3
	s_lshl_b32 s27, s28, 2
	v_addc_co_u32_e32 v6, vcc, v34, v30, vcc
	v_mov_b32_e32 v36, s9
	v_add_co_u32_e32 v7, vcc, s8, v29
	s_add_u32 s1, s16, s18
	v_addc_co_u32_e32 v8, vcc, v36, v30, vcc
	s_addc_u32 s3, s17, 0
	v_mov_b32_e32 v9, s3
	v_add_co_u32_e32 v15, vcc, s1, v0
	v_addc_co_u32_e32 v16, vcc, 0, v9, vcc
	v_add_co_u32_e32 v9, vcc, s0, v15
	v_addc_co_u32_e32 v10, vcc, v31, v16, vcc
	;; [unrolled: 2-line block ×5, first 2 shown]
	s_add_u32 s1, s16, s29
	v_add_co_u32_e32 v17, vcc, s18, v0
	s_addc_u32 s3, s17, 0
	v_addc_co_u32_e64 v18, s[18:19], 0, 0, vcc
	v_mov_b32_e32 v19, s3
	v_add_co_u32_e32 v25, vcc, s1, v0
	v_addc_co_u32_e32 v26, vcc, 0, v19, vcc
	v_add_co_u32_e32 v19, vcc, s0, v25
	v_addc_co_u32_e32 v20, vcc, v31, v26, vcc
	;; [unrolled: 2-line block ×5, first 2 shown]
	v_add_co_u32_e32 v27, vcc, s29, v0
	v_addc_co_u32_e64 v28, s[16:17], 0, 0, vcc
	v_add_co_u32_e32 v35, vcc, s28, v29
	v_addc_co_u32_e32 v37, vcc, 0, v30, vcc
	v_add_co_u32_e32 v29, vcc, s0, v35
	v_addc_co_u32_e32 v30, vcc, v31, v37, vcc
	;; [unrolled: 2-line block ×5, first 2 shown]
	v_add_co_u32_e32 v37, vcc, s28, v0
	v_addc_co_u32_e64 v38, s[0:1], 0, 0, vcc
	s_mov_b64 s[16:17], 0
	s_lshr_b32 s28, s23, 16
	s_branch .LBB45_4
.LBB45_3:                               ;   in Loop: Header=BB45_4 Depth=1
	s_or_b64 exec, exec, s[0:1]
	s_add_u32 s16, s16, s27
	s_addc_u32 s17, s17, 0
	s_waitcnt vmcnt(1)
	v_pk_mov_b32 v[40:41], s[12:13], s[12:13] op_sel:[0,1]
	v_cmp_lt_i64_e32 vcc, s[16:17], v[40:41]
	v_mov_b32_e32 v40, 0x10000
	v_mov_b32_e32 v41, 0
	v_cmp_lt_u64_e64 s[0:1], s[16:17], v[40:41]
	s_and_b64 s[0:1], vcc, s[0:1]
	s_and_b64 vcc, exec, s[0:1]
	s_cbranch_vccz .LBB45_28
.LBB45_4:                               ; =>This Inner Loop Header: Depth=1
	v_mov_b32_e32 v39, s17
	v_add_co_u32_e32 v40, vcc, s16, v0
	v_addc_co_u32_e32 v41, vcc, 0, v39, vcc
	v_cmp_gt_u64_e32 vcc, s[14:15], v[40:41]
	v_mov_b32_e32 v40, 0
	s_waitcnt vmcnt(0)
	v_mov_b32_e32 v43, 0
	s_and_saveexec_b64 s[2:3], vcc
	s_cbranch_execz .LBB45_6
; %bb.5:                                ;   in Loop: Header=BB45_4 Depth=1
	v_mov_b32_e32 v39, s17
	v_add_co_u32_e64 v44, s[0:1], s16, v1
	v_addc_co_u32_e64 v45, s[0:1], v2, v39, s[0:1]
	v_add_co_u32_e64 v46, s[0:1], s16, v3
	v_addc_co_u32_e64 v47, s[0:1], v4, v39, s[0:1]
	global_load_ubyte v40, v[44:45], off
	global_load_ubyte v43, v[46:47], off
.LBB45_6:                               ;   in Loop: Header=BB45_4 Depth=1
	s_or_b64 exec, exec, s[2:3]
	v_mov_b32_e32 v39, 0
	v_mov_b32_e32 v45, 0
	s_and_saveexec_b64 s[2:3], vcc
	s_cbranch_execz .LBB45_8
; %bb.7:                                ;   in Loop: Header=BB45_4 Depth=1
	v_mov_b32_e32 v41, s17
	v_add_co_u32_e64 v44, s[0:1], s16, v5
	v_addc_co_u32_e64 v45, s[0:1], v6, v41, s[0:1]
	global_load_ubyte v45, v[44:45], off
.LBB45_8:                               ;   in Loop: Header=BB45_4 Depth=1
	s_or_b64 exec, exec, s[2:3]
	v_mov_b32_e32 v41, s17
	v_add_co_u32_e64 v46, s[0:1], s16, v37
	v_addc_co_u32_e64 v47, s[0:1], v38, v41, s[0:1]
	v_cmp_gt_u64_e64 s[0:1], s[14:15], v[46:47]
	v_mov_b32_e32 v44, 0
	s_and_saveexec_b64 s[6:7], s[0:1]
	s_cbranch_execz .LBB45_10
; %bb.9:                                ;   in Loop: Header=BB45_4 Depth=1
	v_mov_b32_e32 v39, s17
	v_add_co_u32_e64 v46, s[2:3], s16, v31
	v_addc_co_u32_e64 v47, s[2:3], v32, v39, s[2:3]
	v_add_co_u32_e64 v48, s[2:3], s16, v29
	v_addc_co_u32_e64 v49, s[2:3], v30, v39, s[2:3]
	global_load_ubyte v39, v[48:49], off
	global_load_ubyte v44, v[46:47], off
.LBB45_10:                              ;   in Loop: Header=BB45_4 Depth=1
	s_or_b64 exec, exec, s[6:7]
	v_mov_b32_e32 v41, 0
	v_mov_b32_e32 v47, 0
	s_and_saveexec_b64 s[6:7], s[0:1]
	s_cbranch_execz .LBB45_12
; %bb.11:                               ;   in Loop: Header=BB45_4 Depth=1
	v_mov_b32_e32 v42, s17
	v_add_co_u32_e64 v46, s[2:3], s16, v33
	v_addc_co_u32_e64 v47, s[2:3], v34, v42, s[2:3]
	global_load_ubyte v47, v[46:47], off
.LBB45_12:                              ;   in Loop: Header=BB45_4 Depth=1
	s_or_b64 exec, exec, s[6:7]
	v_mov_b32_e32 v42, s17
	v_add_co_u32_e64 v48, s[2:3], s16, v27
	v_addc_co_u32_e64 v49, s[2:3], v28, v42, s[2:3]
	v_cmp_gt_u64_e64 s[2:3], s[14:15], v[48:49]
	v_mov_b32_e32 v46, 0
	s_and_saveexec_b64 s[8:9], s[2:3]
	s_cbranch_execz .LBB45_14
; %bb.13:                               ;   in Loop: Header=BB45_4 Depth=1
	v_mov_b32_e32 v41, s17
	v_add_co_u32_e64 v48, s[6:7], s16, v21
	v_addc_co_u32_e64 v49, s[6:7], v22, v41, s[6:7]
	v_add_co_u32_e64 v50, s[6:7], s16, v19
	v_addc_co_u32_e64 v51, s[6:7], v20, v41, s[6:7]
	global_load_ubyte v41, v[50:51], off
	global_load_ubyte v46, v[48:49], off
.LBB45_14:                              ;   in Loop: Header=BB45_4 Depth=1
	s_or_b64 exec, exec, s[8:9]
	v_mov_b32_e32 v42, 0
	v_mov_b32_e32 v49, 0
	s_and_saveexec_b64 s[8:9], s[2:3]
	s_cbranch_execz .LBB45_16
; %bb.15:                               ;   in Loop: Header=BB45_4 Depth=1
	v_mov_b32_e32 v49, s17
	v_add_co_u32_e64 v48, s[6:7], s16, v23
	v_addc_co_u32_e64 v49, s[6:7], v24, v49, s[6:7]
	global_load_ubyte v49, v[48:49], off
.LBB45_16:                              ;   in Loop: Header=BB45_4 Depth=1
	s_or_b64 exec, exec, s[8:9]
	v_mov_b32_e32 v48, s17
	v_add_co_u32_e64 v50, s[6:7], s16, v17
	v_addc_co_u32_e64 v51, s[6:7], v18, v48, s[6:7]
	v_cmp_gt_u64_e64 s[6:7], s[14:15], v[50:51]
	v_mov_b32_e32 v48, 0
	s_and_saveexec_b64 s[18:19], s[6:7]
	s_cbranch_execnz .LBB45_22
; %bb.17:                               ;   in Loop: Header=BB45_4 Depth=1
	s_or_b64 exec, exec, s[18:19]
	v_mov_b32_e32 v50, 0
	s_and_saveexec_b64 s[18:19], s[6:7]
	s_cbranch_execnz .LBB45_23
.LBB45_18:                              ;   in Loop: Header=BB45_4 Depth=1
	s_or_b64 exec, exec, s[18:19]
	s_and_saveexec_b64 s[8:9], vcc
	s_cbranch_execnz .LBB45_24
.LBB45_19:                              ;   in Loop: Header=BB45_4 Depth=1
	s_or_b64 exec, exec, s[8:9]
	s_and_saveexec_b64 s[8:9], s[0:1]
	s_cbranch_execnz .LBB45_25
.LBB45_20:                              ;   in Loop: Header=BB45_4 Depth=1
	s_or_b64 exec, exec, s[8:9]
	s_and_saveexec_b64 s[0:1], s[2:3]
	s_cbranch_execnz .LBB45_26
.LBB45_21:                              ;   in Loop: Header=BB45_4 Depth=1
	s_or_b64 exec, exec, s[0:1]
	s_and_saveexec_b64 s[0:1], s[6:7]
	s_cbranch_execz .LBB45_3
	s_branch .LBB45_27
.LBB45_22:                              ;   in Loop: Header=BB45_4 Depth=1
	v_mov_b32_e32 v42, s17
	v_add_co_u32_e64 v50, s[8:9], s16, v11
	v_addc_co_u32_e64 v51, s[8:9], v12, v42, s[8:9]
	v_add_co_u32_e64 v52, s[8:9], s16, v9
	v_addc_co_u32_e64 v53, s[8:9], v10, v42, s[8:9]
	global_load_ubyte v42, v[52:53], off
	global_load_ubyte v48, v[50:51], off
	s_or_b64 exec, exec, s[18:19]
	v_mov_b32_e32 v50, 0
	s_and_saveexec_b64 s[18:19], s[6:7]
	s_cbranch_execz .LBB45_18
.LBB45_23:                              ;   in Loop: Header=BB45_4 Depth=1
	v_mov_b32_e32 v51, s17
	v_add_co_u32_e64 v50, s[8:9], s16, v13
	v_addc_co_u32_e64 v51, s[8:9], v14, v51, s[8:9]
	global_load_ubyte v50, v[50:51], off
	s_or_b64 exec, exec, s[18:19]
	s_and_saveexec_b64 s[8:9], vcc
	s_cbranch_execz .LBB45_19
.LBB45_24:                              ;   in Loop: Header=BB45_4 Depth=1
	s_waitcnt vmcnt(0)
	v_cvt_f32_i32_sdwa v51, sext(v45) dst_sel:DWORD dst_unused:UNUSED_PAD src0_sel:BYTE_0
	v_xor_b32_sdwa v45, sext(v43), sext(v45) dst_sel:DWORD dst_unused:UNUSED_PAD src0_sel:BYTE_0 src1_sel:BYTE_0
	v_cvt_f32_i32_sdwa v43, sext(v43) dst_sel:DWORD dst_unused:UNUSED_PAD src0_sel:BYTE_0
	v_ashrrev_i32_e32 v45, 30, v45
	v_rcp_iflag_f32_e32 v52, v51
	v_or_b32_e32 v45, 1, v45
	v_mov_b32_e32 v53, s17
	v_mul_f32_e32 v52, v43, v52
	v_trunc_f32_e32 v52, v52
	v_cvt_i32_f32_e32 v54, v52
	v_mad_f32 v43, -v52, v51, v43
	v_cmp_ge_f32_e64 vcc, |v43|, |v51|
	v_cndmask_b32_e32 v43, 0, v45, vcc
	v_add_u32_e32 v43, v54, v43
	v_add_co_u32_e32 v52, vcc, s16, v7
	v_mad_legacy_u16 v40, v43, s28, v40
	v_addc_co_u32_e32 v53, vcc, v8, v53, vcc
	global_store_byte v[52:53], v40, off
	s_or_b64 exec, exec, s[8:9]
	s_and_saveexec_b64 s[8:9], s[0:1]
	s_cbranch_execz .LBB45_20
.LBB45_25:                              ;   in Loop: Header=BB45_4 Depth=1
	s_waitcnt vmcnt(0)
	v_cvt_f32_i32_sdwa v40, sext(v47) dst_sel:DWORD dst_unused:UNUSED_PAD src0_sel:BYTE_0
	v_xor_b32_sdwa v43, sext(v44), sext(v47) dst_sel:DWORD dst_unused:UNUSED_PAD src0_sel:BYTE_0 src1_sel:BYTE_0
	v_cvt_f32_i32_sdwa v44, sext(v44) dst_sel:DWORD dst_unused:UNUSED_PAD src0_sel:BYTE_0
	v_ashrrev_i32_e32 v43, 30, v43
	v_rcp_iflag_f32_e32 v45, v40
	v_or_b32_e32 v43, 1, v43
	v_mov_b32_e32 v47, s17
	v_mul_f32_e32 v45, v44, v45
	v_trunc_f32_e32 v45, v45
	v_cvt_i32_f32_e32 v51, v45
	v_mad_f32 v44, -v45, v40, v44
	v_cmp_ge_f32_e64 vcc, |v44|, |v40|
	v_cndmask_b32_e32 v40, 0, v43, vcc
	v_add_u32_e32 v40, v51, v40
	v_add_co_u32_e32 v44, vcc, s16, v35
	v_mad_legacy_u16 v39, v40, s28, v39
	v_addc_co_u32_e32 v45, vcc, v36, v47, vcc
	global_store_byte v[44:45], v39, off
	s_or_b64 exec, exec, s[8:9]
	s_and_saveexec_b64 s[0:1], s[2:3]
	s_cbranch_execz .LBB45_21
.LBB45_26:                              ;   in Loop: Header=BB45_4 Depth=1
	s_waitcnt vmcnt(0)
	v_cvt_f32_i32_sdwa v39, sext(v49) dst_sel:DWORD dst_unused:UNUSED_PAD src0_sel:BYTE_0
	v_cvt_f32_i32_sdwa v43, sext(v46) dst_sel:DWORD dst_unused:UNUSED_PAD src0_sel:BYTE_0
	v_xor_b32_sdwa v40, sext(v46), sext(v49) dst_sel:DWORD dst_unused:UNUSED_PAD src0_sel:BYTE_0 src1_sel:BYTE_0
	v_ashrrev_i32_e32 v40, 30, v40
	v_rcp_iflag_f32_e32 v44, v39
	v_or_b32_e32 v40, 1, v40
	v_mov_b32_e32 v45, s17
	v_mul_f32_e32 v44, v43, v44
	v_trunc_f32_e32 v44, v44
	v_cvt_i32_f32_e32 v46, v44
	v_mad_f32 v43, -v44, v39, v43
	v_cmp_ge_f32_e64 vcc, |v43|, |v39|
	v_cndmask_b32_e32 v39, 0, v40, vcc
	v_add_u32_e32 v39, v46, v39
	v_add_co_u32_e32 v40, vcc, s16, v25
	v_mad_legacy_u16 v39, v39, s28, v41
	v_addc_co_u32_e32 v41, vcc, v26, v45, vcc
	global_store_byte v[40:41], v39, off
	s_or_b64 exec, exec, s[0:1]
	s_and_saveexec_b64 s[0:1], s[6:7]
	s_cbranch_execz .LBB45_3
.LBB45_27:                              ;   in Loop: Header=BB45_4 Depth=1
	s_waitcnt vmcnt(0)
	v_cvt_f32_i32_sdwa v39, sext(v50) dst_sel:DWORD dst_unused:UNUSED_PAD src0_sel:BYTE_0
	v_cvt_f32_i32_sdwa v41, sext(v48) dst_sel:DWORD dst_unused:UNUSED_PAD src0_sel:BYTE_0
	v_xor_b32_sdwa v40, sext(v48), sext(v50) dst_sel:DWORD dst_unused:UNUSED_PAD src0_sel:BYTE_0 src1_sel:BYTE_0
	v_ashrrev_i32_e32 v40, 30, v40
	v_rcp_iflag_f32_e32 v43, v39
	v_or_b32_e32 v40, 1, v40
	v_mov_b32_e32 v44, s17
	v_mul_f32_e32 v43, v41, v43
	v_trunc_f32_e32 v43, v43
	v_cvt_i32_f32_e32 v45, v43
	v_mad_f32 v41, -v43, v39, v41
	v_cmp_ge_f32_e64 vcc, |v41|, |v39|
	v_cndmask_b32_e32 v39, 0, v40, vcc
	v_add_u32_e32 v39, v45, v39
	v_add_co_u32_e32 v40, vcc, s16, v15
	v_mad_legacy_u16 v39, v39, s28, v42
	v_addc_co_u32_e32 v41, vcc, v16, v44, vcc
	global_store_byte v[40:41], v39, off
	s_branch .LBB45_3
.LBB45_28:
	s_mov_b64 s[14:15], 0
.LBB45_29:
	s_andn2_b64 vcc, exec, s[14:15]
	s_cbranch_vccnz .LBB45_33
; %bb.30:
	v_lshlrev_b32_e32 v0, 2, v0
	v_mov_b32_e32 v1, 0
	v_cmp_gt_i64_e32 vcc, s[12:13], v[0:1]
	s_and_saveexec_b64 s[0:1], vcc
	s_cbranch_execz .LBB45_33
; %bb.31:
	s_load_dword s0, s[4:5], 0xbfc
	s_mov_b32 s1, 0
	s_mov_b64 s[2:3], 0
	s_lshr_b32 s6, s23, 16
	v_mov_b32_e32 v2, s11
	s_waitcnt lgkmcnt(0)
	s_and_b32 s0, s0, 0xffff
	s_lshl_b32 s7, s0, 2
	v_mov_b32_e32 v3, s24
	v_mov_b32_e32 v4, s25
	s_mov_b32 s8, 0x6050400
	v_mov_b32_e32 v5, s26
	v_mov_b32_e32 v6, s1
	s_mov_b64 s[4:5], 0xffff
.LBB45_32:                              ; =>This Inner Loop Header: Depth=1
	v_add_co_u32_e32 v8, vcc, s10, v0
	v_addc_co_u32_e32 v9, vcc, v2, v1, vcc
	v_add_co_u32_e32 v10, vcc, s20, v0
	v_addc_co_u32_e32 v11, vcc, v3, v1, vcc
	;; [unrolled: 2-line block ×3, first 2 shown]
	global_load_dword v7, v[10:11], off
	global_load_dword v14, v[12:13], off
	;; [unrolled: 1-line block ×3, first 2 shown]
	v_add_co_u32_e32 v8, vcc, s22, v0
	v_addc_co_u32_e32 v9, vcc, v5, v1, vcc
	v_add_co_u32_e32 v0, vcc, s7, v0
	v_addc_co_u32_e32 v1, vcc, v6, v1, vcc
	v_cmp_le_i64_e32 vcc, s[12:13], v[0:1]
	v_cmp_lt_u64_e64 s[0:1], s[4:5], v[0:1]
	s_or_b64 s[0:1], vcc, s[0:1]
	s_and_b64 s[0:1], exec, s[0:1]
	s_or_b64 s[2:3], s[0:1], s[2:3]
	s_waitcnt vmcnt(2)
	v_cvt_f32_i32_sdwa v11, sext(v7) dst_sel:DWORD dst_unused:UNUSED_PAD src0_sel:BYTE_0
	s_waitcnt vmcnt(1)
	v_cvt_f32_i32_sdwa v12, sext(v14) dst_sel:DWORD dst_unused:UNUSED_PAD src0_sel:BYTE_0
	v_cvt_f32_i32_sdwa v18, sext(v14) dst_sel:DWORD dst_unused:UNUSED_PAD src0_sel:BYTE_1
	v_cvt_f32_i32_sdwa v22, sext(v14) dst_sel:DWORD dst_unused:UNUSED_PAD src0_sel:BYTE_2
	v_xor_b32_sdwa v10, sext(v7), sext(v14) dst_sel:DWORD dst_unused:UNUSED_PAD src0_sel:BYTE_0 src1_sel:BYTE_0
	v_xor_b32_sdwa v16, sext(v7), sext(v14) dst_sel:DWORD dst_unused:UNUSED_PAD src0_sel:BYTE_1 src1_sel:BYTE_1
	v_xor_b32_sdwa v20, sext(v7), sext(v14) dst_sel:DWORD dst_unused:UNUSED_PAD src0_sel:BYTE_2 src1_sel:BYTE_2
	v_xor_b32_sdwa v24, sext(v7), sext(v14) dst_sel:DWORD dst_unused:UNUSED_PAD src0_sel:BYTE_3 src1_sel:BYTE_3
	v_cvt_f32_i32_sdwa v14, sext(v14) dst_sel:DWORD dst_unused:UNUSED_PAD src0_sel:BYTE_3
	v_rcp_iflag_f32_e32 v25, v12
	v_cvt_f32_i32_sdwa v17, sext(v7) dst_sel:DWORD dst_unused:UNUSED_PAD src0_sel:BYTE_1
	v_cvt_f32_i32_sdwa v21, sext(v7) dst_sel:DWORD dst_unused:UNUSED_PAD src0_sel:BYTE_2
	v_rcp_iflag_f32_e32 v26, v18
	v_rcp_iflag_f32_e32 v27, v22
	v_cvt_f32_i32_sdwa v7, sext(v7) dst_sel:DWORD dst_unused:UNUSED_PAD src0_sel:BYTE_3
	v_rcp_iflag_f32_e32 v28, v14
	v_mul_f32_e32 v25, v11, v25
	v_mul_f32_e32 v26, v17, v26
	;; [unrolled: 1-line block ×3, first 2 shown]
	v_trunc_f32_e32 v25, v25
	v_ashrrev_i32_e32 v10, 30, v10
	v_mul_f32_e32 v28, v7, v28
	v_trunc_f32_e32 v26, v26
	v_trunc_f32_e32 v27, v27
	v_mad_f32 v11, -v25, v12, v11
	v_ashrrev_i32_e32 v16, 30, v16
	v_or_b32_e32 v10, 1, v10
	v_trunc_f32_e32 v28, v28
	v_mad_f32 v17, -v26, v18, v17
	v_cvt_i32_f32_e32 v26, v26
	v_mad_f32 v21, -v27, v22, v21
	v_cvt_i32_f32_e32 v27, v27
	v_cmp_ge_f32_e64 vcc, |v11|, |v12|
	v_ashrrev_i32_e32 v20, 30, v20
	v_or_b32_e32 v16, 1, v16
	v_cvt_i32_f32_e32 v25, v25
	v_mad_f32 v7, -v28, v14, v7
	v_cvt_i32_f32_e32 v28, v28
	v_cndmask_b32_e32 v10, 0, v10, vcc
	v_cmp_ge_f32_e64 vcc, |v17|, |v18|
	v_ashrrev_i32_e32 v24, 30, v24
	v_or_b32_e32 v20, 1, v20
	v_cndmask_b32_e32 v11, 0, v16, vcc
	v_cmp_ge_f32_e64 vcc, |v21|, |v22|
	v_or_b32_e32 v24, 1, v24
	v_cndmask_b32_e32 v12, 0, v20, vcc
	v_cmp_ge_f32_e64 vcc, |v7|, |v14|
	s_waitcnt vmcnt(0)
	v_lshrrev_b32_e32 v13, 8, v15
	v_lshrrev_b32_e32 v19, 16, v15
	v_cndmask_b32_e32 v7, 0, v24, vcc
	v_add_u32_e32 v11, v26, v11
	v_add_u32_e32 v12, v27, v12
	v_lshrrev_b32_e32 v23, 24, v15
	v_add_u32_e32 v10, v25, v10
	v_add_u32_e32 v7, v28, v7
	v_mad_legacy_u16 v11, v11, s6, v13
	v_mad_legacy_u16 v12, v12, s6, v19
	;; [unrolled: 1-line block ×4, first 2 shown]
	v_and_b32_e32 v11, 0xff, v11
	v_and_b32_e32 v12, 0xff, v12
	v_lshlrev_b32_e32 v7, 24, v7
	v_perm_b32 v10, v11, v10, s8
	v_lshlrev_b32_e32 v11, 16, v12
	v_or3_b32 v7, v10, v11, v7
	global_store_dword v[8:9], v7, off
	s_andn2_b64 exec, exec, s[2:3]
	s_cbranch_execnz .LBB45_32
.LBB45_33:
	s_endpgm
	.section	.rodata,"a",@progbits
	.p2align	6, 0x0
	.amdhsa_kernel _ZN2at6native12_GLOBAL__N_125multi_tensor_apply_kernelINS1_18TensorListMetadataILi4EEENS1_24PointwiseOpScalarFunctorIaLi4ELi3ELi3EEEJSt7dividesIaEaEEEvT_T0_DpT1_
		.amdhsa_group_segment_fixed_size 0
		.amdhsa_private_segment_fixed_size 0
		.amdhsa_kernarg_size 3312
		.amdhsa_user_sgpr_count 6
		.amdhsa_user_sgpr_private_segment_buffer 1
		.amdhsa_user_sgpr_dispatch_ptr 0
		.amdhsa_user_sgpr_queue_ptr 0
		.amdhsa_user_sgpr_kernarg_segment_ptr 1
		.amdhsa_user_sgpr_dispatch_id 0
		.amdhsa_user_sgpr_flat_scratch_init 0
		.amdhsa_user_sgpr_kernarg_preload_length 0
		.amdhsa_user_sgpr_kernarg_preload_offset 0
		.amdhsa_user_sgpr_private_segment_size 0
		.amdhsa_uses_dynamic_stack 0
		.amdhsa_system_sgpr_private_segment_wavefront_offset 0
		.amdhsa_system_sgpr_workgroup_id_x 1
		.amdhsa_system_sgpr_workgroup_id_y 0
		.amdhsa_system_sgpr_workgroup_id_z 0
		.amdhsa_system_sgpr_workgroup_info 0
		.amdhsa_system_vgpr_workitem_id 0
		.amdhsa_next_free_vgpr 55
		.amdhsa_next_free_sgpr 30
		.amdhsa_accum_offset 56
		.amdhsa_reserve_vcc 1
		.amdhsa_reserve_flat_scratch 0
		.amdhsa_float_round_mode_32 0
		.amdhsa_float_round_mode_16_64 0
		.amdhsa_float_denorm_mode_32 3
		.amdhsa_float_denorm_mode_16_64 3
		.amdhsa_dx10_clamp 1
		.amdhsa_ieee_mode 1
		.amdhsa_fp16_overflow 0
		.amdhsa_tg_split 0
		.amdhsa_exception_fp_ieee_invalid_op 0
		.amdhsa_exception_fp_denorm_src 0
		.amdhsa_exception_fp_ieee_div_zero 0
		.amdhsa_exception_fp_ieee_overflow 0
		.amdhsa_exception_fp_ieee_underflow 0
		.amdhsa_exception_fp_ieee_inexact 0
		.amdhsa_exception_int_div_zero 0
	.end_amdhsa_kernel
	.section	.text._ZN2at6native12_GLOBAL__N_125multi_tensor_apply_kernelINS1_18TensorListMetadataILi4EEENS1_24PointwiseOpScalarFunctorIaLi4ELi3ELi3EEEJSt7dividesIaEaEEEvT_T0_DpT1_,"axG",@progbits,_ZN2at6native12_GLOBAL__N_125multi_tensor_apply_kernelINS1_18TensorListMetadataILi4EEENS1_24PointwiseOpScalarFunctorIaLi4ELi3ELi3EEEJSt7dividesIaEaEEEvT_T0_DpT1_,comdat
.Lfunc_end45:
	.size	_ZN2at6native12_GLOBAL__N_125multi_tensor_apply_kernelINS1_18TensorListMetadataILi4EEENS1_24PointwiseOpScalarFunctorIaLi4ELi3ELi3EEEJSt7dividesIaEaEEEvT_T0_DpT1_, .Lfunc_end45-_ZN2at6native12_GLOBAL__N_125multi_tensor_apply_kernelINS1_18TensorListMetadataILi4EEENS1_24PointwiseOpScalarFunctorIaLi4ELi3ELi3EEEJSt7dividesIaEaEEEvT_T0_DpT1_
                                        ; -- End function
	.section	.AMDGPU.csdata,"",@progbits
; Kernel info:
; codeLenInByte = 2316
; NumSgprs: 34
; NumVgprs: 55
; NumAgprs: 0
; TotalNumVgprs: 55
; ScratchSize: 0
; MemoryBound: 0
; FloatMode: 240
; IeeeMode: 1
; LDSByteSize: 0 bytes/workgroup (compile time only)
; SGPRBlocks: 4
; VGPRBlocks: 6
; NumSGPRsForWavesPerEU: 34
; NumVGPRsForWavesPerEU: 55
; AccumOffset: 56
; Occupancy: 8
; WaveLimiterHint : 0
; COMPUTE_PGM_RSRC2:SCRATCH_EN: 0
; COMPUTE_PGM_RSRC2:USER_SGPR: 6
; COMPUTE_PGM_RSRC2:TRAP_HANDLER: 0
; COMPUTE_PGM_RSRC2:TGID_X_EN: 1
; COMPUTE_PGM_RSRC2:TGID_Y_EN: 0
; COMPUTE_PGM_RSRC2:TGID_Z_EN: 0
; COMPUTE_PGM_RSRC2:TIDIG_COMP_CNT: 0
; COMPUTE_PGM_RSRC3_GFX90A:ACCUM_OFFSET: 13
; COMPUTE_PGM_RSRC3_GFX90A:TG_SPLIT: 0
	.section	.text._ZN2at6native12_GLOBAL__N_125multi_tensor_apply_kernelINS1_18TensorListMetadataILi4EEENS1_24PointwiseOpScalarFunctorIiLi4ELi3ELi3EEEJSt7dividesIiEiEEEvT_T0_DpT1_,"axG",@progbits,_ZN2at6native12_GLOBAL__N_125multi_tensor_apply_kernelINS1_18TensorListMetadataILi4EEENS1_24PointwiseOpScalarFunctorIiLi4ELi3ELi3EEEJSt7dividesIiEiEEEvT_T0_DpT1_,comdat
	.globl	_ZN2at6native12_GLOBAL__N_125multi_tensor_apply_kernelINS1_18TensorListMetadataILi4EEENS1_24PointwiseOpScalarFunctorIiLi4ELi3ELi3EEEJSt7dividesIiEiEEEvT_T0_DpT1_ ; -- Begin function _ZN2at6native12_GLOBAL__N_125multi_tensor_apply_kernelINS1_18TensorListMetadataILi4EEENS1_24PointwiseOpScalarFunctorIiLi4ELi3ELi3EEEJSt7dividesIiEiEEEvT_T0_DpT1_
	.p2align	8
	.type	_ZN2at6native12_GLOBAL__N_125multi_tensor_apply_kernelINS1_18TensorListMetadataILi4EEENS1_24PointwiseOpScalarFunctorIiLi4ELi3ELi3EEEJSt7dividesIiEiEEEvT_T0_DpT1_,@function
_ZN2at6native12_GLOBAL__N_125multi_tensor_apply_kernelINS1_18TensorListMetadataILi4EEENS1_24PointwiseOpScalarFunctorIiLi4ELi3ELi3EEEJSt7dividesIiEiEEEvT_T0_DpT1_: ; @_ZN2at6native12_GLOBAL__N_125multi_tensor_apply_kernelINS1_18TensorListMetadataILi4EEENS1_24PointwiseOpScalarFunctorIiLi4ELi3ELi3EEEJSt7dividesIiEiEEEvT_T0_DpT1_
; %bb.0:
	v_mov_b32_e32 v1, s6
	global_load_ubyte v1, v1, s[4:5] offset:1440
	s_add_u32 s0, s4, s6
	s_mul_hi_u32 s1, s6, 3
	s_mul_i32 s6, s6, 3
	s_addc_u32 s2, s5, 0
	s_add_u32 s0, s0, s6
	s_addc_u32 s1, s2, s1
	s_load_dword s0, s[0:1], 0x6e0
	s_mov_b32 s3, 0
	s_mov_b32 s7, s3
	;; [unrolled: 1-line block ×3, first 2 shown]
	s_waitcnt lgkmcnt(0)
	s_ashr_i32 s1, s0, 31
	s_lshl_b64 s[18:19], s[0:1], 18
	s_waitcnt vmcnt(0)
	v_readfirstlane_b32 s2, v1
	s_lshl_b32 s2, s2, 3
	s_load_dwordx2 s[20:21], s[4:5], s2 offset:0x0
	s_load_dwordx2 s[14:15], s[4:5], s2 offset:0x120
	s_load_dword s28, s[4:5], 0xbec
	s_load_dwordx2 s[22:23], s[4:5], s2 offset:0x480
	s_load_dwordx2 s[16:17], s[4:5], s2 offset:0x240
	;; [unrolled: 1-line block ×3, first 2 shown]
	s_waitcnt lgkmcnt(0)
	s_add_u32 s6, s14, s18
	s_and_b32 s2, s20, 15
	s_and_b32 s6, s6, 15
	s_cmp_eq_u64 s[6:7], 0
	s_cselect_b64 s[6:7], -1, 0
	s_add_u32 s8, s16, s18
	s_or_b32 s8, s10, s8
	s_and_b32 s8, s8, 15
	s_cmp_eq_u32 s8, 0
	s_cselect_b64 s[12:13], -1, 0
	s_lshl_b64 s[0:1], s[0:1], 16
	s_and_b64 s[6:7], s[12:13], s[6:7]
	s_sub_u32 s12, s22, s0
	s_subb_u32 s13, s23, s1
	s_and_b32 s8, s22, 3
	s_or_b64 s[0:1], s[2:3], s[8:9]
	s_cmp_eq_u64 s[0:1], 0
	s_cselect_b64 s[0:1], -1, 0
	s_and_b64 s[2:3], s[6:7], s[0:1]
	s_mov_b64 s[0:1], -1
	s_and_b64 vcc, exec, s[2:3]
	s_cbranch_vccnz .LBB46_29
; %bb.1:
	v_cmp_lt_i64_e64 s[0:1], s[12:13], 1
	s_and_b64 vcc, exec, s[0:1]
	s_cbranch_vccnz .LBB46_28
; %bb.2:
	s_load_dword s0, s[4:5], 0xbfc
	v_mov_b32_e32 v19, 0
	v_lshlrev_b32_e32 v18, 2, v0
	v_mov_b32_e32 v21, s21
	v_mov_b32_e32 v23, s15
	s_waitcnt lgkmcnt(0)
	s_and_b32 s6, s0, 0xffff
	v_mad_u64_u32 v[16:17], s[2:3], s6, 12, v[18:19]
	v_add_co_u32_e64 v10, s[2:3], s20, v16
	v_addc_co_u32_e64 v5, s[2:3], v21, v17, s[2:3]
	v_add_co_u32_e64 v12, s[2:3], s14, v16
	v_addc_co_u32_e64 v7, s[2:3], v23, v17, s[2:3]
	v_mov_b32_e32 v27, s17
	v_add_co_u32_e64 v14, s[2:3], s16, v16
	v_addc_co_u32_e64 v9, s[2:3], v27, v17, s[2:3]
	v_mov_b32_e32 v2, 0x10000
	v_mov_b32_e32 v31, s11
	v_add_co_u32_e64 v16, s[2:3], s10, v16
	v_mov_b32_e32 v3, 0
	s_mul_i32 s8, s6, 3
	v_addc_co_u32_e64 v11, s[2:3], v31, v17, s[2:3]
	v_cmp_lt_u64_e32 vcc, s[12:13], v[2:3]
	v_add_co_u32_e64 v33, s[2:3], s8, v0
	s_and_b64 s[0:1], vcc, exec
	v_add_co_u32_e32 v2, vcc, s20, v18
	v_addc_co_u32_e64 v35, s[2:3], 0, 0, s[2:3]
	s_cselect_b32 s23, s13, 0
	s_cselect_b32 s22, s12, 0x10000
	v_addc_co_u32_e32 v1, vcc, 0, v21, vcc
	s_lshl_b32 s2, s6, 3
	v_add_co_u32_e32 v4, vcc, s14, v18
	v_add_co_u32_e64 v19, s[2:3], s2, v18
	v_addc_co_u32_e32 v3, vcc, 0, v23, vcc
	v_addc_co_u32_e64 v25, s[2:3], 0, 0, s[2:3]
	v_add_co_u32_e32 v6, vcc, s16, v18
	v_add_co_u32_e64 v8, s[0:1], s10, v18
	v_add_co_u32_e64 v18, s[2:3], s20, v19
	v_addc_co_u32_e64 v13, s[2:3], v21, v25, s[2:3]
	v_add_co_u32_e64 v20, s[2:3], s14, v19
	v_addc_co_u32_e64 v15, s[2:3], v23, v25, s[2:3]
	;; [unrolled: 2-line block ×3, first 2 shown]
	v_add_co_u32_e64 v24, s[2:3], s10, v19
	s_lshl_b32 s7, s6, 1
	v_addc_co_u32_e64 v19, s[2:3], v31, v25, s[2:3]
	v_add_co_u32_e64 v37, s[2:3], s7, v0
	v_addc_co_u32_e64 v39, s[2:3], 0, 0, s[2:3]
	v_add_co_u32_e64 v41, s[2:3], s6, v0
	v_addc_co_u32_e64 v42, s[2:3], 0, 0, s[2:3]
	v_lshlrev_b32_e32 v29, 2, v41
	v_addc_co_u32_e32 v25, vcc, 0, v27, vcc
	v_add_co_u32_e64 v26, s[2:3], s20, v29
	v_add_co_u32_e32 v30, vcc, s16, v29
	v_addc_co_u32_e64 v21, s[2:3], 0, v21, s[2:3]
	v_addc_co_u32_e32 v27, vcc, 0, v27, vcc
	v_add_co_u32_e64 v28, s[2:3], s14, v29
	v_add_co_u32_e32 v32, vcc, s10, v29
	s_mov_b32 s29, 0
	s_lshl_b32 s30, s6, 2
	s_lshl_b32 s31, s6, 4
	s_mov_b64 s[24:25], 0
	v_addc_co_u32_e64 v23, s[2:3], 0, v23, s[2:3]
	v_addc_co_u32_e64 v29, s[0:1], 0, v31, s[0:1]
	v_addc_co_u32_e32 v31, vcc, 0, v31, vcc
	s_branch .LBB46_4
.LBB46_3:                               ;   in Loop: Header=BB46_4 Depth=1
	s_or_b64 exec, exec, s[0:1]
	s_waitcnt vmcnt(1)
	v_mov_b32_e32 v34, s29
	v_add_co_u32_e64 v2, s[2:3], s31, v2
	v_addc_co_u32_e64 v1, s[2:3], v1, v34, s[2:3]
	v_add_co_u32_e64 v4, s[2:3], s31, v4
	v_addc_co_u32_e64 v3, s[2:3], v3, v34, s[2:3]
	;; [unrolled: 2-line block ×12, first 2 shown]
	v_add_co_u32_e64 v26, s[2:3], s31, v26
	s_add_u32 s24, s24, s30
	v_addc_co_u32_e64 v21, s[2:3], v21, v34, s[2:3]
	s_addc_u32 s25, s25, 0
	s_waitcnt vmcnt(0)
	v_pk_mov_b32 v[44:45], s[12:13], s[12:13] op_sel:[0,1]
	v_add_co_u32_e64 v28, s[2:3], s31, v28
	v_cmp_lt_i64_e32 vcc, s[24:25], v[44:45]
	v_mov_b32_e32 v44, 0x10000
	v_addc_co_u32_e64 v23, s[2:3], v23, v34, s[2:3]
	v_mov_b32_e32 v45, 0
	v_add_co_u32_e64 v30, s[2:3], s31, v30
	v_cmp_lt_u64_e64 s[0:1], s[24:25], v[44:45]
	v_addc_co_u32_e64 v27, s[2:3], v27, v34, s[2:3]
	v_add_co_u32_e64 v32, s[2:3], s31, v32
	s_and_b64 s[0:1], vcc, s[0:1]
	v_addc_co_u32_e64 v31, s[2:3], v31, v34, s[2:3]
	s_and_b64 vcc, exec, s[0:1]
	s_cbranch_vccz .LBB46_28
.LBB46_4:                               ; =>This Inner Loop Header: Depth=1
	v_mov_b32_e32 v34, s25
	v_add_co_u32_e32 v44, vcc, s24, v0
	v_addc_co_u32_e32 v45, vcc, 0, v34, vcc
	v_cmp_gt_u64_e32 vcc, s[22:23], v[44:45]
	v_mov_b32_e32 v40, 0
	v_mov_b32_e32 v43, 0
	s_and_saveexec_b64 s[2:3], vcc
	s_cbranch_execz .LBB46_6
; %bb.5:                                ;   in Loop: Header=BB46_4 Depth=1
	v_mov_b32_e32 v34, s19
	v_add_co_u32_e64 v44, s[0:1], s18, v2
	v_addc_co_u32_e64 v45, s[0:1], v1, v34, s[0:1]
	v_add_co_u32_e64 v46, s[0:1], s18, v4
	v_addc_co_u32_e64 v47, s[0:1], v3, v34, s[0:1]
	global_load_dword v40, v[44:45], off
	global_load_dword v43, v[46:47], off
.LBB46_6:                               ;   in Loop: Header=BB46_4 Depth=1
	s_or_b64 exec, exec, s[2:3]
	v_mov_b32_e32 v34, 0
	v_mov_b32_e32 v47, 0
	s_and_saveexec_b64 s[2:3], vcc
	s_cbranch_execz .LBB46_8
; %bb.7:                                ;   in Loop: Header=BB46_4 Depth=1
	v_mov_b32_e32 v36, s19
	v_add_co_u32_e64 v44, s[0:1], s18, v6
	v_addc_co_u32_e64 v45, s[0:1], v25, v36, s[0:1]
	global_load_dword v47, v[44:45], off
.LBB46_8:                               ;   in Loop: Header=BB46_4 Depth=1
	s_or_b64 exec, exec, s[2:3]
	v_mov_b32_e32 v36, s25
	v_add_co_u32_e64 v44, s[0:1], s24, v41
	v_addc_co_u32_e64 v45, s[0:1], v42, v36, s[0:1]
	v_cmp_gt_u64_e64 s[0:1], s[22:23], v[44:45]
	v_mov_b32_e32 v44, 0
	s_and_saveexec_b64 s[6:7], s[0:1]
	s_cbranch_execz .LBB46_10
; %bb.9:                                ;   in Loop: Header=BB46_4 Depth=1
	v_mov_b32_e32 v34, s19
	v_add_co_u32_e64 v48, s[2:3], s18, v26
	v_addc_co_u32_e64 v49, s[2:3], v21, v34, s[2:3]
	v_add_co_u32_e64 v50, s[2:3], s18, v28
	v_addc_co_u32_e64 v51, s[2:3], v23, v34, s[2:3]
	global_load_dword v34, v[48:49], off
	global_load_dword v44, v[50:51], off
.LBB46_10:                              ;   in Loop: Header=BB46_4 Depth=1
	s_or_b64 exec, exec, s[6:7]
	v_mov_b32_e32 v36, 0
	v_mov_b32_e32 v48, 0
	s_and_saveexec_b64 s[6:7], s[0:1]
	s_cbranch_execz .LBB46_12
; %bb.11:                               ;   in Loop: Header=BB46_4 Depth=1
	v_mov_b32_e32 v38, s19
	v_add_co_u32_e64 v48, s[2:3], s18, v30
	v_addc_co_u32_e64 v49, s[2:3], v27, v38, s[2:3]
	global_load_dword v48, v[48:49], off
.LBB46_12:                              ;   in Loop: Header=BB46_4 Depth=1
	s_or_b64 exec, exec, s[6:7]
	v_mov_b32_e32 v38, s25
	v_add_co_u32_e64 v50, s[2:3], s24, v37
	v_addc_co_u32_e64 v51, s[2:3], v39, v38, s[2:3]
	v_cmp_gt_u64_e64 s[2:3], s[22:23], v[50:51]
	v_mov_b32_e32 v45, 0
	s_and_saveexec_b64 s[8:9], s[2:3]
	s_cbranch_execz .LBB46_14
; %bb.13:                               ;   in Loop: Header=BB46_4 Depth=1
	v_mov_b32_e32 v36, s19
	v_add_co_u32_e64 v50, s[6:7], s18, v18
	v_addc_co_u32_e64 v51, s[6:7], v13, v36, s[6:7]
	v_add_co_u32_e64 v52, s[6:7], s18, v20
	v_addc_co_u32_e64 v53, s[6:7], v15, v36, s[6:7]
	global_load_dword v36, v[50:51], off
	global_load_dword v45, v[52:53], off
.LBB46_14:                              ;   in Loop: Header=BB46_4 Depth=1
	s_or_b64 exec, exec, s[8:9]
	v_mov_b32_e32 v38, 0
	v_mov_b32_e32 v49, 0
	s_and_saveexec_b64 s[8:9], s[2:3]
	s_cbranch_execz .LBB46_16
; %bb.15:                               ;   in Loop: Header=BB46_4 Depth=1
	v_mov_b32_e32 v46, s19
	v_add_co_u32_e64 v50, s[6:7], s18, v22
	v_addc_co_u32_e64 v51, s[6:7], v17, v46, s[6:7]
	global_load_dword v49, v[50:51], off
.LBB46_16:                              ;   in Loop: Header=BB46_4 Depth=1
	s_or_b64 exec, exec, s[8:9]
	v_mov_b32_e32 v46, s25
	v_add_co_u32_e64 v50, s[6:7], s24, v33
	v_addc_co_u32_e64 v51, s[6:7], v35, v46, s[6:7]
	v_cmp_gt_u64_e64 s[6:7], s[22:23], v[50:51]
	v_mov_b32_e32 v46, 0
	s_and_saveexec_b64 s[26:27], s[6:7]
	s_cbranch_execnz .LBB46_22
; %bb.17:                               ;   in Loop: Header=BB46_4 Depth=1
	s_or_b64 exec, exec, s[26:27]
	v_mov_b32_e32 v50, 0
	s_and_saveexec_b64 s[26:27], s[6:7]
	s_cbranch_execnz .LBB46_23
.LBB46_18:                              ;   in Loop: Header=BB46_4 Depth=1
	s_or_b64 exec, exec, s[26:27]
	s_and_saveexec_b64 s[8:9], vcc
	s_cbranch_execnz .LBB46_24
.LBB46_19:                              ;   in Loop: Header=BB46_4 Depth=1
	s_or_b64 exec, exec, s[8:9]
	s_and_saveexec_b64 s[8:9], s[0:1]
	s_cbranch_execnz .LBB46_25
.LBB46_20:                              ;   in Loop: Header=BB46_4 Depth=1
	s_or_b64 exec, exec, s[8:9]
	s_and_saveexec_b64 s[0:1], s[2:3]
	s_cbranch_execnz .LBB46_26
.LBB46_21:                              ;   in Loop: Header=BB46_4 Depth=1
	s_or_b64 exec, exec, s[0:1]
	s_and_saveexec_b64 s[0:1], s[6:7]
	s_cbranch_execz .LBB46_3
	s_branch .LBB46_27
.LBB46_22:                              ;   in Loop: Header=BB46_4 Depth=1
	v_mov_b32_e32 v38, s19
	v_add_co_u32_e64 v50, s[8:9], s18, v10
	v_addc_co_u32_e64 v51, s[8:9], v5, v38, s[8:9]
	v_add_co_u32_e64 v52, s[8:9], s18, v12
	v_addc_co_u32_e64 v53, s[8:9], v7, v38, s[8:9]
	global_load_dword v38, v[50:51], off
	global_load_dword v46, v[52:53], off
	s_or_b64 exec, exec, s[26:27]
	v_mov_b32_e32 v50, 0
	s_and_saveexec_b64 s[26:27], s[6:7]
	s_cbranch_execz .LBB46_18
.LBB46_23:                              ;   in Loop: Header=BB46_4 Depth=1
	v_mov_b32_e32 v51, s19
	v_add_co_u32_e64 v50, s[8:9], s18, v14
	v_addc_co_u32_e64 v51, s[8:9], v9, v51, s[8:9]
	global_load_dword v50, v[50:51], off
	s_or_b64 exec, exec, s[26:27]
	s_and_saveexec_b64 s[8:9], vcc
	s_cbranch_execz .LBB46_19
.LBB46_24:                              ;   in Loop: Header=BB46_4 Depth=1
	s_waitcnt vmcnt(0)
	v_sub_u32_e32 v51, 0, v47
	v_max_i32_e32 v51, v47, v51
	v_cvt_f32_u32_e32 v52, v51
	v_sub_u32_e32 v55, 0, v43
	v_xor_b32_e32 v47, v43, v47
	v_max_i32_e32 v43, v43, v55
	v_rcp_iflag_f32_e32 v54, v52
	v_sub_u32_e32 v55, 0, v51
	v_mov_b32_e32 v53, s19
	v_add_co_u32_e32 v52, vcc, s18, v8
	v_mul_f32_e32 v54, 0x4f7ffffe, v54
	v_cvt_u32_f32_e32 v54, v54
	v_addc_co_u32_e32 v53, vcc, v29, v53, vcc
	v_ashrrev_i32_e32 v47, 31, v47
	v_mul_lo_u32 v55, v55, v54
	v_mul_hi_u32 v55, v54, v55
	v_add_u32_e32 v54, v54, v55
	v_mul_hi_u32 v54, v43, v54
	v_mul_lo_u32 v55, v54, v51
	v_sub_u32_e32 v43, v43, v55
	v_add_u32_e32 v55, 1, v54
	v_cmp_ge_u32_e32 vcc, v43, v51
	v_cndmask_b32_e32 v54, v54, v55, vcc
	v_sub_u32_e32 v55, v43, v51
	v_cndmask_b32_e32 v43, v43, v55, vcc
	v_add_u32_e32 v55, 1, v54
	v_cmp_ge_u32_e32 vcc, v43, v51
	v_cndmask_b32_e32 v43, v54, v55, vcc
	v_xor_b32_e32 v43, v43, v47
	v_sub_u32_e32 v43, v43, v47
	v_mad_u64_u32 v[54:55], s[26:27], v43, s28, v[40:41]
	global_store_dword v[52:53], v54, off
	s_or_b64 exec, exec, s[8:9]
	s_and_saveexec_b64 s[8:9], s[0:1]
	s_cbranch_execz .LBB46_20
.LBB46_25:                              ;   in Loop: Header=BB46_4 Depth=1
	s_waitcnt vmcnt(0)
	v_sub_u32_e32 v40, 0, v48
	v_max_i32_e32 v40, v48, v40
	v_cvt_f32_u32_e32 v43, v40
	v_xor_b32_e32 v47, v44, v48
	v_sub_u32_e32 v48, 0, v44
	v_max_i32_e32 v44, v44, v48
	v_rcp_iflag_f32_e32 v43, v43
	v_sub_u32_e32 v48, 0, v40
	v_ashrrev_i32_e32 v47, 31, v47
	v_mul_f32_e32 v43, 0x4f7ffffe, v43
	v_cvt_u32_f32_e32 v43, v43
	v_mul_lo_u32 v48, v48, v43
	v_mul_hi_u32 v48, v43, v48
	v_add_u32_e32 v43, v43, v48
	v_mul_hi_u32 v43, v44, v43
	v_mul_lo_u32 v48, v43, v40
	v_sub_u32_e32 v44, v44, v48
	v_add_u32_e32 v51, 1, v43
	v_cmp_ge_u32_e32 vcc, v44, v40
	v_sub_u32_e32 v48, v44, v40
	v_cndmask_b32_e32 v43, v43, v51, vcc
	v_cndmask_b32_e32 v44, v44, v48, vcc
	v_add_u32_e32 v48, 1, v43
	v_cmp_ge_u32_e32 vcc, v44, v40
	v_cndmask_b32_e32 v40, v43, v48, vcc
	v_xor_b32_e32 v40, v40, v47
	v_sub_u32_e32 v40, v40, v47
	v_mad_u64_u32 v[52:53], s[0:1], v40, s28, v[34:35]
	v_mov_b32_e32 v34, s19
	v_add_co_u32_e32 v54, vcc, s18, v32
	v_addc_co_u32_e32 v55, vcc, v31, v34, vcc
	global_store_dword v[54:55], v52, off
	s_or_b64 exec, exec, s[8:9]
	s_and_saveexec_b64 s[0:1], s[2:3]
	s_cbranch_execz .LBB46_21
.LBB46_26:                              ;   in Loop: Header=BB46_4 Depth=1
	s_waitcnt vmcnt(0)
	v_sub_u32_e32 v34, 0, v49
	v_max_i32_e32 v34, v49, v34
	v_cvt_f32_u32_e32 v40, v34
	v_sub_u32_e32 v44, 0, v45
	v_xor_b32_e32 v43, v45, v49
	v_max_i32_e32 v44, v45, v44
	v_rcp_iflag_f32_e32 v40, v40
	v_sub_u32_e32 v45, 0, v34
	v_ashrrev_i32_e32 v43, 31, v43
	v_mul_f32_e32 v40, 0x4f7ffffe, v40
	v_cvt_u32_f32_e32 v40, v40
	v_mul_lo_u32 v45, v45, v40
	v_mul_hi_u32 v45, v40, v45
	v_add_u32_e32 v40, v40, v45
	v_mul_hi_u32 v40, v44, v40
	v_mul_lo_u32 v45, v40, v34
	v_sub_u32_e32 v44, v44, v45
	v_add_u32_e32 v47, 1, v40
	v_cmp_ge_u32_e32 vcc, v44, v34
	v_sub_u32_e32 v45, v44, v34
	v_cndmask_b32_e32 v40, v40, v47, vcc
	v_cndmask_b32_e32 v44, v44, v45, vcc
	v_add_u32_e32 v45, 1, v40
	v_cmp_ge_u32_e32 vcc, v44, v34
	v_cndmask_b32_e32 v34, v40, v45, vcc
	v_xor_b32_e32 v34, v34, v43
	v_sub_u32_e32 v34, v34, v43
	v_mad_u64_u32 v[44:45], s[2:3], v34, s28, v[36:37]
	v_mov_b32_e32 v34, s19
	v_add_co_u32_e32 v48, vcc, s18, v24
	v_addc_co_u32_e32 v49, vcc, v19, v34, vcc
	global_store_dword v[48:49], v44, off
	s_or_b64 exec, exec, s[0:1]
	s_and_saveexec_b64 s[0:1], s[6:7]
	s_cbranch_execz .LBB46_3
.LBB46_27:                              ;   in Loop: Header=BB46_4 Depth=1
	s_waitcnt vmcnt(0)
	v_sub_u32_e32 v34, 0, v50
	v_max_i32_e32 v34, v50, v34
	v_cvt_f32_u32_e32 v36, v34
	v_sub_u32_e32 v44, 0, v34
	v_sub_u32_e32 v43, 0, v46
	v_max_i32_e32 v43, v46, v43
	v_rcp_iflag_f32_e32 v36, v36
	v_xor_b32_e32 v40, v46, v50
	v_ashrrev_i32_e32 v40, 31, v40
	v_mul_f32_e32 v36, 0x4f7ffffe, v36
	v_cvt_u32_f32_e32 v36, v36
	v_mul_lo_u32 v44, v44, v36
	v_mul_hi_u32 v44, v36, v44
	v_add_u32_e32 v36, v36, v44
	v_mul_hi_u32 v36, v43, v36
	v_mul_lo_u32 v44, v36, v34
	v_sub_u32_e32 v43, v43, v44
	v_add_u32_e32 v45, 1, v36
	v_cmp_ge_u32_e32 vcc, v43, v34
	v_sub_u32_e32 v44, v43, v34
	v_cndmask_b32_e32 v36, v36, v45, vcc
	v_cndmask_b32_e32 v43, v43, v44, vcc
	v_add_u32_e32 v44, 1, v36
	v_cmp_ge_u32_e32 vcc, v43, v34
	v_cndmask_b32_e32 v34, v36, v44, vcc
	v_xor_b32_e32 v34, v34, v40
	v_sub_u32_e32 v34, v34, v40
	v_mad_u64_u32 v[44:45], s[2:3], v34, s28, v[38:39]
	v_mov_b32_e32 v34, s19
	v_add_co_u32_e32 v46, vcc, s18, v16
	v_addc_co_u32_e32 v47, vcc, v11, v34, vcc
	global_store_dword v[46:47], v44, off
	s_branch .LBB46_3
.LBB46_28:
	s_mov_b64 s[0:1], 0
.LBB46_29:
	s_andn2_b64 vcc, exec, s[0:1]
	s_cbranch_vccnz .LBB46_33
; %bb.30:
	v_mov_b32_e32 v3, 0
	v_lshlrev_b32_e32 v2, 2, v0
	s_mov_b32 s0, 0
	v_cmp_gt_i64_e32 vcc, s[12:13], v[2:3]
	s_and_saveexec_b64 s[2:3], vcc
	s_cbranch_execz .LBB46_33
; %bb.31:
	s_load_dword s1, s[4:5], 0xbfc
	v_mov_b32_e32 v4, s19
	v_lshlrev_b32_e32 v1, 4, v0
	s_mov_b32 s22, s28
	s_mov_b64 s[6:7], 0
	s_waitcnt lgkmcnt(0)
	s_and_b32 s1, s1, 0xffff
	s_lshl_b32 s19, s1, 2
	s_add_u32 s20, s20, 8
	v_add_lshl_u32 v2, v0, s1, 2
	s_addc_u32 s2, s21, 0
	v_add_co_u32_e32 v0, vcc, s18, v1
	s_lshl_b32 s18, s1, 4
	s_add_u32 s14, s14, 8
	s_addc_u32 s3, s15, 0
	s_add_u32 s15, s16, 8
	s_addc_u32 s4, s17, 0
	v_addc_co_u32_e32 v1, vcc, 0, v4, vcc
	v_mov_b32_e32 v6, s2
	v_mov_b32_e32 v7, s3
	v_mov_b32_e32 v8, s4
	v_mov_b32_e32 v9, s11
	s_mov_b64 s[8:9], 0xffff
	v_mov_b32_e32 v10, s0
	v_mov_b32_e32 v11, s0
.LBB46_32:                              ; =>This Inner Loop Header: Depth=1
	v_add_co_u32_e32 v24, vcc, s20, v0
	v_addc_co_u32_e32 v25, vcc, v6, v1, vcc
	v_add_co_u32_e32 v26, vcc, s14, v0
	v_addc_co_u32_e32 v27, vcc, v7, v1, vcc
	;; [unrolled: 2-line block ×3, first 2 shown]
	global_load_dwordx4 v[12:15], v[26:27], off offset:-8
	global_load_dwordx4 v[16:19], v[28:29], off offset:-8
	;; [unrolled: 1-line block ×3, first 2 shown]
	v_add_co_u32_e32 v4, vcc, s10, v0
	v_addc_co_u32_e32 v5, vcc, v9, v1, vcc
	v_cmp_le_i64_e32 vcc, s[12:13], v[2:3]
	v_cmp_lt_u64_e64 s[0:1], s[8:9], v[2:3]
	v_add_co_u32_e64 v2, s[2:3], s19, v2
	v_addc_co_u32_e64 v3, s[2:3], v3, v10, s[2:3]
	s_or_b64 s[0:1], vcc, s[0:1]
	v_add_co_u32_e64 v0, s[2:3], s18, v0
	s_and_b64 s[0:1], exec, s[0:1]
	v_addc_co_u32_e64 v1, s[2:3], v1, v11, s[2:3]
	s_or_b64 s[6:7], s[0:1], s[6:7]
	s_waitcnt vmcnt(2)
	v_sub_u32_e32 v30, 0, v13
	s_waitcnt vmcnt(1)
	v_sub_u32_e32 v28, 0, v16
	v_xor_b32_e32 v25, v12, v16
	v_sub_u32_e32 v31, 0, v17
	v_max_i32_e32 v16, v16, v28
	v_xor_b32_e32 v29, v13, v17
	v_xor_b32_e32 v32, v14, v18
	v_sub_u32_e32 v34, 0, v18
	v_max_i32_e32 v13, v13, v30
	v_max_i32_e32 v17, v17, v31
	v_cvt_f32_u32_e32 v30, v16
	v_sub_u32_e32 v37, 0, v19
	v_ashrrev_i32_e32 v28, 31, v32
	v_max_i32_e32 v18, v18, v34
	v_cvt_f32_u32_e32 v32, v17
	v_xor_b32_e32 v35, v15, v19
	v_sub_u32_e32 v36, 0, v15
	v_max_i32_e32 v19, v19, v37
	v_cvt_f32_u32_e32 v34, v18
	v_max_i32_e32 v15, v15, v36
	v_cvt_f32_u32_e32 v36, v19
	v_rcp_iflag_f32_e32 v30, v30
	v_rcp_iflag_f32_e32 v32, v32
	;; [unrolled: 1-line block ×4, first 2 shown]
	v_mul_f32_e32 v30, 0x4f7ffffe, v30
	v_mul_f32_e32 v32, 0x4f7ffffe, v32
	v_cvt_u32_f32_e32 v30, v30
	v_mul_f32_e32 v34, 0x4f7ffffe, v34
	v_cvt_u32_f32_e32 v32, v32
	;; [unrolled: 2-line block ×3, first 2 shown]
	v_sub_u32_e32 v33, 0, v14
	v_sub_u32_e32 v31, 0, v16
	v_cvt_u32_f32_e32 v36, v36
	v_sub_u32_e32 v27, 0, v12
	v_max_i32_e32 v14, v14, v33
	v_sub_u32_e32 v33, 0, v17
	v_mul_lo_u32 v31, v31, v30
	v_max_i32_e32 v12, v12, v27
	v_ashrrev_i32_e32 v27, 31, v29
	v_ashrrev_i32_e32 v29, 31, v35
	v_sub_u32_e32 v35, 0, v18
	v_mul_lo_u32 v33, v33, v32
	v_mul_hi_u32 v31, v30, v31
	v_sub_u32_e32 v37, 0, v19
	v_mul_lo_u32 v35, v35, v34
	v_mul_hi_u32 v33, v32, v33
	v_add_u32_e32 v30, v30, v31
	v_mul_lo_u32 v37, v37, v36
	v_mul_hi_u32 v35, v34, v35
	v_add_u32_e32 v31, v32, v33
	v_mul_hi_u32 v30, v12, v30
	v_mul_hi_u32 v37, v36, v37
	v_add_u32_e32 v32, v34, v35
	v_mul_hi_u32 v31, v13, v31
	v_mul_lo_u32 v34, v30, v16
	v_add_u32_e32 v33, v36, v37
	v_mul_hi_u32 v32, v14, v32
	v_mul_lo_u32 v36, v31, v17
	v_sub_u32_e32 v12, v12, v34
	v_mul_hi_u32 v33, v15, v33
	v_add_u32_e32 v35, 1, v30
	v_mul_lo_u32 v38, v32, v18
	v_sub_u32_e32 v13, v13, v36
	v_cmp_ge_u32_e32 vcc, v12, v16
	v_sub_u32_e32 v34, v12, v16
	v_add_u32_e32 v37, 1, v31
	v_mul_lo_u32 v40, v33, v19
	v_sub_u32_e32 v14, v14, v38
	v_cndmask_b32_e32 v30, v30, v35, vcc
	v_cmp_ge_u32_e64 s[0:1], v13, v17
	v_sub_u32_e32 v35, v13, v17
	v_cndmask_b32_e32 v12, v12, v34, vcc
	v_add_u32_e32 v39, 1, v32
	v_sub_u32_e32 v15, v15, v40
	v_cndmask_b32_e64 v31, v31, v37, s[0:1]
	v_cmp_ge_u32_e64 s[2:3], v14, v18
	v_sub_u32_e32 v36, v14, v18
	v_add_u32_e32 v34, 1, v30
	v_cndmask_b32_e64 v13, v13, v35, s[0:1]
	v_cmp_ge_u32_e32 vcc, v12, v16
	v_add_u32_e32 v41, 1, v33
	v_cndmask_b32_e64 v32, v32, v39, s[2:3]
	v_cmp_ge_u32_e64 s[4:5], v15, v19
	v_sub_u32_e32 v37, v15, v19
	v_add_u32_e32 v35, 1, v31
	v_cndmask_b32_e64 v14, v14, v36, s[2:3]
	v_cndmask_b32_e32 v12, v30, v34, vcc
	v_cmp_ge_u32_e32 vcc, v13, v17
	v_cndmask_b32_e64 v33, v33, v41, s[4:5]
	v_add_u32_e32 v36, 1, v32
	v_cndmask_b32_e64 v15, v15, v37, s[4:5]
	v_cndmask_b32_e32 v13, v31, v35, vcc
	v_cmp_ge_u32_e32 vcc, v14, v18
	v_add_u32_e32 v37, 1, v33
	v_cndmask_b32_e32 v14, v32, v36, vcc
	v_cmp_ge_u32_e32 vcc, v15, v19
	v_ashrrev_i32_e32 v25, 31, v25
	v_cndmask_b32_e32 v15, v33, v37, vcc
	v_xor_b32_e32 v12, v12, v25
	v_xor_b32_e32 v13, v13, v27
	;; [unrolled: 1-line block ×4, first 2 shown]
	s_waitcnt vmcnt(0)
	v_mov_b32_e32 v24, v21
	v_mov_b32_e32 v26, v23
	v_sub_u32_e32 v12, v12, v25
	v_sub_u32_e32 v13, v13, v27
	;; [unrolled: 1-line block ×4, first 2 shown]
	v_mad_u64_u32 v[16:17], s[0:1], v13, s22, v[24:25]
	v_mad_u64_u32 v[12:13], s[0:1], v12, s28, v[20:21]
	v_mad_u64_u32 v[18:19], s[0:1], v15, s22, v[26:27]
	v_mad_u64_u32 v[14:15], s[0:1], v14, s28, v[22:23]
	v_mov_b32_e32 v13, v16
	v_mov_b32_e32 v15, v18
	global_store_dwordx4 v[4:5], v[12:15], off
	s_andn2_b64 exec, exec, s[6:7]
	s_cbranch_execnz .LBB46_32
.LBB46_33:
	s_endpgm
	.section	.rodata,"a",@progbits
	.p2align	6, 0x0
	.amdhsa_kernel _ZN2at6native12_GLOBAL__N_125multi_tensor_apply_kernelINS1_18TensorListMetadataILi4EEENS1_24PointwiseOpScalarFunctorIiLi4ELi3ELi3EEEJSt7dividesIiEiEEEvT_T0_DpT1_
		.amdhsa_group_segment_fixed_size 0
		.amdhsa_private_segment_fixed_size 0
		.amdhsa_kernarg_size 3312
		.amdhsa_user_sgpr_count 6
		.amdhsa_user_sgpr_private_segment_buffer 1
		.amdhsa_user_sgpr_dispatch_ptr 0
		.amdhsa_user_sgpr_queue_ptr 0
		.amdhsa_user_sgpr_kernarg_segment_ptr 1
		.amdhsa_user_sgpr_dispatch_id 0
		.amdhsa_user_sgpr_flat_scratch_init 0
		.amdhsa_user_sgpr_kernarg_preload_length 0
		.amdhsa_user_sgpr_kernarg_preload_offset 0
		.amdhsa_user_sgpr_private_segment_size 0
		.amdhsa_uses_dynamic_stack 0
		.amdhsa_system_sgpr_private_segment_wavefront_offset 0
		.amdhsa_system_sgpr_workgroup_id_x 1
		.amdhsa_system_sgpr_workgroup_id_y 0
		.amdhsa_system_sgpr_workgroup_id_z 0
		.amdhsa_system_sgpr_workgroup_info 0
		.amdhsa_system_vgpr_workitem_id 0
		.amdhsa_next_free_vgpr 56
		.amdhsa_next_free_sgpr 32
		.amdhsa_accum_offset 56
		.amdhsa_reserve_vcc 1
		.amdhsa_reserve_flat_scratch 0
		.amdhsa_float_round_mode_32 0
		.amdhsa_float_round_mode_16_64 0
		.amdhsa_float_denorm_mode_32 3
		.amdhsa_float_denorm_mode_16_64 3
		.amdhsa_dx10_clamp 1
		.amdhsa_ieee_mode 1
		.amdhsa_fp16_overflow 0
		.amdhsa_tg_split 0
		.amdhsa_exception_fp_ieee_invalid_op 0
		.amdhsa_exception_fp_denorm_src 0
		.amdhsa_exception_fp_ieee_div_zero 0
		.amdhsa_exception_fp_ieee_overflow 0
		.amdhsa_exception_fp_ieee_underflow 0
		.amdhsa_exception_fp_ieee_inexact 0
		.amdhsa_exception_int_div_zero 0
	.end_amdhsa_kernel
	.section	.text._ZN2at6native12_GLOBAL__N_125multi_tensor_apply_kernelINS1_18TensorListMetadataILi4EEENS1_24PointwiseOpScalarFunctorIiLi4ELi3ELi3EEEJSt7dividesIiEiEEEvT_T0_DpT1_,"axG",@progbits,_ZN2at6native12_GLOBAL__N_125multi_tensor_apply_kernelINS1_18TensorListMetadataILi4EEENS1_24PointwiseOpScalarFunctorIiLi4ELi3ELi3EEEJSt7dividesIiEiEEEvT_T0_DpT1_,comdat
.Lfunc_end46:
	.size	_ZN2at6native12_GLOBAL__N_125multi_tensor_apply_kernelINS1_18TensorListMetadataILi4EEENS1_24PointwiseOpScalarFunctorIiLi4ELi3ELi3EEEJSt7dividesIiEiEEEvT_T0_DpT1_, .Lfunc_end46-_ZN2at6native12_GLOBAL__N_125multi_tensor_apply_kernelINS1_18TensorListMetadataILi4EEENS1_24PointwiseOpScalarFunctorIiLi4ELi3ELi3EEEJSt7dividesIiEiEEEvT_T0_DpT1_
                                        ; -- End function
	.section	.AMDGPU.csdata,"",@progbits
; Kernel info:
; codeLenInByte = 3172
; NumSgprs: 36
; NumVgprs: 56
; NumAgprs: 0
; TotalNumVgprs: 56
; ScratchSize: 0
; MemoryBound: 0
; FloatMode: 240
; IeeeMode: 1
; LDSByteSize: 0 bytes/workgroup (compile time only)
; SGPRBlocks: 4
; VGPRBlocks: 6
; NumSGPRsForWavesPerEU: 36
; NumVGPRsForWavesPerEU: 56
; AccumOffset: 56
; Occupancy: 8
; WaveLimiterHint : 0
; COMPUTE_PGM_RSRC2:SCRATCH_EN: 0
; COMPUTE_PGM_RSRC2:USER_SGPR: 6
; COMPUTE_PGM_RSRC2:TRAP_HANDLER: 0
; COMPUTE_PGM_RSRC2:TGID_X_EN: 1
; COMPUTE_PGM_RSRC2:TGID_Y_EN: 0
; COMPUTE_PGM_RSRC2:TGID_Z_EN: 0
; COMPUTE_PGM_RSRC2:TIDIG_COMP_CNT: 0
; COMPUTE_PGM_RSRC3_GFX90A:ACCUM_OFFSET: 13
; COMPUTE_PGM_RSRC3_GFX90A:TG_SPLIT: 0
	.section	.text._ZN2at6native12_GLOBAL__N_125multi_tensor_apply_kernelINS1_18TensorListMetadataILi4EEENS1_24PointwiseOpScalarFunctorIlLi4ELi3ELi3EEEJSt7dividesIlElEEEvT_T0_DpT1_,"axG",@progbits,_ZN2at6native12_GLOBAL__N_125multi_tensor_apply_kernelINS1_18TensorListMetadataILi4EEENS1_24PointwiseOpScalarFunctorIlLi4ELi3ELi3EEEJSt7dividesIlElEEEvT_T0_DpT1_,comdat
	.globl	_ZN2at6native12_GLOBAL__N_125multi_tensor_apply_kernelINS1_18TensorListMetadataILi4EEENS1_24PointwiseOpScalarFunctorIlLi4ELi3ELi3EEEJSt7dividesIlElEEEvT_T0_DpT1_ ; -- Begin function _ZN2at6native12_GLOBAL__N_125multi_tensor_apply_kernelINS1_18TensorListMetadataILi4EEENS1_24PointwiseOpScalarFunctorIlLi4ELi3ELi3EEEJSt7dividesIlElEEEvT_T0_DpT1_
	.p2align	8
	.type	_ZN2at6native12_GLOBAL__N_125multi_tensor_apply_kernelINS1_18TensorListMetadataILi4EEENS1_24PointwiseOpScalarFunctorIlLi4ELi3ELi3EEEJSt7dividesIlElEEEvT_T0_DpT1_,@function
_ZN2at6native12_GLOBAL__N_125multi_tensor_apply_kernelINS1_18TensorListMetadataILi4EEENS1_24PointwiseOpScalarFunctorIlLi4ELi3ELi3EEEJSt7dividesIlElEEEvT_T0_DpT1_: ; @_ZN2at6native12_GLOBAL__N_125multi_tensor_apply_kernelINS1_18TensorListMetadataILi4EEENS1_24PointwiseOpScalarFunctorIlLi4ELi3ELi3EEEJSt7dividesIlElEEEvT_T0_DpT1_
; %bb.0:
	v_mov_b32_e32 v1, s6
	global_load_ubyte v1, v1, s[4:5] offset:1440
	s_add_u32 s0, s4, s6
	s_mul_hi_u32 s1, s6, 3
	s_mul_i32 s6, s6, 3
	s_addc_u32 s2, s5, 0
	s_add_u32 s0, s0, s6
	s_addc_u32 s1, s2, s1
	s_load_dword s10, s[0:1], 0x6e0
	s_mov_b32 s19, 0
	s_mov_b32 s15, s19
	;; [unrolled: 1-line block ×3, first 2 shown]
	s_waitcnt lgkmcnt(0)
	s_ashr_i32 s11, s10, 31
	s_lshl_b64 s[16:17], s[10:11], 19
	s_waitcnt vmcnt(0)
	v_readfirstlane_b32 s0, v1
	s_lshl_b32 s14, s0, 3
	s_load_dwordx2 s[8:9], s[4:5], s14 offset:0x0
	s_load_dwordx2 s[12:13], s[4:5], 0xbf0
	s_load_dwordx2 s[22:23], s[4:5], s14 offset:0x480
	s_load_dwordx2 s[6:7], s[4:5], s14 offset:0x120
	;; [unrolled: 1-line block ×4, first 2 shown]
	s_waitcnt lgkmcnt(0)
	s_add_u32 s24, s8, s16
	s_addc_u32 s25, s9, s17
	s_and_b32 s18, s24, 31
	s_add_u32 s26, s6, s16
	s_addc_u32 s27, s7, s17
	s_and_b32 s14, s26, 31
	s_cmp_eq_u64 s[14:15], 0
	s_cselect_b64 s[14:15], -1, 0
	s_add_u32 s28, s2, s16
	s_addc_u32 s29, s3, s17
	s_add_u32 s30, s0, s16
	s_addc_u32 s31, s1, s17
	s_or_b32 s20, s30, s28
	s_and_b32 s20, s20, 31
	s_cmp_eq_u32 s20, 0
	s_cselect_b64 s[34:35], -1, 0
	s_lshl_b64 s[10:11], s[10:11], 16
	s_and_b64 s[34:35], s[34:35], s[14:15]
	s_sub_u32 s14, s22, s10
	s_subb_u32 s15, s23, s11
	s_and_b32 s20, s22, 3
	s_or_b64 s[10:11], s[18:19], s[20:21]
	s_cmp_eq_u64 s[10:11], 0
	s_cselect_b64 s[10:11], -1, 0
	s_and_b64 s[18:19], s[34:35], s[10:11]
	s_mov_b64 s[10:11], -1
	s_and_b64 vcc, exec, s[18:19]
	s_cbranch_vccnz .LBB47_45
; %bb.1:
	v_cmp_lt_i64_e64 s[10:11], s[14:15], 1
	s_and_b64 vcc, exec, s[10:11]
	s_cbranch_vccnz .LBB47_44
; %bb.2:
	s_load_dword s10, s[4:5], 0xc04
	v_mov_b32_e32 v4, 0x10000
	v_mov_b32_e32 v5, 0
	;; [unrolled: 1-line block ×3, first 2 shown]
	v_cmp_lt_u64_e32 vcc, s[14:15], v[4:5]
	s_waitcnt lgkmcnt(0)
	s_and_b32 s20, s10, 0xffff
	v_lshlrev_b32_e32 v32, 3, v0
	s_and_b64 s[10:11], vcc, exec
	v_mov_b32_e32 v33, v2
	v_mov_b32_e32 v3, s9
	v_add_co_u32_e32 v4, vcc, s8, v32
	v_addc_co_u32_e32 v1, vcc, 0, v3, vcc
	v_mad_u64_u32 v[12:13], s[10:11], s20, 24, v[32:33]
	v_add_co_u32_e32 v6, vcc, s8, v12
	v_addc_co_u32_e32 v5, vcc, v3, v13, vcc
	v_mov_b32_e32 v25, s7
	v_add_co_u32_e32 v8, vcc, s6, v12
	v_addc_co_u32_e32 v7, vcc, v25, v13, vcc
	v_mov_b32_e32 v29, s3
	;; [unrolled: 3-line block ×3, first 2 shown]
	v_add_co_u32_e32 v12, vcc, s0, v12
	s_mul_i32 s22, s20, 3
	v_addc_co_u32_e32 v11, vcc, v36, v13, vcc
	s_cselect_b32 s19, s15, 0
	s_cselect_b32 s18, s14, 0x10000
	v_add_co_u32_e32 v35, vcc, s22, v0
	s_lshl_b32 s1, s20, 4
	v_addc_co_u32_e64 v62, s[10:11], 0, 0, vcc
	v_add_co_u32_e32 v19, vcc, s1, v32
	v_addc_co_u32_e64 v21, s[10:11], 0, 0, vcc
	v_add_co_u32_e32 v14, vcc, s8, v19
	v_addc_co_u32_e32 v13, vcc, v3, v21, vcc
	v_add_co_u32_e32 v16, vcc, s6, v19
	v_addc_co_u32_e32 v15, vcc, v25, v21, vcc
	v_add_co_u32_e32 v18, vcc, s2, v19
	v_addc_co_u32_e32 v17, vcc, v29, v21, vcc
	v_add_co_u32_e32 v20, vcc, s0, v19
	s_lshl_b32 s21, s20, 1
	v_addc_co_u32_e32 v19, vcc, v36, v21, vcc
	v_add_co_u32_e32 v63, vcc, s21, v0
	v_addc_co_u32_e64 v64, s[10:11], 0, 0, vcc
	v_add_co_u32_e32 v65, vcc, s20, v0
	v_lshlrev_b32_e32 v33, 3, v65
	v_addc_co_u32_e64 v66, s[10:11], 0, 0, vcc
	v_add_co_u32_e32 v22, vcc, s8, v33
	v_addc_co_u32_e32 v21, vcc, 0, v3, vcc
	v_add_co_u32_e32 v24, vcc, s6, v32
	v_addc_co_u32_e32 v23, vcc, 0, v25, vcc
	;; [unrolled: 2-line block ×6, first 2 shown]
	v_add_co_u32_e32 v34, vcc, s0, v33
	s_mov_b32 s33, 0
	s_lshl_b32 s34, s20, 2
	s_lshl_b32 s35, s20, 5
	s_mov_b64 s[20:21], 0
	v_addc_co_u32_e32 v33, vcc, 0, v36, vcc
	s_branch .LBB47_4
.LBB47_3:                               ;   in Loop: Header=BB47_4 Depth=1
	s_or_b64 exec, exec, s[0:1]
	s_add_u32 s20, s20, s34
	s_addc_u32 s21, s21, 0
	v_pk_mov_b32 v[36:37], s[14:15], s[14:15] op_sel:[0,1]
	v_cmp_lt_i64_e32 vcc, s[20:21], v[36:37]
	v_mov_b32_e32 v36, 0x10000
	v_mov_b32_e32 v37, 0
	v_cmp_lt_u64_e64 s[0:1], s[20:21], v[36:37]
	s_and_b64 s[0:1], vcc, s[0:1]
	v_mov_b32_e32 v3, s33
	v_add_co_u32_e32 v4, vcc, s35, v4
	v_addc_co_u32_e32 v1, vcc, v1, v3, vcc
	v_add_co_u32_e32 v24, vcc, s35, v24
	v_addc_co_u32_e32 v23, vcc, v23, v3, vcc
	;; [unrolled: 2-line block ×16, first 2 shown]
	s_and_b64 vcc, exec, s[0:1]
	s_cbranch_vccz .LBB47_44
.LBB47_4:                               ; =>This Inner Loop Header: Depth=1
	v_mov_b32_e32 v3, s21
	v_add_co_u32_e32 v36, vcc, s20, v0
	v_addc_co_u32_e32 v37, vcc, 0, v3, vcc
	v_pk_mov_b32 v[46:47], 0, 0
	v_cmp_gt_u64_e64 s[8:9], s[18:19], v[36:37]
	v_pk_mov_b32 v[36:37], v[46:47], v[46:47] op_sel:[0,1]
	v_pk_mov_b32 v[42:43], v[46:47], v[46:47] op_sel:[0,1]
	s_and_saveexec_b64 s[0:1], s[8:9]
	s_cbranch_execz .LBB47_6
; %bb.5:                                ;   in Loop: Header=BB47_4 Depth=1
	v_mov_b32_e32 v3, s17
	v_add_co_u32_e32 v38, vcc, s16, v4
	v_addc_co_u32_e32 v39, vcc, v1, v3, vcc
	v_add_co_u32_e32 v40, vcc, s16, v24
	v_addc_co_u32_e32 v41, vcc, v23, v3, vcc
	global_load_dwordx2 v[36:37], v[38:39], off
	global_load_dwordx2 v[42:43], v[40:41], off
.LBB47_6:                               ;   in Loop: Header=BB47_4 Depth=1
	s_or_b64 exec, exec, s[0:1]
	s_and_saveexec_b64 s[0:1], s[8:9]
	s_cbranch_execz .LBB47_8
; %bb.7:                                ;   in Loop: Header=BB47_4 Depth=1
	v_mov_b32_e32 v3, s17
	v_add_co_u32_e32 v38, vcc, s16, v28
	v_addc_co_u32_e32 v39, vcc, v27, v3, vcc
	global_load_dwordx2 v[46:47], v[38:39], off
.LBB47_8:                               ;   in Loop: Header=BB47_4 Depth=1
	s_or_b64 exec, exec, s[0:1]
	v_mov_b32_e32 v3, s21
	v_add_co_u32_e32 v38, vcc, s20, v65
	v_addc_co_u32_e32 v39, vcc, v66, v3, vcc
	v_pk_mov_b32 v[60:61], 0, 0
	v_cmp_gt_u64_e64 s[0:1], s[18:19], v[38:39]
	v_pk_mov_b32 v[38:39], v[60:61], v[60:61] op_sel:[0,1]
	v_pk_mov_b32 v[54:55], v[60:61], v[60:61] op_sel:[0,1]
	s_and_saveexec_b64 s[2:3], s[0:1]
	s_cbranch_execz .LBB47_10
; %bb.9:                                ;   in Loop: Header=BB47_4 Depth=1
	v_mov_b32_e32 v3, s17
	v_add_co_u32_e32 v40, vcc, s16, v22
	v_addc_co_u32_e32 v41, vcc, v21, v3, vcc
	v_add_co_u32_e32 v44, vcc, s16, v26
	v_addc_co_u32_e32 v45, vcc, v25, v3, vcc
	global_load_dwordx2 v[38:39], v[40:41], off
	global_load_dwordx2 v[54:55], v[44:45], off
.LBB47_10:                              ;   in Loop: Header=BB47_4 Depth=1
	s_or_b64 exec, exec, s[2:3]
	s_and_saveexec_b64 s[2:3], s[0:1]
	s_cbranch_execz .LBB47_12
; %bb.11:                               ;   in Loop: Header=BB47_4 Depth=1
	v_mov_b32_e32 v3, s17
	v_add_co_u32_e32 v40, vcc, s16, v30
	v_addc_co_u32_e32 v41, vcc, v29, v3, vcc
	global_load_dwordx2 v[60:61], v[40:41], off
.LBB47_12:                              ;   in Loop: Header=BB47_4 Depth=1
	s_or_b64 exec, exec, s[2:3]
	v_mov_b32_e32 v3, s21
	v_add_co_u32_e32 v40, vcc, s20, v63
	v_addc_co_u32_e32 v41, vcc, v64, v3, vcc
	v_pk_mov_b32 v[58:59], 0, 0
	v_cmp_gt_u64_e64 s[2:3], s[18:19], v[40:41]
	v_pk_mov_b32 v[40:41], v[58:59], v[58:59] op_sel:[0,1]
	v_pk_mov_b32 v[56:57], v[58:59], v[58:59] op_sel:[0,1]
	s_and_saveexec_b64 s[6:7], s[2:3]
	s_cbranch_execz .LBB47_14
; %bb.13:                               ;   in Loop: Header=BB47_4 Depth=1
	v_mov_b32_e32 v3, s17
	v_add_co_u32_e32 v44, vcc, s16, v14
	v_addc_co_u32_e32 v45, vcc, v13, v3, vcc
	v_add_co_u32_e32 v48, vcc, s16, v16
	v_addc_co_u32_e32 v49, vcc, v15, v3, vcc
	global_load_dwordx2 v[40:41], v[44:45], off
	global_load_dwordx2 v[56:57], v[48:49], off
.LBB47_14:                              ;   in Loop: Header=BB47_4 Depth=1
	s_or_b64 exec, exec, s[6:7]
	s_and_saveexec_b64 s[6:7], s[2:3]
	s_cbranch_execz .LBB47_16
; %bb.15:                               ;   in Loop: Header=BB47_4 Depth=1
	v_mov_b32_e32 v3, s17
	v_add_co_u32_e32 v44, vcc, s16, v18
	v_addc_co_u32_e32 v45, vcc, v17, v3, vcc
	global_load_dwordx2 v[58:59], v[44:45], off
.LBB47_16:                              ;   in Loop: Header=BB47_4 Depth=1
	s_or_b64 exec, exec, s[6:7]
	v_mov_b32_e32 v3, s21
	v_add_co_u32_e32 v44, vcc, s20, v35
	v_addc_co_u32_e32 v45, vcc, v62, v3, vcc
	v_pk_mov_b32 v[52:53], 0, 0
	v_cmp_gt_u64_e64 s[6:7], s[18:19], v[44:45]
	v_pk_mov_b32 v[44:45], v[52:53], v[52:53] op_sel:[0,1]
	v_pk_mov_b32 v[50:51], v[52:53], v[52:53] op_sel:[0,1]
	s_and_saveexec_b64 s[10:11], s[6:7]
	s_cbranch_execz .LBB47_18
; %bb.17:                               ;   in Loop: Header=BB47_4 Depth=1
	v_mov_b32_e32 v3, s17
	v_add_co_u32_e32 v48, vcc, s16, v6
	v_addc_co_u32_e32 v49, vcc, v5, v3, vcc
	v_add_co_u32_e32 v68, vcc, s16, v8
	v_addc_co_u32_e32 v69, vcc, v7, v3, vcc
	global_load_dwordx2 v[44:45], v[48:49], off
	global_load_dwordx2 v[50:51], v[68:69], off
.LBB47_18:                              ;   in Loop: Header=BB47_4 Depth=1
	s_or_b64 exec, exec, s[10:11]
	s_and_saveexec_b64 s[10:11], s[6:7]
	s_cbranch_execz .LBB47_20
; %bb.19:                               ;   in Loop: Header=BB47_4 Depth=1
	v_mov_b32_e32 v3, s17
	v_add_co_u32_e32 v48, vcc, s16, v10
	v_addc_co_u32_e32 v49, vcc, v9, v3, vcc
	global_load_dwordx2 v[52:53], v[48:49], off
.LBB47_20:                              ;   in Loop: Header=BB47_4 Depth=1
	s_or_b64 exec, exec, s[10:11]
	s_waitcnt vmcnt(0)
	v_or_b32_e32 v3, v55, v61
	v_cmp_ne_u64_e32 vcc, 0, v[2:3]
                                        ; implicit-def: $vgpr48_vgpr49
	s_and_saveexec_b64 s[10:11], vcc
	s_xor_b64 s[22:23], exec, s[10:11]
	s_cbranch_execz .LBB47_22
; %bb.21:                               ;   in Loop: Header=BB47_4 Depth=1
	v_ashrrev_i32_e32 v3, 31, v61
	v_add_co_u32_e32 v48, vcc, v60, v3
	v_addc_co_u32_e32 v49, vcc, v61, v3, vcc
	v_xor_b32_e32 v67, v49, v3
	v_xor_b32_e32 v72, v48, v3
	v_cvt_f32_u32_e32 v48, v72
	v_cvt_f32_u32_e32 v49, v67
	v_sub_co_u32_e32 v68, vcc, 0, v72
	v_subb_co_u32_e32 v70, vcc, 0, v67, vcc
	v_mac_f32_e32 v48, 0x4f800000, v49
	v_rcp_f32_e32 v48, v48
	v_mul_f32_e32 v48, 0x5f7ffffc, v48
	v_mul_f32_e32 v49, 0x2f800000, v48
	v_trunc_f32_e32 v49, v49
	v_mac_f32_e32 v48, 0xcf800000, v49
	v_cvt_u32_f32_e32 v69, v48
	v_cvt_u32_f32_e32 v71, v49
	v_mul_lo_u32 v60, v70, v69
	v_mad_u64_u32 v[48:49], s[10:11], v68, v69, 0
	v_mul_lo_u32 v61, v68, v71
	v_add3_u32 v49, v49, v61, v60
	v_mad_u64_u32 v[60:61], s[10:11], v69, v49, 0
	v_mul_hi_u32 v73, v69, v48
	v_add_co_u32_e32 v73, vcc, v73, v60
	v_addc_co_u32_e32 v74, vcc, 0, v61, vcc
	v_mad_u64_u32 v[60:61], s[10:11], v71, v49, 0
	v_mad_u64_u32 v[48:49], s[10:11], v71, v48, 0
	v_add_co_u32_e32 v48, vcc, v73, v48
	v_addc_co_u32_e32 v48, vcc, v74, v49, vcc
	v_addc_co_u32_e32 v49, vcc, 0, v61, vcc
	v_add_co_u32_e32 v48, vcc, v48, v60
	v_addc_co_u32_e32 v49, vcc, 0, v49, vcc
	v_add_co_u32_e32 v73, vcc, v69, v48
	v_addc_co_u32_e32 v74, vcc, v71, v49, vcc
	v_mul_lo_u32 v60, v68, v74
	v_mul_lo_u32 v61, v70, v73
	v_mad_u64_u32 v[48:49], s[10:11], v68, v73, 0
	v_add3_u32 v49, v49, v60, v61
	v_mad_u64_u32 v[68:69], s[10:11], v74, v48, 0
	v_mad_u64_u32 v[70:71], s[10:11], v73, v49, 0
	v_mul_hi_u32 v48, v73, v48
	v_add_co_u32_e32 v48, vcc, v48, v70
	v_mad_u64_u32 v[60:61], s[10:11], v74, v49, 0
	v_addc_co_u32_e32 v49, vcc, 0, v71, vcc
	v_add_co_u32_e32 v48, vcc, v48, v68
	v_addc_co_u32_e32 v48, vcc, v49, v69, vcc
	v_addc_co_u32_e32 v49, vcc, 0, v61, vcc
	v_add_co_u32_e32 v48, vcc, v48, v60
	v_addc_co_u32_e32 v49, vcc, 0, v49, vcc
	v_add_co_u32_e32 v60, vcc, v73, v48
	v_addc_co_u32_e32 v61, vcc, v74, v49, vcc
	v_ashrrev_i32_e32 v68, 31, v55
	v_add_co_u32_e32 v48, vcc, v54, v68
	v_addc_co_u32_e32 v49, vcc, v55, v68, vcc
	v_xor_b32_e32 v70, v48, v68
	v_xor_b32_e32 v69, v49, v68
	v_mad_u64_u32 v[48:49], s[10:11], v70, v61, 0
	v_mul_hi_u32 v54, v70, v60
	v_add_co_u32_e32 v71, vcc, v54, v48
	v_addc_co_u32_e32 v73, vcc, 0, v49, vcc
	v_mad_u64_u32 v[54:55], s[10:11], v69, v60, 0
	v_add_co_u32_e32 v54, vcc, v71, v54
	v_mad_u64_u32 v[48:49], s[10:11], v69, v61, 0
	v_addc_co_u32_e32 v54, vcc, v73, v55, vcc
	v_addc_co_u32_e32 v49, vcc, 0, v49, vcc
	v_add_co_u32_e32 v54, vcc, v54, v48
	v_addc_co_u32_e32 v55, vcc, 0, v49, vcc
	v_mul_lo_u32 v60, v67, v54
	v_mul_lo_u32 v61, v72, v55
	v_mad_u64_u32 v[48:49], s[10:11], v72, v54, 0
	v_add3_u32 v49, v49, v61, v60
	v_sub_u32_e32 v60, v69, v49
	v_sub_co_u32_e32 v48, vcc, v70, v48
	v_subb_co_u32_e64 v60, s[10:11], v60, v67, vcc
	v_sub_co_u32_e64 v61, s[10:11], v48, v72
	v_subbrev_co_u32_e64 v60, s[10:11], 0, v60, s[10:11]
	v_cmp_ge_u32_e64 s[10:11], v60, v67
	v_cndmask_b32_e64 v70, 0, -1, s[10:11]
	v_cmp_ge_u32_e64 s[10:11], v61, v72
	v_cndmask_b32_e64 v61, 0, -1, s[10:11]
	v_cmp_eq_u32_e64 s[10:11], v60, v67
	v_cndmask_b32_e64 v60, v70, v61, s[10:11]
	v_add_co_u32_e64 v61, s[10:11], 2, v54
	v_subb_co_u32_e32 v49, vcc, v69, v49, vcc
	v_addc_co_u32_e64 v70, s[10:11], 0, v55, s[10:11]
	v_cmp_ge_u32_e32 vcc, v49, v67
	v_add_co_u32_e64 v71, s[10:11], 1, v54
	v_cndmask_b32_e64 v69, 0, -1, vcc
	v_cmp_ge_u32_e32 vcc, v48, v72
	v_addc_co_u32_e64 v73, s[10:11], 0, v55, s[10:11]
	v_cndmask_b32_e64 v48, 0, -1, vcc
	v_cmp_eq_u32_e32 vcc, v49, v67
	v_cmp_ne_u32_e64 s[10:11], 0, v60
	v_cndmask_b32_e32 v48, v69, v48, vcc
	v_cndmask_b32_e64 v60, v73, v70, s[10:11]
	v_cmp_ne_u32_e32 vcc, 0, v48
	v_cndmask_b32_e64 v49, v71, v61, s[10:11]
	v_cndmask_b32_e32 v48, v55, v60, vcc
	v_cndmask_b32_e32 v49, v54, v49, vcc
	v_xor_b32_e32 v3, v68, v3
	v_xor_b32_e32 v54, v48, v3
	v_xor_b32_e32 v48, v49, v3
	v_sub_co_u32_e32 v48, vcc, v48, v3
	v_subb_co_u32_e32 v49, vcc, v54, v3, vcc
                                        ; implicit-def: $vgpr60_vgpr61
                                        ; implicit-def: $vgpr54_vgpr55
.LBB47_22:                              ;   in Loop: Header=BB47_4 Depth=1
	s_andn2_saveexec_b64 s[10:11], s[22:23]
	s_cbranch_execz .LBB47_24
; %bb.23:                               ;   in Loop: Header=BB47_4 Depth=1
	v_cvt_f32_u32_e32 v3, v60
	v_sub_u32_e32 v48, 0, v60
	v_rcp_iflag_f32_e32 v3, v3
	v_mul_f32_e32 v3, 0x4f7ffffe, v3
	v_cvt_u32_f32_e32 v3, v3
	v_mul_lo_u32 v48, v48, v3
	v_mul_hi_u32 v48, v3, v48
	v_add_u32_e32 v3, v3, v48
	v_mul_hi_u32 v3, v54, v3
	v_mul_lo_u32 v48, v3, v60
	v_sub_u32_e32 v48, v54, v48
	v_add_u32_e32 v49, 1, v3
	v_sub_u32_e32 v54, v48, v60
	v_cmp_ge_u32_e32 vcc, v48, v60
	v_cndmask_b32_e32 v48, v48, v54, vcc
	v_cndmask_b32_e32 v3, v3, v49, vcc
	v_add_u32_e32 v49, 1, v3
	v_cmp_ge_u32_e32 vcc, v48, v60
	v_cndmask_b32_e32 v48, v3, v49, vcc
	v_mov_b32_e32 v49, v2
.LBB47_24:                              ;   in Loop: Header=BB47_4 Depth=1
	s_or_b64 exec, exec, s[10:11]
	v_or_b32_e32 v3, v57, v59
	v_cmp_ne_u64_e32 vcc, 0, v[2:3]
                                        ; implicit-def: $vgpr54_vgpr55
	s_and_saveexec_b64 s[10:11], vcc
	s_xor_b64 s[22:23], exec, s[10:11]
	s_cbranch_execz .LBB47_26
; %bb.25:                               ;   in Loop: Header=BB47_4 Depth=1
	v_ashrrev_i32_e32 v3, 31, v59
	v_add_co_u32_e32 v54, vcc, v58, v3
	v_addc_co_u32_e32 v55, vcc, v59, v3, vcc
	v_xor_b32_e32 v67, v55, v3
	v_xor_b32_e32 v70, v54, v3
	v_cvt_f32_u32_e32 v54, v70
	v_cvt_f32_u32_e32 v55, v67
	v_sub_co_u32_e32 v61, vcc, 0, v70
	v_subb_co_u32_e32 v68, vcc, 0, v67, vcc
	v_mac_f32_e32 v54, 0x4f800000, v55
	v_rcp_f32_e32 v54, v54
	v_mul_f32_e32 v54, 0x5f7ffffc, v54
	v_mul_f32_e32 v55, 0x2f800000, v54
	v_trunc_f32_e32 v55, v55
	v_mac_f32_e32 v54, 0xcf800000, v55
	v_cvt_u32_f32_e32 v60, v54
	v_cvt_u32_f32_e32 v69, v55
	v_mul_lo_u32 v58, v68, v60
	v_mad_u64_u32 v[54:55], s[10:11], v61, v60, 0
	v_mul_lo_u32 v59, v61, v69
	v_add3_u32 v55, v55, v59, v58
	v_mad_u64_u32 v[58:59], s[10:11], v60, v55, 0
	v_mul_hi_u32 v71, v60, v54
	v_add_co_u32_e32 v71, vcc, v71, v58
	v_addc_co_u32_e32 v72, vcc, 0, v59, vcc
	v_mad_u64_u32 v[58:59], s[10:11], v69, v55, 0
	v_mad_u64_u32 v[54:55], s[10:11], v69, v54, 0
	v_add_co_u32_e32 v54, vcc, v71, v54
	v_addc_co_u32_e32 v54, vcc, v72, v55, vcc
	v_addc_co_u32_e32 v55, vcc, 0, v59, vcc
	v_add_co_u32_e32 v54, vcc, v54, v58
	v_addc_co_u32_e32 v55, vcc, 0, v55, vcc
	v_add_co_u32_e32 v71, vcc, v60, v54
	v_addc_co_u32_e32 v72, vcc, v69, v55, vcc
	v_mul_lo_u32 v58, v61, v72
	v_mul_lo_u32 v59, v68, v71
	v_mad_u64_u32 v[54:55], s[10:11], v61, v71, 0
	v_add3_u32 v55, v55, v58, v59
	v_mad_u64_u32 v[60:61], s[10:11], v72, v54, 0
	v_mad_u64_u32 v[68:69], s[10:11], v71, v55, 0
	v_mul_hi_u32 v54, v71, v54
	v_add_co_u32_e32 v54, vcc, v54, v68
	v_mad_u64_u32 v[58:59], s[10:11], v72, v55, 0
	v_addc_co_u32_e32 v55, vcc, 0, v69, vcc
	v_add_co_u32_e32 v54, vcc, v54, v60
	v_addc_co_u32_e32 v54, vcc, v55, v61, vcc
	v_addc_co_u32_e32 v55, vcc, 0, v59, vcc
	v_add_co_u32_e32 v54, vcc, v54, v58
	v_addc_co_u32_e32 v55, vcc, 0, v55, vcc
	v_add_co_u32_e32 v58, vcc, v71, v54
	v_addc_co_u32_e32 v59, vcc, v72, v55, vcc
	v_ashrrev_i32_e32 v60, 31, v57
	v_add_co_u32_e32 v54, vcc, v56, v60
	v_addc_co_u32_e32 v55, vcc, v57, v60, vcc
	v_xor_b32_e32 v68, v54, v60
	v_xor_b32_e32 v61, v55, v60
	v_mad_u64_u32 v[54:55], s[10:11], v68, v59, 0
	v_mul_hi_u32 v56, v68, v58
	v_add_co_u32_e32 v69, vcc, v56, v54
	v_addc_co_u32_e32 v71, vcc, 0, v55, vcc
	v_mad_u64_u32 v[56:57], s[10:11], v61, v58, 0
	v_add_co_u32_e32 v56, vcc, v69, v56
	v_mad_u64_u32 v[54:55], s[10:11], v61, v59, 0
	v_addc_co_u32_e32 v56, vcc, v71, v57, vcc
	v_addc_co_u32_e32 v55, vcc, 0, v55, vcc
	v_add_co_u32_e32 v56, vcc, v56, v54
	v_addc_co_u32_e32 v57, vcc, 0, v55, vcc
	v_mul_lo_u32 v58, v67, v56
	v_mul_lo_u32 v59, v70, v57
	v_mad_u64_u32 v[54:55], s[10:11], v70, v56, 0
	v_add3_u32 v55, v55, v59, v58
	v_sub_u32_e32 v58, v61, v55
	v_sub_co_u32_e32 v54, vcc, v68, v54
	v_subb_co_u32_e64 v58, s[10:11], v58, v67, vcc
	v_sub_co_u32_e64 v59, s[10:11], v54, v70
	v_subbrev_co_u32_e64 v58, s[10:11], 0, v58, s[10:11]
	v_cmp_ge_u32_e64 s[10:11], v58, v67
	v_cndmask_b32_e64 v68, 0, -1, s[10:11]
	v_cmp_ge_u32_e64 s[10:11], v59, v70
	v_cndmask_b32_e64 v59, 0, -1, s[10:11]
	v_cmp_eq_u32_e64 s[10:11], v58, v67
	v_cndmask_b32_e64 v58, v68, v59, s[10:11]
	v_add_co_u32_e64 v59, s[10:11], 2, v56
	v_subb_co_u32_e32 v55, vcc, v61, v55, vcc
	v_addc_co_u32_e64 v68, s[10:11], 0, v57, s[10:11]
	v_cmp_ge_u32_e32 vcc, v55, v67
	v_add_co_u32_e64 v69, s[10:11], 1, v56
	v_cndmask_b32_e64 v61, 0, -1, vcc
	v_cmp_ge_u32_e32 vcc, v54, v70
	v_addc_co_u32_e64 v71, s[10:11], 0, v57, s[10:11]
	v_cndmask_b32_e64 v54, 0, -1, vcc
	v_cmp_eq_u32_e32 vcc, v55, v67
	v_cmp_ne_u32_e64 s[10:11], 0, v58
	v_cndmask_b32_e32 v54, v61, v54, vcc
	v_cndmask_b32_e64 v58, v71, v68, s[10:11]
	v_cmp_ne_u32_e32 vcc, 0, v54
	v_cndmask_b32_e64 v55, v69, v59, s[10:11]
	v_cndmask_b32_e32 v54, v57, v58, vcc
	v_cndmask_b32_e32 v55, v56, v55, vcc
	v_xor_b32_e32 v3, v60, v3
	v_xor_b32_e32 v56, v54, v3
	;; [unrolled: 1-line block ×3, first 2 shown]
	v_sub_co_u32_e32 v54, vcc, v54, v3
	v_subb_co_u32_e32 v55, vcc, v56, v3, vcc
                                        ; implicit-def: $vgpr58_vgpr59
                                        ; implicit-def: $vgpr56_vgpr57
.LBB47_26:                              ;   in Loop: Header=BB47_4 Depth=1
	s_andn2_saveexec_b64 s[10:11], s[22:23]
	s_cbranch_execz .LBB47_28
; %bb.27:                               ;   in Loop: Header=BB47_4 Depth=1
	v_cvt_f32_u32_e32 v3, v58
	v_sub_u32_e32 v54, 0, v58
	v_rcp_iflag_f32_e32 v3, v3
	v_mul_f32_e32 v3, 0x4f7ffffe, v3
	v_cvt_u32_f32_e32 v3, v3
	v_mul_lo_u32 v54, v54, v3
	v_mul_hi_u32 v54, v3, v54
	v_add_u32_e32 v3, v3, v54
	v_mul_hi_u32 v3, v56, v3
	v_mul_lo_u32 v54, v3, v58
	v_sub_u32_e32 v54, v56, v54
	v_add_u32_e32 v55, 1, v3
	v_sub_u32_e32 v56, v54, v58
	v_cmp_ge_u32_e32 vcc, v54, v58
	v_cndmask_b32_e32 v54, v54, v56, vcc
	v_cndmask_b32_e32 v3, v3, v55, vcc
	v_add_u32_e32 v55, 1, v3
	v_cmp_ge_u32_e32 vcc, v54, v58
	v_cndmask_b32_e32 v54, v3, v55, vcc
	v_mov_b32_e32 v55, v2
.LBB47_28:                              ;   in Loop: Header=BB47_4 Depth=1
	s_or_b64 exec, exec, s[10:11]
	v_or_b32_e32 v3, v51, v53
	v_cmp_ne_u64_e32 vcc, 0, v[2:3]
                                        ; implicit-def: $vgpr56_vgpr57
	s_and_saveexec_b64 s[10:11], vcc
	s_xor_b64 s[22:23], exec, s[10:11]
	s_cbranch_execnz .LBB47_34
; %bb.29:                               ;   in Loop: Header=BB47_4 Depth=1
	s_andn2_saveexec_b64 s[10:11], s[22:23]
	s_cbranch_execnz .LBB47_35
.LBB47_30:                              ;   in Loop: Header=BB47_4 Depth=1
	s_or_b64 exec, exec, s[10:11]
	s_and_saveexec_b64 s[10:11], s[8:9]
	s_cbranch_execnz .LBB47_36
.LBB47_31:                              ;   in Loop: Header=BB47_4 Depth=1
	s_or_b64 exec, exec, s[10:11]
	s_and_saveexec_b64 s[8:9], s[0:1]
	s_cbranch_execnz .LBB47_41
.LBB47_32:                              ;   in Loop: Header=BB47_4 Depth=1
	s_or_b64 exec, exec, s[8:9]
	s_and_saveexec_b64 s[0:1], s[2:3]
	s_cbranch_execnz .LBB47_42
.LBB47_33:                              ;   in Loop: Header=BB47_4 Depth=1
	s_or_b64 exec, exec, s[0:1]
	s_and_saveexec_b64 s[0:1], s[6:7]
	s_cbranch_execz .LBB47_3
	s_branch .LBB47_43
.LBB47_34:                              ;   in Loop: Header=BB47_4 Depth=1
	v_ashrrev_i32_e32 v3, 31, v53
	v_add_co_u32_e32 v52, vcc, v52, v3
	v_addc_co_u32_e32 v53, vcc, v53, v3, vcc
	v_xor_b32_e32 v67, v53, v3
	v_xor_b32_e32 v68, v52, v3
	v_cvt_f32_u32_e32 v52, v68
	v_cvt_f32_u32_e32 v53, v67
	v_sub_co_u32_e32 v59, vcc, 0, v68
	v_subb_co_u32_e32 v60, vcc, 0, v67, vcc
	v_mac_f32_e32 v52, 0x4f800000, v53
	v_rcp_f32_e32 v52, v52
	v_mul_f32_e32 v52, 0x5f7ffffc, v52
	v_mul_f32_e32 v53, 0x2f800000, v52
	v_trunc_f32_e32 v53, v53
	v_mac_f32_e32 v52, 0xcf800000, v53
	v_cvt_u32_f32_e32 v58, v52
	v_cvt_u32_f32_e32 v61, v53
	v_mul_lo_u32 v56, v60, v58
	v_mad_u64_u32 v[52:53], s[10:11], v59, v58, 0
	v_mul_lo_u32 v57, v59, v61
	v_add3_u32 v53, v53, v57, v56
	v_mad_u64_u32 v[56:57], s[10:11], v58, v53, 0
	v_mul_hi_u32 v69, v58, v52
	v_add_co_u32_e32 v69, vcc, v69, v56
	v_addc_co_u32_e32 v70, vcc, 0, v57, vcc
	v_mad_u64_u32 v[56:57], s[10:11], v61, v53, 0
	v_mad_u64_u32 v[52:53], s[10:11], v61, v52, 0
	v_add_co_u32_e32 v52, vcc, v69, v52
	v_addc_co_u32_e32 v52, vcc, v70, v53, vcc
	v_addc_co_u32_e32 v53, vcc, 0, v57, vcc
	v_add_co_u32_e32 v52, vcc, v52, v56
	v_addc_co_u32_e32 v53, vcc, 0, v53, vcc
	v_add_co_u32_e32 v69, vcc, v58, v52
	v_addc_co_u32_e32 v70, vcc, v61, v53, vcc
	v_mul_lo_u32 v56, v59, v70
	v_mul_lo_u32 v57, v60, v69
	v_mad_u64_u32 v[52:53], s[10:11], v59, v69, 0
	v_add3_u32 v53, v53, v56, v57
	v_mad_u64_u32 v[58:59], s[10:11], v70, v52, 0
	v_mad_u64_u32 v[60:61], s[10:11], v69, v53, 0
	v_mul_hi_u32 v52, v69, v52
	v_add_co_u32_e32 v52, vcc, v52, v60
	v_mad_u64_u32 v[56:57], s[10:11], v70, v53, 0
	v_addc_co_u32_e32 v53, vcc, 0, v61, vcc
	v_add_co_u32_e32 v52, vcc, v52, v58
	v_addc_co_u32_e32 v52, vcc, v53, v59, vcc
	v_addc_co_u32_e32 v53, vcc, 0, v57, vcc
	v_add_co_u32_e32 v52, vcc, v52, v56
	v_addc_co_u32_e32 v53, vcc, 0, v53, vcc
	v_add_co_u32_e32 v52, vcc, v69, v52
	v_addc_co_u32_e32 v53, vcc, v70, v53, vcc
	v_ashrrev_i32_e32 v56, 31, v51
	v_add_co_u32_e32 v50, vcc, v50, v56
	v_addc_co_u32_e32 v51, vcc, v51, v56, vcc
	v_xor_b32_e32 v58, v50, v56
	v_xor_b32_e32 v57, v51, v56
	v_mad_u64_u32 v[50:51], s[10:11], v58, v53, 0
	v_mul_hi_u32 v59, v58, v52
	v_add_co_u32_e32 v59, vcc, v59, v50
	v_addc_co_u32_e32 v60, vcc, 0, v51, vcc
	v_mad_u64_u32 v[50:51], s[10:11], v57, v53, 0
	v_mad_u64_u32 v[52:53], s[10:11], v57, v52, 0
	v_add_co_u32_e32 v52, vcc, v59, v52
	v_addc_co_u32_e32 v52, vcc, v60, v53, vcc
	v_addc_co_u32_e32 v51, vcc, 0, v51, vcc
	v_add_co_u32_e32 v52, vcc, v52, v50
	v_addc_co_u32_e32 v53, vcc, 0, v51, vcc
	v_mul_lo_u32 v59, v67, v52
	v_mul_lo_u32 v60, v68, v53
	v_mad_u64_u32 v[50:51], s[10:11], v68, v52, 0
	v_add3_u32 v51, v51, v60, v59
	v_sub_u32_e32 v59, v57, v51
	v_sub_co_u32_e32 v50, vcc, v58, v50
	v_subb_co_u32_e64 v58, s[10:11], v59, v67, vcc
	v_sub_co_u32_e64 v59, s[10:11], v50, v68
	v_subbrev_co_u32_e64 v58, s[10:11], 0, v58, s[10:11]
	v_cmp_ge_u32_e64 s[10:11], v58, v67
	v_cndmask_b32_e64 v60, 0, -1, s[10:11]
	v_cmp_ge_u32_e64 s[10:11], v59, v68
	v_cndmask_b32_e64 v59, 0, -1, s[10:11]
	v_cmp_eq_u32_e64 s[10:11], v58, v67
	v_cndmask_b32_e64 v58, v60, v59, s[10:11]
	v_add_co_u32_e64 v59, s[10:11], 2, v52
	v_subb_co_u32_e32 v51, vcc, v57, v51, vcc
	v_addc_co_u32_e64 v60, s[10:11], 0, v53, s[10:11]
	v_cmp_ge_u32_e32 vcc, v51, v67
	v_add_co_u32_e64 v61, s[10:11], 1, v52
	v_cndmask_b32_e64 v57, 0, -1, vcc
	v_cmp_ge_u32_e32 vcc, v50, v68
	v_addc_co_u32_e64 v69, s[10:11], 0, v53, s[10:11]
	v_cndmask_b32_e64 v50, 0, -1, vcc
	v_cmp_eq_u32_e32 vcc, v51, v67
	v_cmp_ne_u32_e64 s[10:11], 0, v58
	v_cndmask_b32_e32 v50, v57, v50, vcc
	v_cmp_ne_u32_e32 vcc, 0, v50
	v_cndmask_b32_e64 v51, v61, v59, s[10:11]
	v_cndmask_b32_e64 v58, v69, v60, s[10:11]
	v_cndmask_b32_e32 v51, v52, v51, vcc
	v_xor_b32_e32 v3, v56, v3
	v_cndmask_b32_e32 v50, v53, v58, vcc
	v_xor_b32_e32 v51, v51, v3
	v_xor_b32_e32 v50, v50, v3
	v_sub_co_u32_e32 v56, vcc, v51, v3
	v_subb_co_u32_e32 v57, vcc, v50, v3, vcc
                                        ; implicit-def: $vgpr52_vgpr53
                                        ; implicit-def: $vgpr50_vgpr51
	s_andn2_saveexec_b64 s[10:11], s[22:23]
	s_cbranch_execz .LBB47_30
.LBB47_35:                              ;   in Loop: Header=BB47_4 Depth=1
	v_cvt_f32_u32_e32 v3, v52
	v_sub_u32_e32 v51, 0, v52
	v_mov_b32_e32 v57, v2
	v_rcp_iflag_f32_e32 v3, v3
	v_mul_f32_e32 v3, 0x4f7ffffe, v3
	v_cvt_u32_f32_e32 v3, v3
	v_mul_lo_u32 v51, v51, v3
	v_mul_hi_u32 v51, v3, v51
	v_add_u32_e32 v3, v3, v51
	v_mul_hi_u32 v3, v50, v3
	v_mul_lo_u32 v51, v3, v52
	v_sub_u32_e32 v50, v50, v51
	v_add_u32_e32 v53, 1, v3
	v_sub_u32_e32 v51, v50, v52
	v_cmp_ge_u32_e32 vcc, v50, v52
	v_cndmask_b32_e32 v50, v50, v51, vcc
	v_cndmask_b32_e32 v3, v3, v53, vcc
	v_add_u32_e32 v51, 1, v3
	v_cmp_ge_u32_e32 vcc, v50, v52
	v_cndmask_b32_e32 v56, v3, v51, vcc
	s_or_b64 exec, exec, s[10:11]
	s_and_saveexec_b64 s[10:11], s[8:9]
	s_cbranch_execz .LBB47_31
.LBB47_36:                              ;   in Loop: Header=BB47_4 Depth=1
	v_or_b32_e32 v3, v43, v47
	v_cmp_ne_u64_e32 vcc, 0, v[2:3]
                                        ; implicit-def: $vgpr50_vgpr51
	s_and_saveexec_b64 s[8:9], vcc
	s_xor_b64 s[22:23], exec, s[8:9]
	s_cbranch_execz .LBB47_38
; %bb.37:                               ;   in Loop: Header=BB47_4 Depth=1
	v_ashrrev_i32_e32 v3, 31, v47
	v_add_co_u32_e32 v46, vcc, v46, v3
	v_addc_co_u32_e32 v47, vcc, v47, v3, vcc
	v_xor_b32_e32 v60, v47, v3
	v_xor_b32_e32 v61, v46, v3
	v_cvt_f32_u32_e32 v46, v61
	v_cvt_f32_u32_e32 v47, v60
	v_sub_co_u32_e32 v53, vcc, 0, v61
	v_subb_co_u32_e32 v58, vcc, 0, v60, vcc
	v_mac_f32_e32 v46, 0x4f800000, v47
	v_rcp_f32_e32 v46, v46
	v_mul_f32_e32 v46, 0x5f7ffffc, v46
	v_mul_f32_e32 v47, 0x2f800000, v46
	v_trunc_f32_e32 v47, v47
	v_mac_f32_e32 v46, 0xcf800000, v47
	v_cvt_u32_f32_e32 v52, v46
	v_cvt_u32_f32_e32 v59, v47
	v_mul_lo_u32 v50, v58, v52
	v_mad_u64_u32 v[46:47], s[8:9], v53, v52, 0
	v_mul_lo_u32 v51, v53, v59
	v_add3_u32 v47, v47, v51, v50
	v_mad_u64_u32 v[50:51], s[8:9], v52, v47, 0
	v_mul_hi_u32 v67, v52, v46
	v_add_co_u32_e32 v67, vcc, v67, v50
	v_addc_co_u32_e32 v68, vcc, 0, v51, vcc
	v_mad_u64_u32 v[50:51], s[8:9], v59, v47, 0
	v_mad_u64_u32 v[46:47], s[8:9], v59, v46, 0
	v_add_co_u32_e32 v46, vcc, v67, v46
	v_addc_co_u32_e32 v46, vcc, v68, v47, vcc
	v_addc_co_u32_e32 v47, vcc, 0, v51, vcc
	v_add_co_u32_e32 v46, vcc, v46, v50
	v_addc_co_u32_e32 v47, vcc, 0, v47, vcc
	v_add_co_u32_e32 v67, vcc, v52, v46
	v_addc_co_u32_e32 v68, vcc, v59, v47, vcc
	v_mul_lo_u32 v50, v53, v68
	v_mul_lo_u32 v51, v58, v67
	v_mad_u64_u32 v[46:47], s[8:9], v53, v67, 0
	v_add3_u32 v47, v47, v50, v51
	v_mad_u64_u32 v[52:53], s[8:9], v68, v46, 0
	v_mad_u64_u32 v[58:59], s[8:9], v67, v47, 0
	v_mul_hi_u32 v46, v67, v46
	v_add_co_u32_e32 v46, vcc, v46, v58
	v_mad_u64_u32 v[50:51], s[8:9], v68, v47, 0
	v_addc_co_u32_e32 v47, vcc, 0, v59, vcc
	v_add_co_u32_e32 v46, vcc, v46, v52
	v_addc_co_u32_e32 v46, vcc, v47, v53, vcc
	v_addc_co_u32_e32 v47, vcc, 0, v51, vcc
	v_add_co_u32_e32 v46, vcc, v46, v50
	v_addc_co_u32_e32 v47, vcc, 0, v47, vcc
	v_add_co_u32_e32 v46, vcc, v67, v46
	v_addc_co_u32_e32 v47, vcc, v68, v47, vcc
	v_ashrrev_i32_e32 v50, 31, v43
	v_add_co_u32_e32 v42, vcc, v42, v50
	v_addc_co_u32_e32 v43, vcc, v43, v50, vcc
	v_xor_b32_e32 v52, v42, v50
	v_xor_b32_e32 v51, v43, v50
	v_mad_u64_u32 v[42:43], s[8:9], v52, v47, 0
	v_mul_hi_u32 v53, v52, v46
	v_add_co_u32_e32 v53, vcc, v53, v42
	v_addc_co_u32_e32 v58, vcc, 0, v43, vcc
	v_mad_u64_u32 v[42:43], s[8:9], v51, v47, 0
	v_mad_u64_u32 v[46:47], s[8:9], v51, v46, 0
	v_add_co_u32_e32 v46, vcc, v53, v46
	v_addc_co_u32_e32 v46, vcc, v58, v47, vcc
	v_addc_co_u32_e32 v43, vcc, 0, v43, vcc
	v_add_co_u32_e32 v46, vcc, v46, v42
	v_addc_co_u32_e32 v47, vcc, 0, v43, vcc
	v_mul_lo_u32 v53, v60, v46
	v_mul_lo_u32 v58, v61, v47
	v_mad_u64_u32 v[42:43], s[8:9], v61, v46, 0
	v_add3_u32 v43, v43, v58, v53
	v_sub_u32_e32 v53, v51, v43
	v_sub_co_u32_e32 v42, vcc, v52, v42
	v_subb_co_u32_e64 v52, s[8:9], v53, v60, vcc
	v_sub_co_u32_e64 v53, s[8:9], v42, v61
	v_subbrev_co_u32_e64 v52, s[8:9], 0, v52, s[8:9]
	v_cmp_ge_u32_e64 s[8:9], v52, v60
	v_cndmask_b32_e64 v58, 0, -1, s[8:9]
	v_cmp_ge_u32_e64 s[8:9], v53, v61
	v_cndmask_b32_e64 v53, 0, -1, s[8:9]
	v_cmp_eq_u32_e64 s[8:9], v52, v60
	v_cndmask_b32_e64 v52, v58, v53, s[8:9]
	v_add_co_u32_e64 v53, s[8:9], 2, v46
	v_subb_co_u32_e32 v43, vcc, v51, v43, vcc
	v_addc_co_u32_e64 v58, s[8:9], 0, v47, s[8:9]
	v_cmp_ge_u32_e32 vcc, v43, v60
	v_add_co_u32_e64 v59, s[8:9], 1, v46
	v_cndmask_b32_e64 v51, 0, -1, vcc
	v_cmp_ge_u32_e32 vcc, v42, v61
	v_addc_co_u32_e64 v67, s[8:9], 0, v47, s[8:9]
	v_cndmask_b32_e64 v42, 0, -1, vcc
	v_cmp_eq_u32_e32 vcc, v43, v60
	v_cmp_ne_u32_e64 s[8:9], 0, v52
	v_cndmask_b32_e32 v42, v51, v42, vcc
	v_cmp_ne_u32_e32 vcc, 0, v42
	v_cndmask_b32_e64 v43, v59, v53, s[8:9]
	v_cndmask_b32_e64 v52, v67, v58, s[8:9]
	v_cndmask_b32_e32 v43, v46, v43, vcc
	v_xor_b32_e32 v3, v50, v3
	v_cndmask_b32_e32 v42, v47, v52, vcc
	v_xor_b32_e32 v43, v43, v3
	v_xor_b32_e32 v42, v42, v3
	v_sub_co_u32_e32 v50, vcc, v43, v3
	v_subb_co_u32_e32 v51, vcc, v42, v3, vcc
                                        ; implicit-def: $vgpr46_vgpr47
                                        ; implicit-def: $vgpr42_vgpr43
.LBB47_38:                              ;   in Loop: Header=BB47_4 Depth=1
	s_andn2_saveexec_b64 s[8:9], s[22:23]
	s_cbranch_execz .LBB47_40
; %bb.39:                               ;   in Loop: Header=BB47_4 Depth=1
	v_cvt_f32_u32_e32 v3, v46
	v_sub_u32_e32 v43, 0, v46
	v_mov_b32_e32 v51, v2
	v_rcp_iflag_f32_e32 v3, v3
	v_mul_f32_e32 v3, 0x4f7ffffe, v3
	v_cvt_u32_f32_e32 v3, v3
	v_mul_lo_u32 v43, v43, v3
	v_mul_hi_u32 v43, v3, v43
	v_add_u32_e32 v3, v3, v43
	v_mul_hi_u32 v3, v42, v3
	v_mul_lo_u32 v43, v3, v46
	v_sub_u32_e32 v42, v42, v43
	v_add_u32_e32 v47, 1, v3
	v_sub_u32_e32 v43, v42, v46
	v_cmp_ge_u32_e32 vcc, v42, v46
	v_cndmask_b32_e32 v42, v42, v43, vcc
	v_cndmask_b32_e32 v3, v3, v47, vcc
	v_add_u32_e32 v43, 1, v3
	v_cmp_ge_u32_e32 vcc, v42, v46
	v_cndmask_b32_e32 v50, v3, v43, vcc
.LBB47_40:                              ;   in Loop: Header=BB47_4 Depth=1
	s_or_b64 exec, exec, s[8:9]
	v_mov_b32_e32 v3, s17
	v_add_co_u32_e32 v42, vcc, s16, v32
	v_addc_co_u32_e32 v43, vcc, v31, v3, vcc
	v_mad_u64_u32 v[36:37], s[8:9], v50, s12, v[36:37]
	v_mul_lo_u32 v3, v50, s13
	v_mul_lo_u32 v46, v51, s12
	v_add3_u32 v37, v46, v37, v3
	global_store_dwordx2 v[42:43], v[36:37], off
	s_or_b64 exec, exec, s[10:11]
	s_and_saveexec_b64 s[8:9], s[0:1]
	s_cbranch_execz .LBB47_32
.LBB47_41:                              ;   in Loop: Header=BB47_4 Depth=1
	v_mad_u64_u32 v[36:37], s[0:1], v48, s12, v[38:39]
	v_mul_lo_u32 v3, v48, s13
	v_mul_lo_u32 v38, v49, s12
	v_add3_u32 v37, v38, v37, v3
	v_mov_b32_e32 v3, s17
	v_add_co_u32_e32 v38, vcc, s16, v34
	v_addc_co_u32_e32 v39, vcc, v33, v3, vcc
	global_store_dwordx2 v[38:39], v[36:37], off
	s_or_b64 exec, exec, s[8:9]
	s_and_saveexec_b64 s[0:1], s[2:3]
	s_cbranch_execz .LBB47_33
.LBB47_42:                              ;   in Loop: Header=BB47_4 Depth=1
	v_mad_u64_u32 v[36:37], s[2:3], v54, s12, v[40:41]
	v_mul_lo_u32 v3, v54, s13
	v_mul_lo_u32 v38, v55, s12
	v_add3_u32 v37, v38, v37, v3
	v_mov_b32_e32 v3, s17
	v_add_co_u32_e32 v38, vcc, s16, v20
	v_addc_co_u32_e32 v39, vcc, v19, v3, vcc
	global_store_dwordx2 v[38:39], v[36:37], off
	s_or_b64 exec, exec, s[0:1]
	s_and_saveexec_b64 s[0:1], s[6:7]
	s_cbranch_execz .LBB47_3
.LBB47_43:                              ;   in Loop: Header=BB47_4 Depth=1
	v_mad_u64_u32 v[36:37], s[2:3], v56, s12, v[44:45]
	v_mul_lo_u32 v3, v56, s13
	v_mul_lo_u32 v38, v57, s12
	v_add3_u32 v37, v38, v37, v3
	v_mov_b32_e32 v3, s17
	v_add_co_u32_e32 v38, vcc, s16, v12
	v_addc_co_u32_e32 v39, vcc, v11, v3, vcc
	global_store_dwordx2 v[38:39], v[36:37], off
	s_branch .LBB47_3
.LBB47_44:
	s_mov_b64 s[10:11], 0
.LBB47_45:
	s_andn2_b64 vcc, exec, s[10:11]
	s_cbranch_vccnz .LBB47_65
; %bb.46:
	v_mov_b32_e32 v24, 0
	v_lshlrev_b32_e32 v2, 2, v0
	v_mov_b32_e32 v3, v24
	s_mov_b32 s8, 0
	v_cmp_gt_i64_e32 vcc, s[14:15], v[2:3]
	s_and_saveexec_b64 s[0:1], vcc
	s_cbranch_execz .LBB47_65
; %bb.47:
	s_load_dword s0, s[4:5], 0xc04
	v_mov_b32_e32 v27, v24
	v_lshlrev_b32_e32 v28, 5, v0
	s_mov_b64 s[2:3], 0
	s_mov_b64 s[4:5], 0xffff
	s_waitcnt lgkmcnt(0)
	s_and_b32 s0, s0, 0xffff
	v_add_lshl_u32 v26, v0, s0, 2
	s_lshl_b32 s9, s0, 2
	s_lshl_b32 s10, s0, 5
	s_branch .LBB47_49
.LBB47_48:                              ;   in Loop: Header=BB47_49 Depth=1
	s_or_b64 exec, exec, s[0:1]
	v_mul_lo_u32 v10, v18, s13
	v_mul_lo_u32 v11, v19, s12
	s_waitcnt vmcnt(1)
	v_mad_u64_u32 v[0:1], s[0:1], v18, s12, v[0:1]
	v_add3_u32 v1, v11, v1, v10
	v_mul_lo_u32 v10, v16, s13
	v_mul_lo_u32 v11, v17, s12
	s_waitcnt vmcnt(0)
	v_mad_u64_u32 v[6:7], s[0:1], v16, s12, v[6:7]
	v_add3_u32 v7, v11, v7, v10
	v_mul_lo_u32 v10, v30, s13
	v_mul_lo_u32 v11, v31, s12
	v_mad_u64_u32 v[4:5], s[0:1], v30, s12, v[4:5]
	v_add3_u32 v5, v11, v5, v10
	v_mul_lo_u32 v10, v8, s13
	v_mul_lo_u32 v9, v9, s12
	v_mad_u64_u32 v[2:3], s[0:1], v8, s12, v[2:3]
	v_add3_u32 v3, v9, v3, v10
	v_mov_b32_e32 v9, s31
	v_add_co_u32_e32 v8, vcc, s30, v28
	v_addc_co_u32_e32 v9, vcc, 0, v9, vcc
	v_cmp_le_i64_e32 vcc, s[14:15], v[26:27]
	v_cmp_lt_u64_e64 s[0:1], s[4:5], v[26:27]
	s_or_b64 s[0:1], vcc, s[0:1]
	s_add_u32 s24, s24, s10
	s_addc_u32 s25, s25, 0
	s_add_u32 s30, s30, s10
	s_addc_u32 s31, s31, 0
	;; [unrolled: 2-line block ×4, first 2 shown]
	global_store_dwordx4 v[8:9], v[4:7], off
	global_store_dwordx4 v[8:9], v[0:3], off offset:16
	s_and_b64 s[0:1], exec, s[0:1]
	v_mov_b32_e32 v0, s8
	v_add_co_u32_e32 v26, vcc, s9, v26
	s_or_b64 s[2:3], s[0:1], s[2:3]
	v_addc_co_u32_e32 v27, vcc, v27, v0, vcc
	s_andn2_b64 exec, exec, s[2:3]
	s_cbranch_execz .LBB47_65
.LBB47_49:                              ; =>This Inner Loop Header: Depth=1
	v_mov_b32_e32 v0, s25
	v_add_co_u32_e32 v30, vcc, s24, v28
	v_addc_co_u32_e32 v31, vcc, 0, v0, vcc
	v_mov_b32_e32 v1, s27
	v_add_co_u32_e32 v0, vcc, s26, v28
	v_addc_co_u32_e32 v1, vcc, 0, v1, vcc
	global_load_dwordx4 v[8:11], v[0:1], off offset:16
	global_load_dwordx4 v[16:19], v[0:1], off
	v_mov_b32_e32 v0, s29
	v_add_co_u32_e32 v32, vcc, s28, v28
	v_addc_co_u32_e32 v33, vcc, 0, v0, vcc
	global_load_dwordx4 v[12:15], v[32:33], off offset:16
	global_load_dwordx4 v[20:23], v[32:33], off
	global_load_dwordx4 v[0:3], v[30:31], off offset:16
	global_load_dwordx4 v[4:7], v[30:31], off
                                        ; implicit-def: $vgpr30_vgpr31
	s_waitcnt vmcnt(2)
	v_or_b32_e32 v25, v17, v21
	v_cmp_ne_u64_e32 vcc, 0, v[24:25]
	s_and_saveexec_b64 s[0:1], vcc
	s_xor_b64 s[6:7], exec, s[0:1]
	s_cbranch_execz .LBB47_51
; %bb.50:                               ;   in Loop: Header=BB47_49 Depth=1
	v_ashrrev_i32_e32 v25, 31, v21
	v_add_co_u32_e32 v29, vcc, v20, v25
	v_addc_co_u32_e32 v21, vcc, v21, v25, vcc
	v_xor_b32_e32 v21, v21, v25
	v_xor_b32_e32 v29, v29, v25
	v_cvt_f32_u32_e32 v30, v29
	v_cvt_f32_u32_e32 v31, v21
	v_sub_co_u32_e32 v35, vcc, 0, v29
	v_subb_co_u32_e32 v36, vcc, 0, v21, vcc
	v_mac_f32_e32 v30, 0x4f800000, v31
	v_rcp_f32_e32 v30, v30
	v_mul_f32_e32 v30, 0x5f7ffffc, v30
	v_mul_f32_e32 v31, 0x2f800000, v30
	v_trunc_f32_e32 v31, v31
	v_mac_f32_e32 v30, 0xcf800000, v31
	v_cvt_u32_f32_e32 v34, v30
	v_cvt_u32_f32_e32 v37, v31
	v_mul_lo_u32 v32, v36, v34
	v_mad_u64_u32 v[30:31], s[0:1], v35, v34, 0
	v_mul_lo_u32 v33, v35, v37
	v_add3_u32 v31, v31, v33, v32
	v_mad_u64_u32 v[32:33], s[0:1], v34, v31, 0
	v_mul_hi_u32 v38, v34, v30
	v_add_co_u32_e32 v38, vcc, v38, v32
	v_addc_co_u32_e32 v39, vcc, 0, v33, vcc
	v_mad_u64_u32 v[32:33], s[0:1], v37, v31, 0
	v_mad_u64_u32 v[30:31], s[0:1], v37, v30, 0
	v_add_co_u32_e32 v30, vcc, v38, v30
	v_addc_co_u32_e32 v30, vcc, v39, v31, vcc
	v_addc_co_u32_e32 v31, vcc, 0, v33, vcc
	v_add_co_u32_e32 v30, vcc, v30, v32
	v_addc_co_u32_e32 v31, vcc, 0, v31, vcc
	v_add_co_u32_e32 v38, vcc, v34, v30
	v_addc_co_u32_e32 v39, vcc, v37, v31, vcc
	v_mul_lo_u32 v32, v35, v39
	v_mul_lo_u32 v33, v36, v38
	v_mad_u64_u32 v[30:31], s[0:1], v35, v38, 0
	v_add3_u32 v31, v31, v32, v33
	v_mad_u64_u32 v[34:35], s[0:1], v39, v30, 0
	v_mad_u64_u32 v[36:37], s[0:1], v38, v31, 0
	v_mul_hi_u32 v30, v38, v30
	v_add_co_u32_e32 v30, vcc, v30, v36
	v_mad_u64_u32 v[32:33], s[0:1], v39, v31, 0
	v_addc_co_u32_e32 v31, vcc, 0, v37, vcc
	v_add_co_u32_e32 v30, vcc, v30, v34
	v_addc_co_u32_e32 v30, vcc, v31, v35, vcc
	v_addc_co_u32_e32 v31, vcc, 0, v33, vcc
	v_add_co_u32_e32 v30, vcc, v30, v32
	v_addc_co_u32_e32 v31, vcc, 0, v31, vcc
	v_add_co_u32_e32 v32, vcc, v38, v30
	v_addc_co_u32_e32 v33, vcc, v39, v31, vcc
	v_ashrrev_i32_e32 v34, 31, v17
	v_add_co_u32_e32 v30, vcc, v16, v34
	v_xor_b32_e32 v35, v30, v34
	v_addc_co_u32_e32 v17, vcc, v17, v34, vcc
	v_mad_u64_u32 v[30:31], s[0:1], v35, v33, 0
	v_mul_hi_u32 v36, v35, v32
	v_xor_b32_e32 v17, v17, v34
	v_add_co_u32_e32 v36, vcc, v36, v30
	v_addc_co_u32_e32 v37, vcc, 0, v31, vcc
	v_mad_u64_u32 v[30:31], s[0:1], v17, v33, 0
	v_mad_u64_u32 v[32:33], s[0:1], v17, v32, 0
	v_add_co_u32_e32 v32, vcc, v36, v32
	v_addc_co_u32_e32 v32, vcc, v37, v33, vcc
	v_addc_co_u32_e32 v31, vcc, 0, v31, vcc
	v_add_co_u32_e32 v32, vcc, v32, v30
	v_addc_co_u32_e32 v33, vcc, 0, v31, vcc
	v_mul_lo_u32 v36, v21, v32
	v_mul_lo_u32 v37, v29, v33
	v_mad_u64_u32 v[30:31], s[0:1], v29, v32, 0
	v_add3_u32 v31, v31, v37, v36
	v_sub_u32_e32 v36, v17, v31
	v_sub_co_u32_e32 v30, vcc, v35, v30
	v_subb_co_u32_e64 v35, s[0:1], v36, v21, vcc
	v_sub_co_u32_e64 v36, s[0:1], v30, v29
	v_subbrev_co_u32_e64 v35, s[0:1], 0, v35, s[0:1]
	v_cmp_ge_u32_e64 s[0:1], v35, v21
	v_cndmask_b32_e64 v37, 0, -1, s[0:1]
	v_cmp_ge_u32_e64 s[0:1], v36, v29
	v_cndmask_b32_e64 v36, 0, -1, s[0:1]
	v_cmp_eq_u32_e64 s[0:1], v35, v21
	v_cndmask_b32_e64 v35, v37, v36, s[0:1]
	v_add_co_u32_e64 v36, s[0:1], 2, v32
	v_subb_co_u32_e32 v17, vcc, v17, v31, vcc
	v_addc_co_u32_e64 v37, s[0:1], 0, v33, s[0:1]
	v_cmp_ge_u32_e32 vcc, v17, v21
	v_add_co_u32_e64 v38, s[0:1], 1, v32
	v_cndmask_b32_e64 v31, 0, -1, vcc
	v_cmp_ge_u32_e32 vcc, v30, v29
	v_addc_co_u32_e64 v39, s[0:1], 0, v33, s[0:1]
	v_cndmask_b32_e64 v29, 0, -1, vcc
	v_cmp_eq_u32_e32 vcc, v17, v21
	v_cmp_ne_u32_e64 s[0:1], 0, v35
	v_cndmask_b32_e32 v17, v31, v29, vcc
	v_cmp_ne_u32_e32 vcc, 0, v17
	v_cndmask_b32_e64 v21, v38, v36, s[0:1]
	v_cndmask_b32_e64 v35, v39, v37, s[0:1]
	v_cndmask_b32_e32 v21, v32, v21, vcc
	v_xor_b32_e32 v25, v34, v25
	v_cndmask_b32_e32 v17, v33, v35, vcc
	v_xor_b32_e32 v21, v21, v25
	v_xor_b32_e32 v17, v17, v25
	v_sub_co_u32_e32 v30, vcc, v21, v25
	v_subb_co_u32_e32 v31, vcc, v17, v25, vcc
.LBB47_51:                              ;   in Loop: Header=BB47_49 Depth=1
	s_andn2_saveexec_b64 s[0:1], s[6:7]
	s_cbranch_execz .LBB47_53
; %bb.52:                               ;   in Loop: Header=BB47_49 Depth=1
	v_cvt_f32_u32_e32 v17, v20
	v_sub_u32_e32 v21, 0, v20
	v_mov_b32_e32 v31, v24
	v_rcp_iflag_f32_e32 v17, v17
	v_mul_f32_e32 v17, 0x4f7ffffe, v17
	v_cvt_u32_f32_e32 v17, v17
	v_mul_lo_u32 v21, v21, v17
	v_mul_hi_u32 v21, v17, v21
	v_add_u32_e32 v17, v17, v21
	v_mul_hi_u32 v17, v16, v17
	v_mul_lo_u32 v21, v17, v20
	v_sub_u32_e32 v16, v16, v21
	v_add_u32_e32 v25, 1, v17
	v_sub_u32_e32 v21, v16, v20
	v_cmp_ge_u32_e32 vcc, v16, v20
	v_cndmask_b32_e32 v16, v16, v21, vcc
	v_cndmask_b32_e32 v17, v17, v25, vcc
	v_add_u32_e32 v21, 1, v17
	v_cmp_ge_u32_e32 vcc, v16, v20
	v_cndmask_b32_e32 v30, v17, v21, vcc
.LBB47_53:                              ;   in Loop: Header=BB47_49 Depth=1
	s_or_b64 exec, exec, s[0:1]
	v_or_b32_e32 v25, v19, v23
	v_cmp_ne_u64_e32 vcc, 0, v[24:25]
                                        ; implicit-def: $vgpr16_vgpr17
	s_and_saveexec_b64 s[0:1], vcc
	s_xor_b64 s[6:7], exec, s[0:1]
	s_cbranch_execz .LBB47_55
; %bb.54:                               ;   in Loop: Header=BB47_49 Depth=1
	v_ashrrev_i32_e32 v25, 31, v23
	v_add_co_u32_e32 v16, vcc, v22, v25
	v_addc_co_u32_e32 v17, vcc, v23, v25, vcc
	v_xor_b32_e32 v29, v17, v25
	v_xor_b32_e32 v34, v16, v25
	v_cvt_f32_u32_e32 v16, v34
	v_cvt_f32_u32_e32 v17, v29
	v_sub_co_u32_e32 v23, vcc, 0, v34
	v_subb_co_u32_e32 v32, vcc, 0, v29, vcc
	v_mac_f32_e32 v16, 0x4f800000, v17
	v_rcp_f32_e32 v16, v16
	v_mul_f32_e32 v16, 0x5f7ffffc, v16
	v_mul_f32_e32 v17, 0x2f800000, v16
	v_trunc_f32_e32 v17, v17
	v_mac_f32_e32 v16, 0xcf800000, v17
	v_cvt_u32_f32_e32 v22, v16
	v_cvt_u32_f32_e32 v33, v17
	v_mul_lo_u32 v20, v32, v22
	v_mad_u64_u32 v[16:17], s[0:1], v23, v22, 0
	v_mul_lo_u32 v21, v23, v33
	v_add3_u32 v17, v17, v21, v20
	v_mad_u64_u32 v[20:21], s[0:1], v22, v17, 0
	v_mul_hi_u32 v35, v22, v16
	v_add_co_u32_e32 v35, vcc, v35, v20
	v_addc_co_u32_e32 v36, vcc, 0, v21, vcc
	v_mad_u64_u32 v[20:21], s[0:1], v33, v17, 0
	v_mad_u64_u32 v[16:17], s[0:1], v33, v16, 0
	v_add_co_u32_e32 v16, vcc, v35, v16
	v_addc_co_u32_e32 v16, vcc, v36, v17, vcc
	v_addc_co_u32_e32 v17, vcc, 0, v21, vcc
	v_add_co_u32_e32 v16, vcc, v16, v20
	v_addc_co_u32_e32 v17, vcc, 0, v17, vcc
	v_add_co_u32_e32 v35, vcc, v22, v16
	v_addc_co_u32_e32 v36, vcc, v33, v17, vcc
	v_mul_lo_u32 v20, v23, v36
	v_mul_lo_u32 v21, v32, v35
	v_mad_u64_u32 v[16:17], s[0:1], v23, v35, 0
	v_add3_u32 v17, v17, v20, v21
	v_mad_u64_u32 v[22:23], s[0:1], v36, v16, 0
	v_mad_u64_u32 v[32:33], s[0:1], v35, v17, 0
	v_mul_hi_u32 v16, v35, v16
	v_add_co_u32_e32 v16, vcc, v16, v32
	v_mad_u64_u32 v[20:21], s[0:1], v36, v17, 0
	v_addc_co_u32_e32 v17, vcc, 0, v33, vcc
	v_add_co_u32_e32 v16, vcc, v16, v22
	v_addc_co_u32_e32 v16, vcc, v17, v23, vcc
	v_addc_co_u32_e32 v17, vcc, 0, v21, vcc
	v_add_co_u32_e32 v16, vcc, v16, v20
	v_addc_co_u32_e32 v17, vcc, 0, v17, vcc
	v_add_co_u32_e32 v20, vcc, v35, v16
	v_addc_co_u32_e32 v21, vcc, v36, v17, vcc
	v_ashrrev_i32_e32 v22, 31, v19
	v_add_co_u32_e32 v16, vcc, v18, v22
	v_addc_co_u32_e32 v17, vcc, v19, v22, vcc
	v_xor_b32_e32 v32, v16, v22
	v_xor_b32_e32 v23, v17, v22
	v_mad_u64_u32 v[16:17], s[0:1], v32, v21, 0
	v_mul_hi_u32 v18, v32, v20
	v_add_co_u32_e32 v33, vcc, v18, v16
	v_addc_co_u32_e32 v35, vcc, 0, v17, vcc
	v_mad_u64_u32 v[18:19], s[0:1], v23, v20, 0
	v_add_co_u32_e32 v18, vcc, v33, v18
	v_mad_u64_u32 v[16:17], s[0:1], v23, v21, 0
	v_addc_co_u32_e32 v18, vcc, v35, v19, vcc
	v_addc_co_u32_e32 v17, vcc, 0, v17, vcc
	v_add_co_u32_e32 v18, vcc, v18, v16
	v_addc_co_u32_e32 v19, vcc, 0, v17, vcc
	v_mul_lo_u32 v20, v29, v18
	v_mul_lo_u32 v21, v34, v19
	v_mad_u64_u32 v[16:17], s[0:1], v34, v18, 0
	v_add3_u32 v17, v17, v21, v20
	v_sub_u32_e32 v20, v23, v17
	v_sub_co_u32_e32 v16, vcc, v32, v16
	v_subb_co_u32_e64 v20, s[0:1], v20, v29, vcc
	v_sub_co_u32_e64 v21, s[0:1], v16, v34
	v_subbrev_co_u32_e64 v20, s[0:1], 0, v20, s[0:1]
	v_cmp_ge_u32_e64 s[0:1], v20, v29
	v_cndmask_b32_e64 v32, 0, -1, s[0:1]
	v_cmp_ge_u32_e64 s[0:1], v21, v34
	v_cndmask_b32_e64 v21, 0, -1, s[0:1]
	v_cmp_eq_u32_e64 s[0:1], v20, v29
	v_cndmask_b32_e64 v20, v32, v21, s[0:1]
	v_add_co_u32_e64 v21, s[0:1], 2, v18
	v_subb_co_u32_e32 v17, vcc, v23, v17, vcc
	v_addc_co_u32_e64 v32, s[0:1], 0, v19, s[0:1]
	v_cmp_ge_u32_e32 vcc, v17, v29
	v_add_co_u32_e64 v33, s[0:1], 1, v18
	v_cndmask_b32_e64 v23, 0, -1, vcc
	v_cmp_ge_u32_e32 vcc, v16, v34
	v_addc_co_u32_e64 v35, s[0:1], 0, v19, s[0:1]
	v_cndmask_b32_e64 v16, 0, -1, vcc
	v_cmp_eq_u32_e32 vcc, v17, v29
	v_cmp_ne_u32_e64 s[0:1], 0, v20
	v_cndmask_b32_e32 v16, v23, v16, vcc
	v_cndmask_b32_e64 v20, v35, v32, s[0:1]
	v_cmp_ne_u32_e32 vcc, 0, v16
	v_cndmask_b32_e64 v17, v33, v21, s[0:1]
	v_cndmask_b32_e32 v16, v19, v20, vcc
	v_cndmask_b32_e32 v17, v18, v17, vcc
	v_xor_b32_e32 v18, v22, v25
	v_xor_b32_e32 v19, v16, v18
	;; [unrolled: 1-line block ×3, first 2 shown]
	v_sub_co_u32_e32 v16, vcc, v16, v18
	v_subb_co_u32_e32 v17, vcc, v19, v18, vcc
                                        ; implicit-def: $vgpr22_vgpr23
                                        ; implicit-def: $vgpr18_vgpr19
.LBB47_55:                              ;   in Loop: Header=BB47_49 Depth=1
	s_andn2_saveexec_b64 s[0:1], s[6:7]
	s_cbranch_execz .LBB47_57
; %bb.56:                               ;   in Loop: Header=BB47_49 Depth=1
	v_cvt_f32_u32_e32 v16, v22
	v_sub_u32_e32 v17, 0, v22
	v_rcp_iflag_f32_e32 v16, v16
	v_mul_f32_e32 v16, 0x4f7ffffe, v16
	v_cvt_u32_f32_e32 v16, v16
	v_mul_lo_u32 v17, v17, v16
	v_mul_hi_u32 v17, v16, v17
	v_add_u32_e32 v16, v16, v17
	v_mul_hi_u32 v16, v18, v16
	v_mul_lo_u32 v17, v16, v22
	v_sub_u32_e32 v17, v18, v17
	v_add_u32_e32 v19, 1, v16
	v_sub_u32_e32 v18, v17, v22
	v_cmp_ge_u32_e32 vcc, v17, v22
	v_cndmask_b32_e32 v17, v17, v18, vcc
	v_cndmask_b32_e32 v16, v16, v19, vcc
	v_add_u32_e32 v18, 1, v16
	v_cmp_ge_u32_e32 vcc, v17, v22
	v_cndmask_b32_e32 v16, v16, v18, vcc
	v_mov_b32_e32 v17, v24
.LBB47_57:                              ;   in Loop: Header=BB47_49 Depth=1
	s_or_b64 exec, exec, s[0:1]
	v_or_b32_e32 v25, v9, v13
	v_cmp_ne_u64_e32 vcc, 0, v[24:25]
                                        ; implicit-def: $vgpr18_vgpr19
	s_and_saveexec_b64 s[0:1], vcc
	s_xor_b64 s[6:7], exec, s[0:1]
	s_cbranch_execz .LBB47_59
; %bb.58:                               ;   in Loop: Header=BB47_49 Depth=1
	v_ashrrev_i32_e32 v25, 31, v13
	v_add_co_u32_e32 v18, vcc, v12, v25
	v_addc_co_u32_e32 v13, vcc, v13, v25, vcc
	v_xor_b32_e32 v13, v13, v25
	v_xor_b32_e32 v29, v18, v25
	v_cvt_f32_u32_e32 v18, v29
	v_cvt_f32_u32_e32 v19, v13
	v_sub_co_u32_e32 v23, vcc, 0, v29
	v_subb_co_u32_e32 v32, vcc, 0, v13, vcc
	v_mac_f32_e32 v18, 0x4f800000, v19
	v_rcp_f32_e32 v18, v18
	v_mul_f32_e32 v18, 0x5f7ffffc, v18
	v_mul_f32_e32 v19, 0x2f800000, v18
	v_trunc_f32_e32 v19, v19
	v_mac_f32_e32 v18, 0xcf800000, v19
	v_cvt_u32_f32_e32 v22, v18
	v_cvt_u32_f32_e32 v33, v19
	v_mul_lo_u32 v20, v32, v22
	v_mad_u64_u32 v[18:19], s[0:1], v23, v22, 0
	v_mul_lo_u32 v21, v23, v33
	v_add3_u32 v19, v19, v21, v20
	v_mad_u64_u32 v[20:21], s[0:1], v22, v19, 0
	v_mul_hi_u32 v34, v22, v18
	v_add_co_u32_e32 v34, vcc, v34, v20
	v_addc_co_u32_e32 v35, vcc, 0, v21, vcc
	v_mad_u64_u32 v[20:21], s[0:1], v33, v19, 0
	v_mad_u64_u32 v[18:19], s[0:1], v33, v18, 0
	v_add_co_u32_e32 v18, vcc, v34, v18
	v_addc_co_u32_e32 v18, vcc, v35, v19, vcc
	v_addc_co_u32_e32 v19, vcc, 0, v21, vcc
	v_add_co_u32_e32 v18, vcc, v18, v20
	v_addc_co_u32_e32 v19, vcc, 0, v19, vcc
	v_add_co_u32_e32 v34, vcc, v22, v18
	v_addc_co_u32_e32 v35, vcc, v33, v19, vcc
	v_mul_lo_u32 v20, v23, v35
	v_mul_lo_u32 v21, v32, v34
	v_mad_u64_u32 v[18:19], s[0:1], v23, v34, 0
	v_add3_u32 v19, v19, v20, v21
	v_mad_u64_u32 v[22:23], s[0:1], v35, v18, 0
	v_mad_u64_u32 v[32:33], s[0:1], v34, v19, 0
	v_mul_hi_u32 v18, v34, v18
	v_add_co_u32_e32 v18, vcc, v18, v32
	v_mad_u64_u32 v[20:21], s[0:1], v35, v19, 0
	v_addc_co_u32_e32 v19, vcc, 0, v33, vcc
	v_add_co_u32_e32 v18, vcc, v18, v22
	v_addc_co_u32_e32 v18, vcc, v19, v23, vcc
	v_addc_co_u32_e32 v19, vcc, 0, v21, vcc
	v_add_co_u32_e32 v18, vcc, v18, v20
	v_addc_co_u32_e32 v19, vcc, 0, v19, vcc
	v_add_co_u32_e32 v20, vcc, v34, v18
	v_addc_co_u32_e32 v21, vcc, v35, v19, vcc
	v_ashrrev_i32_e32 v22, 31, v9
	v_add_co_u32_e32 v18, vcc, v8, v22
	v_xor_b32_e32 v23, v18, v22
	v_addc_co_u32_e32 v9, vcc, v9, v22, vcc
	v_mad_u64_u32 v[18:19], s[0:1], v23, v21, 0
	v_mul_hi_u32 v32, v23, v20
	v_xor_b32_e32 v9, v9, v22
	v_add_co_u32_e32 v32, vcc, v32, v18
	v_addc_co_u32_e32 v33, vcc, 0, v19, vcc
	v_mad_u64_u32 v[18:19], s[0:1], v9, v21, 0
	v_mad_u64_u32 v[20:21], s[0:1], v9, v20, 0
	v_add_co_u32_e32 v20, vcc, v32, v20
	v_addc_co_u32_e32 v20, vcc, v33, v21, vcc
	v_addc_co_u32_e32 v19, vcc, 0, v19, vcc
	v_add_co_u32_e32 v20, vcc, v20, v18
	v_addc_co_u32_e32 v21, vcc, 0, v19, vcc
	v_mul_lo_u32 v32, v13, v20
	v_mul_lo_u32 v33, v29, v21
	v_mad_u64_u32 v[18:19], s[0:1], v29, v20, 0
	v_add3_u32 v19, v19, v33, v32
	v_sub_u32_e32 v32, v9, v19
	v_sub_co_u32_e32 v18, vcc, v23, v18
	v_subb_co_u32_e64 v23, s[0:1], v32, v13, vcc
	v_sub_co_u32_e64 v32, s[0:1], v18, v29
	v_subbrev_co_u32_e64 v23, s[0:1], 0, v23, s[0:1]
	v_cmp_ge_u32_e64 s[0:1], v23, v13
	v_cndmask_b32_e64 v33, 0, -1, s[0:1]
	v_cmp_ge_u32_e64 s[0:1], v32, v29
	v_cndmask_b32_e64 v32, 0, -1, s[0:1]
	v_cmp_eq_u32_e64 s[0:1], v23, v13
	v_cndmask_b32_e64 v23, v33, v32, s[0:1]
	v_add_co_u32_e64 v32, s[0:1], 2, v20
	v_subb_co_u32_e32 v9, vcc, v9, v19, vcc
	v_addc_co_u32_e64 v33, s[0:1], 0, v21, s[0:1]
	v_cmp_ge_u32_e32 vcc, v9, v13
	v_add_co_u32_e64 v34, s[0:1], 1, v20
	v_cndmask_b32_e64 v19, 0, -1, vcc
	v_cmp_ge_u32_e32 vcc, v18, v29
	v_addc_co_u32_e64 v35, s[0:1], 0, v21, s[0:1]
	v_cndmask_b32_e64 v18, 0, -1, vcc
	v_cmp_eq_u32_e32 vcc, v9, v13
	v_cmp_ne_u32_e64 s[0:1], 0, v23
	v_cndmask_b32_e32 v9, v19, v18, vcc
	v_cmp_ne_u32_e32 vcc, 0, v9
	v_cndmask_b32_e64 v13, v34, v32, s[0:1]
	v_cndmask_b32_e64 v23, v35, v33, s[0:1]
	v_cndmask_b32_e32 v13, v20, v13, vcc
	v_xor_b32_e32 v19, v22, v25
	v_cndmask_b32_e32 v9, v21, v23, vcc
	v_xor_b32_e32 v13, v13, v19
	v_xor_b32_e32 v9, v9, v19
	v_sub_co_u32_e32 v18, vcc, v13, v19
	v_subb_co_u32_e32 v19, vcc, v9, v19, vcc
.LBB47_59:                              ;   in Loop: Header=BB47_49 Depth=1
	s_andn2_saveexec_b64 s[0:1], s[6:7]
	s_cbranch_execz .LBB47_61
; %bb.60:                               ;   in Loop: Header=BB47_49 Depth=1
	v_cvt_f32_u32_e32 v9, v12
	v_sub_u32_e32 v13, 0, v12
	v_mov_b32_e32 v19, v24
	v_rcp_iflag_f32_e32 v9, v9
	v_mul_f32_e32 v9, 0x4f7ffffe, v9
	v_cvt_u32_f32_e32 v9, v9
	v_mul_lo_u32 v13, v13, v9
	v_mul_hi_u32 v13, v9, v13
	v_add_u32_e32 v9, v9, v13
	v_mul_hi_u32 v9, v8, v9
	v_mul_lo_u32 v13, v9, v12
	v_sub_u32_e32 v8, v8, v13
	v_add_u32_e32 v18, 1, v9
	v_sub_u32_e32 v13, v8, v12
	v_cmp_ge_u32_e32 vcc, v8, v12
	v_cndmask_b32_e32 v8, v8, v13, vcc
	v_cndmask_b32_e32 v9, v9, v18, vcc
	v_add_u32_e32 v13, 1, v9
	v_cmp_ge_u32_e32 vcc, v8, v12
	v_cndmask_b32_e32 v18, v9, v13, vcc
.LBB47_61:                              ;   in Loop: Header=BB47_49 Depth=1
	s_or_b64 exec, exec, s[0:1]
	v_or_b32_e32 v25, v11, v15
	v_cmp_ne_u64_e32 vcc, 0, v[24:25]
                                        ; implicit-def: $vgpr8_vgpr9
	s_and_saveexec_b64 s[0:1], vcc
	s_xor_b64 s[6:7], exec, s[0:1]
	s_cbranch_execz .LBB47_63
; %bb.62:                               ;   in Loop: Header=BB47_49 Depth=1
	v_ashrrev_i32_e32 v22, 31, v15
	v_add_co_u32_e32 v8, vcc, v14, v22
	v_addc_co_u32_e32 v9, vcc, v15, v22, vcc
	v_xor_b32_e32 v23, v9, v22
	v_xor_b32_e32 v25, v8, v22
	v_cvt_f32_u32_e32 v8, v25
	v_cvt_f32_u32_e32 v9, v23
	v_sub_co_u32_e32 v15, vcc, 0, v25
	v_subb_co_u32_e32 v20, vcc, 0, v23, vcc
	v_mac_f32_e32 v8, 0x4f800000, v9
	v_rcp_f32_e32 v8, v8
	v_mul_f32_e32 v8, 0x5f7ffffc, v8
	v_mul_f32_e32 v9, 0x2f800000, v8
	v_trunc_f32_e32 v9, v9
	v_mac_f32_e32 v8, 0xcf800000, v9
	v_cvt_u32_f32_e32 v14, v8
	v_cvt_u32_f32_e32 v21, v9
	v_mul_lo_u32 v12, v20, v14
	v_mad_u64_u32 v[8:9], s[0:1], v15, v14, 0
	v_mul_lo_u32 v13, v15, v21
	v_add3_u32 v9, v9, v13, v12
	v_mad_u64_u32 v[12:13], s[0:1], v14, v9, 0
	v_mul_hi_u32 v29, v14, v8
	v_add_co_u32_e32 v29, vcc, v29, v12
	v_addc_co_u32_e32 v32, vcc, 0, v13, vcc
	v_mad_u64_u32 v[12:13], s[0:1], v21, v9, 0
	v_mad_u64_u32 v[8:9], s[0:1], v21, v8, 0
	v_add_co_u32_e32 v8, vcc, v29, v8
	v_addc_co_u32_e32 v8, vcc, v32, v9, vcc
	v_addc_co_u32_e32 v9, vcc, 0, v13, vcc
	v_add_co_u32_e32 v8, vcc, v8, v12
	v_addc_co_u32_e32 v9, vcc, 0, v9, vcc
	v_add_co_u32_e32 v29, vcc, v14, v8
	v_addc_co_u32_e32 v32, vcc, v21, v9, vcc
	v_mul_lo_u32 v12, v15, v32
	v_mul_lo_u32 v13, v20, v29
	v_mad_u64_u32 v[8:9], s[0:1], v15, v29, 0
	v_add3_u32 v9, v9, v12, v13
	v_mad_u64_u32 v[14:15], s[0:1], v32, v8, 0
	v_mad_u64_u32 v[20:21], s[0:1], v29, v9, 0
	v_mul_hi_u32 v8, v29, v8
	v_add_co_u32_e32 v8, vcc, v8, v20
	v_mad_u64_u32 v[12:13], s[0:1], v32, v9, 0
	v_addc_co_u32_e32 v9, vcc, 0, v21, vcc
	v_add_co_u32_e32 v8, vcc, v8, v14
	v_addc_co_u32_e32 v8, vcc, v9, v15, vcc
	v_addc_co_u32_e32 v9, vcc, 0, v13, vcc
	v_add_co_u32_e32 v8, vcc, v8, v12
	v_addc_co_u32_e32 v9, vcc, 0, v9, vcc
	v_add_co_u32_e32 v12, vcc, v29, v8
	v_addc_co_u32_e32 v13, vcc, v32, v9, vcc
	v_ashrrev_i32_e32 v14, 31, v11
	v_add_co_u32_e32 v8, vcc, v10, v14
	v_addc_co_u32_e32 v9, vcc, v11, v14, vcc
	v_xor_b32_e32 v20, v8, v14
	v_xor_b32_e32 v15, v9, v14
	v_mad_u64_u32 v[8:9], s[0:1], v20, v13, 0
	v_mul_hi_u32 v10, v20, v12
	v_add_co_u32_e32 v21, vcc, v10, v8
	v_addc_co_u32_e32 v29, vcc, 0, v9, vcc
	v_mad_u64_u32 v[10:11], s[0:1], v15, v12, 0
	v_add_co_u32_e32 v10, vcc, v21, v10
	v_mad_u64_u32 v[8:9], s[0:1], v15, v13, 0
	v_addc_co_u32_e32 v10, vcc, v29, v11, vcc
	v_addc_co_u32_e32 v9, vcc, 0, v9, vcc
	v_add_co_u32_e32 v10, vcc, v10, v8
	v_addc_co_u32_e32 v11, vcc, 0, v9, vcc
	v_mul_lo_u32 v12, v23, v10
	v_mul_lo_u32 v13, v25, v11
	v_mad_u64_u32 v[8:9], s[0:1], v25, v10, 0
	v_add3_u32 v9, v9, v13, v12
	v_sub_u32_e32 v12, v15, v9
	v_sub_co_u32_e32 v8, vcc, v20, v8
	v_subb_co_u32_e64 v12, s[0:1], v12, v23, vcc
	v_sub_co_u32_e64 v13, s[0:1], v8, v25
	v_subbrev_co_u32_e64 v12, s[0:1], 0, v12, s[0:1]
	v_cmp_ge_u32_e64 s[0:1], v12, v23
	v_cndmask_b32_e64 v20, 0, -1, s[0:1]
	v_cmp_ge_u32_e64 s[0:1], v13, v25
	v_cndmask_b32_e64 v13, 0, -1, s[0:1]
	v_cmp_eq_u32_e64 s[0:1], v12, v23
	v_cndmask_b32_e64 v12, v20, v13, s[0:1]
	v_add_co_u32_e64 v13, s[0:1], 2, v10
	v_subb_co_u32_e32 v9, vcc, v15, v9, vcc
	v_addc_co_u32_e64 v20, s[0:1], 0, v11, s[0:1]
	v_cmp_ge_u32_e32 vcc, v9, v23
	v_add_co_u32_e64 v21, s[0:1], 1, v10
	v_cndmask_b32_e64 v15, 0, -1, vcc
	v_cmp_ge_u32_e32 vcc, v8, v25
	v_addc_co_u32_e64 v29, s[0:1], 0, v11, s[0:1]
	v_cndmask_b32_e64 v8, 0, -1, vcc
	v_cmp_eq_u32_e32 vcc, v9, v23
	v_cmp_ne_u32_e64 s[0:1], 0, v12
	v_cndmask_b32_e32 v8, v15, v8, vcc
	v_cndmask_b32_e64 v12, v29, v20, s[0:1]
	v_cmp_ne_u32_e32 vcc, 0, v8
	v_cndmask_b32_e64 v9, v21, v13, s[0:1]
	v_cndmask_b32_e32 v8, v11, v12, vcc
	v_cndmask_b32_e32 v9, v10, v9, vcc
	v_xor_b32_e32 v10, v14, v22
	v_xor_b32_e32 v11, v8, v10
	;; [unrolled: 1-line block ×3, first 2 shown]
	v_sub_co_u32_e32 v8, vcc, v8, v10
	v_subb_co_u32_e32 v9, vcc, v11, v10, vcc
                                        ; implicit-def: $vgpr14_vgpr15
                                        ; implicit-def: $vgpr10_vgpr11
.LBB47_63:                              ;   in Loop: Header=BB47_49 Depth=1
	s_andn2_saveexec_b64 s[0:1], s[6:7]
	s_cbranch_execz .LBB47_48
; %bb.64:                               ;   in Loop: Header=BB47_49 Depth=1
	v_cvt_f32_u32_e32 v8, v14
	v_sub_u32_e32 v9, 0, v14
	v_rcp_iflag_f32_e32 v8, v8
	v_mul_f32_e32 v8, 0x4f7ffffe, v8
	v_cvt_u32_f32_e32 v8, v8
	v_mul_lo_u32 v9, v9, v8
	v_mul_hi_u32 v9, v8, v9
	v_add_u32_e32 v8, v8, v9
	v_mul_hi_u32 v8, v10, v8
	v_mul_lo_u32 v9, v8, v14
	v_sub_u32_e32 v9, v10, v9
	v_add_u32_e32 v11, 1, v8
	v_sub_u32_e32 v10, v9, v14
	v_cmp_ge_u32_e32 vcc, v9, v14
	v_cndmask_b32_e32 v9, v9, v10, vcc
	v_cndmask_b32_e32 v8, v8, v11, vcc
	v_add_u32_e32 v10, 1, v8
	v_cmp_ge_u32_e32 vcc, v9, v14
	v_cndmask_b32_e32 v8, v8, v10, vcc
	v_mov_b32_e32 v9, v24
	s_branch .LBB47_48
.LBB47_65:
	s_endpgm
	.section	.rodata,"a",@progbits
	.p2align	6, 0x0
	.amdhsa_kernel _ZN2at6native12_GLOBAL__N_125multi_tensor_apply_kernelINS1_18TensorListMetadataILi4EEENS1_24PointwiseOpScalarFunctorIlLi4ELi3ELi3EEEJSt7dividesIlElEEEvT_T0_DpT1_
		.amdhsa_group_segment_fixed_size 0
		.amdhsa_private_segment_fixed_size 0
		.amdhsa_kernarg_size 3320
		.amdhsa_user_sgpr_count 6
		.amdhsa_user_sgpr_private_segment_buffer 1
		.amdhsa_user_sgpr_dispatch_ptr 0
		.amdhsa_user_sgpr_queue_ptr 0
		.amdhsa_user_sgpr_kernarg_segment_ptr 1
		.amdhsa_user_sgpr_dispatch_id 0
		.amdhsa_user_sgpr_flat_scratch_init 0
		.amdhsa_user_sgpr_kernarg_preload_length 0
		.amdhsa_user_sgpr_kernarg_preload_offset 0
		.amdhsa_user_sgpr_private_segment_size 0
		.amdhsa_uses_dynamic_stack 0
		.amdhsa_system_sgpr_private_segment_wavefront_offset 0
		.amdhsa_system_sgpr_workgroup_id_x 1
		.amdhsa_system_sgpr_workgroup_id_y 0
		.amdhsa_system_sgpr_workgroup_id_z 0
		.amdhsa_system_sgpr_workgroup_info 0
		.amdhsa_system_vgpr_workitem_id 0
		.amdhsa_next_free_vgpr 75
		.amdhsa_next_free_sgpr 36
		.amdhsa_accum_offset 76
		.amdhsa_reserve_vcc 1
		.amdhsa_reserve_flat_scratch 0
		.amdhsa_float_round_mode_32 0
		.amdhsa_float_round_mode_16_64 0
		.amdhsa_float_denorm_mode_32 3
		.amdhsa_float_denorm_mode_16_64 3
		.amdhsa_dx10_clamp 1
		.amdhsa_ieee_mode 1
		.amdhsa_fp16_overflow 0
		.amdhsa_tg_split 0
		.amdhsa_exception_fp_ieee_invalid_op 0
		.amdhsa_exception_fp_denorm_src 0
		.amdhsa_exception_fp_ieee_div_zero 0
		.amdhsa_exception_fp_ieee_overflow 0
		.amdhsa_exception_fp_ieee_underflow 0
		.amdhsa_exception_fp_ieee_inexact 0
		.amdhsa_exception_int_div_zero 0
	.end_amdhsa_kernel
	.section	.text._ZN2at6native12_GLOBAL__N_125multi_tensor_apply_kernelINS1_18TensorListMetadataILi4EEENS1_24PointwiseOpScalarFunctorIlLi4ELi3ELi3EEEJSt7dividesIlElEEEvT_T0_DpT1_,"axG",@progbits,_ZN2at6native12_GLOBAL__N_125multi_tensor_apply_kernelINS1_18TensorListMetadataILi4EEENS1_24PointwiseOpScalarFunctorIlLi4ELi3ELi3EEEJSt7dividesIlElEEEvT_T0_DpT1_,comdat
.Lfunc_end47:
	.size	_ZN2at6native12_GLOBAL__N_125multi_tensor_apply_kernelINS1_18TensorListMetadataILi4EEENS1_24PointwiseOpScalarFunctorIlLi4ELi3ELi3EEEJSt7dividesIlElEEEvT_T0_DpT1_, .Lfunc_end47-_ZN2at6native12_GLOBAL__N_125multi_tensor_apply_kernelINS1_18TensorListMetadataILi4EEENS1_24PointwiseOpScalarFunctorIlLi4ELi3ELi3EEEJSt7dividesIlElEEEvT_T0_DpT1_
                                        ; -- End function
	.section	.AMDGPU.csdata,"",@progbits
; Kernel info:
; codeLenInByte = 7856
; NumSgprs: 40
; NumVgprs: 75
; NumAgprs: 0
; TotalNumVgprs: 75
; ScratchSize: 0
; MemoryBound: 1
; FloatMode: 240
; IeeeMode: 1
; LDSByteSize: 0 bytes/workgroup (compile time only)
; SGPRBlocks: 4
; VGPRBlocks: 9
; NumSGPRsForWavesPerEU: 40
; NumVGPRsForWavesPerEU: 75
; AccumOffset: 76
; Occupancy: 6
; WaveLimiterHint : 0
; COMPUTE_PGM_RSRC2:SCRATCH_EN: 0
; COMPUTE_PGM_RSRC2:USER_SGPR: 6
; COMPUTE_PGM_RSRC2:TRAP_HANDLER: 0
; COMPUTE_PGM_RSRC2:TGID_X_EN: 1
; COMPUTE_PGM_RSRC2:TGID_Y_EN: 0
; COMPUTE_PGM_RSRC2:TGID_Z_EN: 0
; COMPUTE_PGM_RSRC2:TIDIG_COMP_CNT: 0
; COMPUTE_PGM_RSRC3_GFX90A:ACCUM_OFFSET: 18
; COMPUTE_PGM_RSRC3_GFX90A:TG_SPLIT: 0
	.section	.text._ZN2at6native12_GLOBAL__N_125multi_tensor_apply_kernelINS1_18TensorListMetadataILi4EEENS1_24PointwiseOpScalarFunctorIsLi4ELi3ELi3EEEJSt7dividesIsEsEEEvT_T0_DpT1_,"axG",@progbits,_ZN2at6native12_GLOBAL__N_125multi_tensor_apply_kernelINS1_18TensorListMetadataILi4EEENS1_24PointwiseOpScalarFunctorIsLi4ELi3ELi3EEEJSt7dividesIsEsEEEvT_T0_DpT1_,comdat
	.globl	_ZN2at6native12_GLOBAL__N_125multi_tensor_apply_kernelINS1_18TensorListMetadataILi4EEENS1_24PointwiseOpScalarFunctorIsLi4ELi3ELi3EEEJSt7dividesIsEsEEEvT_T0_DpT1_ ; -- Begin function _ZN2at6native12_GLOBAL__N_125multi_tensor_apply_kernelINS1_18TensorListMetadataILi4EEENS1_24PointwiseOpScalarFunctorIsLi4ELi3ELi3EEEJSt7dividesIsEsEEEvT_T0_DpT1_
	.p2align	8
	.type	_ZN2at6native12_GLOBAL__N_125multi_tensor_apply_kernelINS1_18TensorListMetadataILi4EEENS1_24PointwiseOpScalarFunctorIsLi4ELi3ELi3EEEJSt7dividesIsEsEEEvT_T0_DpT1_,@function
_ZN2at6native12_GLOBAL__N_125multi_tensor_apply_kernelINS1_18TensorListMetadataILi4EEENS1_24PointwiseOpScalarFunctorIsLi4ELi3ELi3EEEJSt7dividesIsEsEEEvT_T0_DpT1_: ; @_ZN2at6native12_GLOBAL__N_125multi_tensor_apply_kernelINS1_18TensorListMetadataILi4EEENS1_24PointwiseOpScalarFunctorIsLi4ELi3ELi3EEEJSt7dividesIsEsEEEvT_T0_DpT1_
; %bb.0:
	v_mov_b32_e32 v1, s6
	global_load_ubyte v1, v1, s[4:5] offset:1440
	s_load_dword s0, s[4:5], 0xbe8
	s_mul_i32 s7, s6, 3
	s_mul_hi_u32 s2, s6, 3
	s_mov_b32 s1, 0
	s_mov_b32 s3, s1
	s_waitcnt lgkmcnt(0)
	s_lshr_b32 s28, s0, 16
	s_add_u32 s0, s4, s6
	s_addc_u32 s8, s5, 0
	s_add_u32 s6, s0, s7
	s_addc_u32 s7, s8, s2
	s_load_dword s6, s[6:7], 0x6e0
	s_mov_b32 s9, s1
	s_waitcnt vmcnt(0)
	v_readfirstlane_b32 s0, v1
	s_lshl_b32 s0, s0, 3
	s_load_dwordx2 s[22:23], s[4:5], s0 offset:0x480
	s_load_dwordx2 s[10:11], s[4:5], s0 offset:0x0
	;; [unrolled: 1-line block ×5, first 2 shown]
	s_waitcnt lgkmcnt(0)
	s_ashr_i32 s7, s6, 31
	s_lshl_b64 s[20:21], s[6:7], 17
	s_add_u32 s2, s12, s20
	s_and_b32 s0, s10, 7
	s_and_b32 s2, s2, 7
	s_cmp_eq_u64 s[2:3], 0
	s_cselect_b64 s[2:3], -1, 0
	s_add_u32 s8, s14, s20
	s_or_b32 s8, s16, s8
	s_and_b32 s8, s8, 7
	s_cmp_eq_u32 s8, 0
	s_cselect_b64 s[18:19], -1, 0
	s_lshl_b64 s[6:7], s[6:7], 16
	s_and_b64 s[2:3], s[18:19], s[2:3]
	s_sub_u32 s18, s22, s6
	s_subb_u32 s19, s23, s7
	s_and_b32 s8, s22, 3
	s_or_b64 s[0:1], s[0:1], s[8:9]
	s_cmp_eq_u64 s[0:1], 0
	s_cselect_b64 s[0:1], -1, 0
	s_and_b64 s[2:3], s[2:3], s[0:1]
	s_mov_b64 s[0:1], -1
	s_and_b64 vcc, exec, s[2:3]
	s_cbranch_vccnz .LBB48_29
; %bb.1:
	v_cmp_lt_i64_e64 s[0:1], s[18:19], 1
	s_and_b64 vcc, exec, s[0:1]
	s_cbranch_vccnz .LBB48_28
; %bb.2:
	s_load_dword s0, s[4:5], 0xbfc
	v_mov_b32_e32 v19, 0
	v_lshlrev_b32_e32 v18, 1, v0
	v_mov_b32_e32 v21, s11
	v_mov_b32_e32 v23, s13
	s_waitcnt lgkmcnt(0)
	s_and_b32 s6, s0, 0xffff
	v_mad_u64_u32 v[16:17], s[2:3], s6, 6, v[18:19]
	v_add_co_u32_e64 v10, s[2:3], s10, v16
	v_addc_co_u32_e64 v5, s[2:3], v21, v17, s[2:3]
	v_add_co_u32_e64 v12, s[2:3], s12, v16
	v_addc_co_u32_e64 v7, s[2:3], v23, v17, s[2:3]
	v_mov_b32_e32 v27, s15
	v_add_co_u32_e64 v14, s[2:3], s14, v16
	v_mov_b32_e32 v2, 0x10000
	v_addc_co_u32_e64 v9, s[2:3], v27, v17, s[2:3]
	v_mov_b32_e32 v3, 0
	v_mov_b32_e32 v31, s17
	v_add_co_u32_e64 v16, s[2:3], s16, v16
	v_cmp_lt_u64_e32 vcc, s[18:19], v[2:3]
	s_mul_i32 s8, s6, 3
	v_addc_co_u32_e64 v11, s[2:3], v31, v17, s[2:3]
	s_and_b64 s[0:1], vcc, exec
	v_add_co_u32_e32 v2, vcc, s10, v18
	v_add_co_u32_e64 v33, s[2:3], s8, v0
	s_cselect_b32 s23, s19, 0
	s_cselect_b32 s22, s18, 0x10000
	s_lshl_b32 s30, s6, 2
	v_addc_co_u32_e32 v1, vcc, 0, v21, vcc
	v_addc_co_u32_e64 v34, s[2:3], 0, 0, s[2:3]
	v_add_co_u32_e32 v4, vcc, s12, v18
	v_add_co_u32_e64 v19, s[2:3], s30, v18
	v_addc_co_u32_e32 v3, vcc, 0, v23, vcc
	v_addc_co_u32_e64 v25, s[2:3], 0, 0, s[2:3]
	v_add_co_u32_e32 v6, vcc, s14, v18
	v_add_co_u32_e64 v8, s[0:1], s16, v18
	v_add_co_u32_e64 v18, s[2:3], s10, v19
	v_addc_co_u32_e64 v13, s[2:3], v21, v25, s[2:3]
	v_add_co_u32_e64 v20, s[2:3], s12, v19
	v_addc_co_u32_e64 v15, s[2:3], v23, v25, s[2:3]
	;; [unrolled: 2-line block ×3, first 2 shown]
	v_add_co_u32_e64 v24, s[2:3], s16, v19
	s_lshl_b32 s7, s6, 1
	v_addc_co_u32_e64 v19, s[2:3], v31, v25, s[2:3]
	v_add_co_u32_e64 v35, s[2:3], s7, v0
	v_addc_co_u32_e64 v36, s[2:3], 0, 0, s[2:3]
	v_add_co_u32_e64 v37, s[2:3], s6, v0
	v_addc_co_u32_e64 v38, s[2:3], 0, 0, s[2:3]
	v_lshlrev_b32_e32 v29, 1, v37
	v_addc_co_u32_e32 v25, vcc, 0, v27, vcc
	v_add_co_u32_e64 v26, s[2:3], s10, v29
	v_add_co_u32_e32 v30, vcc, s14, v29
	v_addc_co_u32_e64 v21, s[2:3], 0, v21, s[2:3]
	v_addc_co_u32_e32 v27, vcc, 0, v27, vcc
	v_add_co_u32_e64 v28, s[2:3], s12, v29
	v_add_co_u32_e32 v32, vcc, s16, v29
	s_mov_b32 s29, 0
	s_lshl_b32 s31, s6, 3
	s_mov_b64 s[24:25], 0
	v_addc_co_u32_e64 v23, s[2:3], 0, v23, s[2:3]
	v_addc_co_u32_e64 v29, s[0:1], 0, v31, s[0:1]
	v_addc_co_u32_e32 v31, vcc, 0, v31, vcc
	s_branch .LBB48_4
.LBB48_3:                               ;   in Loop: Header=BB48_4 Depth=1
	s_or_b64 exec, exec, s[0:1]
	s_waitcnt vmcnt(1)
	v_mov_b32_e32 v39, s29
	v_add_co_u32_e64 v2, s[2:3], s31, v2
	v_addc_co_u32_e64 v1, s[2:3], v1, v39, s[2:3]
	v_add_co_u32_e64 v4, s[2:3], s31, v4
	v_addc_co_u32_e64 v3, s[2:3], v3, v39, s[2:3]
	;; [unrolled: 2-line block ×12, first 2 shown]
	v_add_co_u32_e64 v26, s[2:3], s31, v26
	s_add_u32 s24, s24, s30
	v_addc_co_u32_e64 v21, s[2:3], v21, v39, s[2:3]
	s_addc_u32 s25, s25, 0
	v_pk_mov_b32 v[40:41], s[18:19], s[18:19] op_sel:[0,1]
	v_add_co_u32_e64 v28, s[2:3], s31, v28
	v_cmp_lt_i64_e32 vcc, s[24:25], v[40:41]
	v_mov_b32_e32 v40, 0x10000
	v_addc_co_u32_e64 v23, s[2:3], v23, v39, s[2:3]
	v_mov_b32_e32 v41, 0
	v_add_co_u32_e64 v30, s[2:3], s31, v30
	v_cmp_lt_u64_e64 s[0:1], s[24:25], v[40:41]
	v_addc_co_u32_e64 v27, s[2:3], v27, v39, s[2:3]
	v_add_co_u32_e64 v32, s[2:3], s31, v32
	s_and_b64 s[0:1], vcc, s[0:1]
	v_addc_co_u32_e64 v31, s[2:3], v31, v39, s[2:3]
	s_and_b64 vcc, exec, s[0:1]
	s_cbranch_vccz .LBB48_28
.LBB48_4:                               ; =>This Inner Loop Header: Depth=1
	v_mov_b32_e32 v39, s25
	v_add_co_u32_e32 v40, vcc, s24, v0
	v_addc_co_u32_e32 v41, vcc, 0, v39, vcc
	v_cmp_gt_u64_e32 vcc, s[22:23], v[40:41]
	v_mov_b32_e32 v40, 0
	s_waitcnt vmcnt(0)
	v_mov_b32_e32 v43, 0
	s_and_saveexec_b64 s[2:3], vcc
	s_cbranch_execz .LBB48_6
; %bb.5:                                ;   in Loop: Header=BB48_4 Depth=1
	v_mov_b32_e32 v39, s21
	v_add_co_u32_e64 v44, s[0:1], s20, v2
	v_addc_co_u32_e64 v45, s[0:1], v1, v39, s[0:1]
	v_add_co_u32_e64 v46, s[0:1], s20, v4
	v_addc_co_u32_e64 v47, s[0:1], v3, v39, s[0:1]
	global_load_ushort v40, v[44:45], off
	global_load_ushort v43, v[46:47], off
.LBB48_6:                               ;   in Loop: Header=BB48_4 Depth=1
	s_or_b64 exec, exec, s[2:3]
	v_mov_b32_e32 v39, 0
	v_mov_b32_e32 v45, 0
	s_and_saveexec_b64 s[2:3], vcc
	s_cbranch_execz .LBB48_8
; %bb.7:                                ;   in Loop: Header=BB48_4 Depth=1
	v_mov_b32_e32 v41, s21
	v_add_co_u32_e64 v44, s[0:1], s20, v6
	v_addc_co_u32_e64 v45, s[0:1], v25, v41, s[0:1]
	global_load_ushort v45, v[44:45], off
.LBB48_8:                               ;   in Loop: Header=BB48_4 Depth=1
	s_or_b64 exec, exec, s[2:3]
	v_mov_b32_e32 v41, s25
	v_add_co_u32_e64 v46, s[0:1], s24, v37
	v_addc_co_u32_e64 v47, s[0:1], v38, v41, s[0:1]
	v_cmp_gt_u64_e64 s[0:1], s[22:23], v[46:47]
	v_mov_b32_e32 v44, 0
	s_and_saveexec_b64 s[6:7], s[0:1]
	s_cbranch_execz .LBB48_10
; %bb.9:                                ;   in Loop: Header=BB48_4 Depth=1
	v_mov_b32_e32 v39, s21
	v_add_co_u32_e64 v46, s[2:3], s20, v28
	v_addc_co_u32_e64 v47, s[2:3], v23, v39, s[2:3]
	v_add_co_u32_e64 v48, s[2:3], s20, v26
	v_addc_co_u32_e64 v49, s[2:3], v21, v39, s[2:3]
	global_load_ushort v39, v[48:49], off
	global_load_ushort v44, v[46:47], off
.LBB48_10:                              ;   in Loop: Header=BB48_4 Depth=1
	s_or_b64 exec, exec, s[6:7]
	v_mov_b32_e32 v41, 0
	v_mov_b32_e32 v47, 0
	s_and_saveexec_b64 s[6:7], s[0:1]
	s_cbranch_execz .LBB48_12
; %bb.11:                               ;   in Loop: Header=BB48_4 Depth=1
	v_mov_b32_e32 v42, s21
	v_add_co_u32_e64 v46, s[2:3], s20, v30
	v_addc_co_u32_e64 v47, s[2:3], v27, v42, s[2:3]
	global_load_ushort v47, v[46:47], off
.LBB48_12:                              ;   in Loop: Header=BB48_4 Depth=1
	s_or_b64 exec, exec, s[6:7]
	v_mov_b32_e32 v42, s25
	v_add_co_u32_e64 v48, s[2:3], s24, v35
	v_addc_co_u32_e64 v49, s[2:3], v36, v42, s[2:3]
	v_cmp_gt_u64_e64 s[2:3], s[22:23], v[48:49]
	v_mov_b32_e32 v46, 0
	s_and_saveexec_b64 s[8:9], s[2:3]
	s_cbranch_execz .LBB48_14
; %bb.13:                               ;   in Loop: Header=BB48_4 Depth=1
	v_mov_b32_e32 v41, s21
	v_add_co_u32_e64 v48, s[6:7], s20, v20
	v_addc_co_u32_e64 v49, s[6:7], v15, v41, s[6:7]
	v_add_co_u32_e64 v50, s[6:7], s20, v18
	v_addc_co_u32_e64 v51, s[6:7], v13, v41, s[6:7]
	global_load_ushort v41, v[50:51], off
	global_load_ushort v46, v[48:49], off
.LBB48_14:                              ;   in Loop: Header=BB48_4 Depth=1
	s_or_b64 exec, exec, s[8:9]
	v_mov_b32_e32 v42, 0
	v_mov_b32_e32 v49, 0
	s_and_saveexec_b64 s[8:9], s[2:3]
	s_cbranch_execz .LBB48_16
; %bb.15:                               ;   in Loop: Header=BB48_4 Depth=1
	v_mov_b32_e32 v49, s21
	v_add_co_u32_e64 v48, s[6:7], s20, v22
	v_addc_co_u32_e64 v49, s[6:7], v17, v49, s[6:7]
	global_load_ushort v49, v[48:49], off
.LBB48_16:                              ;   in Loop: Header=BB48_4 Depth=1
	s_or_b64 exec, exec, s[8:9]
	v_mov_b32_e32 v48, s25
	v_add_co_u32_e64 v50, s[6:7], s24, v33
	v_addc_co_u32_e64 v51, s[6:7], v34, v48, s[6:7]
	v_cmp_gt_u64_e64 s[6:7], s[22:23], v[50:51]
	v_mov_b32_e32 v48, 0
	s_and_saveexec_b64 s[26:27], s[6:7]
	s_cbranch_execnz .LBB48_22
; %bb.17:                               ;   in Loop: Header=BB48_4 Depth=1
	s_or_b64 exec, exec, s[26:27]
	v_mov_b32_e32 v50, 0
	s_and_saveexec_b64 s[26:27], s[6:7]
	s_cbranch_execnz .LBB48_23
.LBB48_18:                              ;   in Loop: Header=BB48_4 Depth=1
	s_or_b64 exec, exec, s[26:27]
	s_and_saveexec_b64 s[8:9], vcc
	s_cbranch_execnz .LBB48_24
.LBB48_19:                              ;   in Loop: Header=BB48_4 Depth=1
	s_or_b64 exec, exec, s[8:9]
	s_and_saveexec_b64 s[8:9], s[0:1]
	s_cbranch_execnz .LBB48_25
.LBB48_20:                              ;   in Loop: Header=BB48_4 Depth=1
	s_or_b64 exec, exec, s[8:9]
	s_and_saveexec_b64 s[0:1], s[2:3]
	s_cbranch_execnz .LBB48_26
.LBB48_21:                              ;   in Loop: Header=BB48_4 Depth=1
	s_or_b64 exec, exec, s[0:1]
	s_and_saveexec_b64 s[0:1], s[6:7]
	s_cbranch_execz .LBB48_3
	s_branch .LBB48_27
.LBB48_22:                              ;   in Loop: Header=BB48_4 Depth=1
	v_mov_b32_e32 v42, s21
	v_add_co_u32_e64 v50, s[8:9], s20, v12
	v_addc_co_u32_e64 v51, s[8:9], v7, v42, s[8:9]
	v_add_co_u32_e64 v52, s[8:9], s20, v10
	v_addc_co_u32_e64 v53, s[8:9], v5, v42, s[8:9]
	global_load_ushort v42, v[52:53], off
	global_load_ushort v48, v[50:51], off
	s_or_b64 exec, exec, s[26:27]
	v_mov_b32_e32 v50, 0
	s_and_saveexec_b64 s[26:27], s[6:7]
	s_cbranch_execz .LBB48_18
.LBB48_23:                              ;   in Loop: Header=BB48_4 Depth=1
	v_mov_b32_e32 v51, s21
	v_add_co_u32_e64 v50, s[8:9], s20, v14
	v_addc_co_u32_e64 v51, s[8:9], v9, v51, s[8:9]
	global_load_ushort v50, v[50:51], off
	s_or_b64 exec, exec, s[26:27]
	s_and_saveexec_b64 s[8:9], vcc
	s_cbranch_execz .LBB48_19
.LBB48_24:                              ;   in Loop: Header=BB48_4 Depth=1
	s_waitcnt vmcnt(0)
	v_cvt_f32_i32_sdwa v51, sext(v45) dst_sel:DWORD dst_unused:UNUSED_PAD src0_sel:WORD_0
	v_xor_b32_sdwa v45, sext(v43), sext(v45) dst_sel:DWORD dst_unused:UNUSED_PAD src0_sel:WORD_0 src1_sel:WORD_0
	v_cvt_f32_i32_sdwa v43, sext(v43) dst_sel:DWORD dst_unused:UNUSED_PAD src0_sel:WORD_0
	v_ashrrev_i32_e32 v45, 30, v45
	v_rcp_iflag_f32_e32 v52, v51
	v_or_b32_e32 v45, 1, v45
	v_mov_b32_e32 v53, s21
	v_mul_f32_e32 v52, v43, v52
	v_trunc_f32_e32 v52, v52
	v_cvt_i32_f32_e32 v54, v52
	v_mad_f32 v43, -v52, v51, v43
	v_cmp_ge_f32_e64 vcc, |v43|, |v51|
	v_cndmask_b32_e32 v43, 0, v45, vcc
	v_add_u32_e32 v43, v54, v43
	v_add_co_u32_e32 v52, vcc, s20, v8
	v_mad_legacy_u16 v40, v43, s28, v40
	v_addc_co_u32_e32 v53, vcc, v29, v53, vcc
	global_store_short v[52:53], v40, off
	s_or_b64 exec, exec, s[8:9]
	s_and_saveexec_b64 s[8:9], s[0:1]
	s_cbranch_execz .LBB48_20
.LBB48_25:                              ;   in Loop: Header=BB48_4 Depth=1
	s_waitcnt vmcnt(0)
	v_cvt_f32_i32_sdwa v40, sext(v47) dst_sel:DWORD dst_unused:UNUSED_PAD src0_sel:WORD_0
	v_xor_b32_sdwa v43, sext(v44), sext(v47) dst_sel:DWORD dst_unused:UNUSED_PAD src0_sel:WORD_0 src1_sel:WORD_0
	v_cvt_f32_i32_sdwa v44, sext(v44) dst_sel:DWORD dst_unused:UNUSED_PAD src0_sel:WORD_0
	v_ashrrev_i32_e32 v43, 30, v43
	v_rcp_iflag_f32_e32 v45, v40
	v_or_b32_e32 v43, 1, v43
	v_mov_b32_e32 v47, s21
	v_mul_f32_e32 v45, v44, v45
	v_trunc_f32_e32 v45, v45
	v_cvt_i32_f32_e32 v51, v45
	v_mad_f32 v44, -v45, v40, v44
	v_cmp_ge_f32_e64 vcc, |v44|, |v40|
	v_cndmask_b32_e32 v40, 0, v43, vcc
	v_add_u32_e32 v40, v51, v40
	v_add_co_u32_e32 v44, vcc, s20, v32
	v_mad_legacy_u16 v39, v40, s28, v39
	v_addc_co_u32_e32 v45, vcc, v31, v47, vcc
	global_store_short v[44:45], v39, off
	s_or_b64 exec, exec, s[8:9]
	s_and_saveexec_b64 s[0:1], s[2:3]
	s_cbranch_execz .LBB48_21
.LBB48_26:                              ;   in Loop: Header=BB48_4 Depth=1
	s_waitcnt vmcnt(0)
	v_cvt_f32_i32_sdwa v39, sext(v49) dst_sel:DWORD dst_unused:UNUSED_PAD src0_sel:WORD_0
	v_cvt_f32_i32_sdwa v43, sext(v46) dst_sel:DWORD dst_unused:UNUSED_PAD src0_sel:WORD_0
	v_xor_b32_sdwa v40, sext(v46), sext(v49) dst_sel:DWORD dst_unused:UNUSED_PAD src0_sel:WORD_0 src1_sel:WORD_0
	v_ashrrev_i32_e32 v40, 30, v40
	v_rcp_iflag_f32_e32 v44, v39
	v_or_b32_e32 v40, 1, v40
	v_mov_b32_e32 v45, s21
	v_mul_f32_e32 v44, v43, v44
	v_trunc_f32_e32 v44, v44
	v_cvt_i32_f32_e32 v46, v44
	v_mad_f32 v43, -v44, v39, v43
	v_cmp_ge_f32_e64 vcc, |v43|, |v39|
	v_cndmask_b32_e32 v39, 0, v40, vcc
	v_add_u32_e32 v39, v46, v39
	v_add_co_u32_e32 v40, vcc, s20, v24
	v_mad_legacy_u16 v39, v39, s28, v41
	v_addc_co_u32_e32 v41, vcc, v19, v45, vcc
	global_store_short v[40:41], v39, off
	s_or_b64 exec, exec, s[0:1]
	s_and_saveexec_b64 s[0:1], s[6:7]
	s_cbranch_execz .LBB48_3
.LBB48_27:                              ;   in Loop: Header=BB48_4 Depth=1
	s_waitcnt vmcnt(0)
	v_cvt_f32_i32_sdwa v39, sext(v50) dst_sel:DWORD dst_unused:UNUSED_PAD src0_sel:WORD_0
	v_cvt_f32_i32_sdwa v41, sext(v48) dst_sel:DWORD dst_unused:UNUSED_PAD src0_sel:WORD_0
	v_xor_b32_sdwa v40, sext(v48), sext(v50) dst_sel:DWORD dst_unused:UNUSED_PAD src0_sel:WORD_0 src1_sel:WORD_0
	v_ashrrev_i32_e32 v40, 30, v40
	v_rcp_iflag_f32_e32 v43, v39
	v_or_b32_e32 v40, 1, v40
	v_mov_b32_e32 v44, s21
	v_mul_f32_e32 v43, v41, v43
	v_trunc_f32_e32 v43, v43
	v_cvt_i32_f32_e32 v45, v43
	v_mad_f32 v41, -v43, v39, v41
	v_cmp_ge_f32_e64 vcc, |v41|, |v39|
	v_cndmask_b32_e32 v39, 0, v40, vcc
	v_add_u32_e32 v39, v45, v39
	v_add_co_u32_e32 v40, vcc, s20, v16
	v_mad_legacy_u16 v39, v39, s28, v42
	v_addc_co_u32_e32 v41, vcc, v11, v44, vcc
	global_store_short v[40:41], v39, off
	s_branch .LBB48_3
.LBB48_28:
	s_mov_b64 s[0:1], 0
.LBB48_29:
	s_andn2_b64 vcc, exec, s[0:1]
	s_cbranch_vccnz .LBB48_33
; %bb.30:
	v_mov_b32_e32 v3, 0
	v_lshlrev_b32_e32 v2, 2, v0
	s_mov_b32 s0, 0
	v_cmp_gt_i64_e32 vcc, s[18:19], v[2:3]
	s_and_saveexec_b64 s[2:3], vcc
	s_cbranch_execz .LBB48_33
; %bb.31:
	s_load_dword s1, s[4:5], 0xbfc
	v_lshlrev_b32_e32 v1, 3, v0
	v_mov_b32_e32 v2, s21
	v_add_co_u32_e32 v4, vcc, s20, v1
	s_waitcnt lgkmcnt(0)
	s_and_b32 s1, s1, 0xffff
	v_addc_co_u32_e32 v1, vcc, 0, v2, vcc
	s_lshl_b32 s8, s1, 3
	v_add_lshl_u32 v2, v0, s1, 2
	s_lshl_b32 s9, s1, 2
	s_mov_b64 s[4:5], 0
	v_mov_b32_e32 v0, s11
	v_mov_b32_e32 v5, s13
	;; [unrolled: 1-line block ×4, first 2 shown]
	s_mov_b64 s[6:7], 0xffff
	v_mov_b32_e32 v8, s0
	v_mov_b32_e32 v9, s0
.LBB48_32:                              ; =>This Inner Loop Header: Depth=1
	v_add_co_u32_e32 v10, vcc, s10, v4
	v_addc_co_u32_e32 v11, vcc, v0, v1, vcc
	v_add_co_u32_e32 v12, vcc, s12, v4
	v_addc_co_u32_e32 v13, vcc, v5, v1, vcc
	;; [unrolled: 2-line block ×3, first 2 shown]
	global_load_dwordx2 v[16:17], v[12:13], off
	global_load_dwordx2 v[18:19], v[14:15], off
	;; [unrolled: 1-line block ×3, first 2 shown]
	v_add_co_u32_e32 v10, vcc, s16, v4
	v_addc_co_u32_e32 v11, vcc, v7, v1, vcc
	v_cmp_le_i64_e32 vcc, s[18:19], v[2:3]
	v_cmp_lt_u64_e64 s[0:1], s[6:7], v[2:3]
	s_or_b64 s[0:1], vcc, s[0:1]
	v_add_co_u32_e64 v4, s[2:3], s8, v4
	v_addc_co_u32_e64 v1, s[2:3], v1, v8, s[2:3]
	v_add_co_u32_e64 v2, s[2:3], s9, v2
	s_and_b64 s[0:1], exec, s[0:1]
	v_addc_co_u32_e64 v3, s[2:3], v3, v9, s[2:3]
	s_or_b64 s[4:5], s[0:1], s[4:5]
	s_waitcnt vmcnt(2)
	v_cvt_f32_i32_sdwa v13, sext(v16) dst_sel:DWORD dst_unused:UNUSED_PAD src0_sel:WORD_0
	s_waitcnt vmcnt(1)
	v_cvt_f32_i32_sdwa v14, sext(v18) dst_sel:DWORD dst_unused:UNUSED_PAD src0_sel:WORD_0
	v_cvt_f32_i32_sdwa v24, sext(v18) dst_sel:DWORD dst_unused:UNUSED_PAD src0_sel:WORD_1
	v_xor_b32_sdwa v12, sext(v16), sext(v18) dst_sel:DWORD dst_unused:UNUSED_PAD src0_sel:WORD_0 src1_sel:WORD_0
	v_xor_b32_sdwa v22, sext(v16), sext(v18) dst_sel:DWORD dst_unused:UNUSED_PAD src0_sel:WORD_1 src1_sel:WORD_1
	v_cvt_f32_i32_sdwa v23, sext(v16) dst_sel:DWORD dst_unused:UNUSED_PAD src0_sel:WORD_1
	v_alignbit_b32 v16, v17, v16, 16
	v_alignbit_b32 v18, v19, v18, 16
	v_xor_b32_sdwa v26, sext(v17), sext(v19) dst_sel:DWORD dst_unused:UNUSED_PAD src0_sel:WORD_1 src1_sel:WORD_1
	v_cvt_f32_i32_sdwa v19, sext(v19) dst_sel:DWORD dst_unused:UNUSED_PAD src0_sel:WORD_1
	v_xor_b32_sdwa v27, sext(v16), sext(v18) dst_sel:DWORD dst_unused:UNUSED_PAD src0_sel:WORD_1 src1_sel:WORD_1
	v_cvt_f32_i32_sdwa v18, sext(v18) dst_sel:DWORD dst_unused:UNUSED_PAD src0_sel:WORD_1
	v_rcp_iflag_f32_e32 v28, v14
	v_rcp_iflag_f32_e32 v29, v24
	v_cvt_f32_i32_sdwa v17, sext(v17) dst_sel:DWORD dst_unused:UNUSED_PAD src0_sel:WORD_1
	v_rcp_iflag_f32_e32 v30, v19
	v_cvt_f32_i32_sdwa v16, sext(v16) dst_sel:DWORD dst_unused:UNUSED_PAD src0_sel:WORD_1
	v_rcp_iflag_f32_e32 v31, v18
	v_mul_f32_e32 v28, v13, v28
	v_mul_f32_e32 v29, v23, v29
	;; [unrolled: 1-line block ×3, first 2 shown]
	v_trunc_f32_e32 v28, v28
	v_trunc_f32_e32 v29, v29
	v_ashrrev_i32_e32 v12, 30, v12
	v_mul_f32_e32 v31, v16, v31
	v_trunc_f32_e32 v30, v30
	v_mad_f32 v13, -v28, v14, v13
	v_cvt_i32_f32_e32 v28, v28
	v_mad_f32 v23, -v29, v24, v23
	v_cvt_i32_f32_e32 v29, v29
	v_ashrrev_i32_e32 v22, 30, v22
	v_or_b32_e32 v12, 1, v12
	v_trunc_f32_e32 v31, v31
	v_mad_f32 v17, -v30, v19, v17
	v_cvt_i32_f32_e32 v30, v30
	v_cmp_ge_f32_e64 vcc, |v13|, |v14|
	v_ashrrev_i32_e32 v26, 30, v26
	v_or_b32_e32 v22, 1, v22
	v_cndmask_b32_e32 v12, 0, v12, vcc
	v_cmp_ge_f32_e64 vcc, |v23|, |v24|
	v_mad_f32 v14, -v31, v18, v16
	v_cvt_i32_f32_e32 v16, v31
	v_ashrrev_i32_e32 v27, 30, v27
	v_or_b32_e32 v26, 1, v26
	v_cndmask_b32_e32 v13, 0, v22, vcc
	v_cmp_ge_f32_e64 vcc, |v17|, |v19|
	s_waitcnt vmcnt(0)
	v_lshrrev_b32_e32 v15, 16, v20
	v_or_b32_e32 v27, 1, v27
	v_cndmask_b32_e32 v17, 0, v26, vcc
	v_cmp_ge_f32_e64 vcc, |v14|, |v18|
	v_add_u32_e32 v12, v28, v12
	v_add_u32_e32 v13, v29, v13
	v_lshrrev_b32_e32 v25, 16, v21
	v_cndmask_b32_e32 v14, 0, v27, vcc
	v_add_u32_e32 v17, v30, v17
	v_mul_lo_u16_e32 v12, s28, v12
	v_mad_legacy_u16 v13, v13, s28, v15
	v_add_u32_e32 v14, v16, v14
	v_mad_legacy_u16 v15, v17, s28, v25
	v_add_u16_e32 v12, v12, v20
	v_lshlrev_b32_e32 v13, 16, v13
	v_mad_legacy_u16 v14, v14, s28, v21
	v_lshlrev_b32_e32 v15, 16, v15
	v_or_b32_e32 v12, v13, v12
	v_or3_b32 v13, 0, v14, v15
	v_or3_b32 v12, v12, 0, 0
	global_store_dwordx2 v[10:11], v[12:13], off
	s_andn2_b64 exec, exec, s[4:5]
	s_cbranch_execnz .LBB48_32
.LBB48_33:
	s_endpgm
	.section	.rodata,"a",@progbits
	.p2align	6, 0x0
	.amdhsa_kernel _ZN2at6native12_GLOBAL__N_125multi_tensor_apply_kernelINS1_18TensorListMetadataILi4EEENS1_24PointwiseOpScalarFunctorIsLi4ELi3ELi3EEEJSt7dividesIsEsEEEvT_T0_DpT1_
		.amdhsa_group_segment_fixed_size 0
		.amdhsa_private_segment_fixed_size 0
		.amdhsa_kernarg_size 3312
		.amdhsa_user_sgpr_count 6
		.amdhsa_user_sgpr_private_segment_buffer 1
		.amdhsa_user_sgpr_dispatch_ptr 0
		.amdhsa_user_sgpr_queue_ptr 0
		.amdhsa_user_sgpr_kernarg_segment_ptr 1
		.amdhsa_user_sgpr_dispatch_id 0
		.amdhsa_user_sgpr_flat_scratch_init 0
		.amdhsa_user_sgpr_kernarg_preload_length 0
		.amdhsa_user_sgpr_kernarg_preload_offset 0
		.amdhsa_user_sgpr_private_segment_size 0
		.amdhsa_uses_dynamic_stack 0
		.amdhsa_system_sgpr_private_segment_wavefront_offset 0
		.amdhsa_system_sgpr_workgroup_id_x 1
		.amdhsa_system_sgpr_workgroup_id_y 0
		.amdhsa_system_sgpr_workgroup_id_z 0
		.amdhsa_system_sgpr_workgroup_info 0
		.amdhsa_system_vgpr_workitem_id 0
		.amdhsa_next_free_vgpr 55
		.amdhsa_next_free_sgpr 32
		.amdhsa_accum_offset 56
		.amdhsa_reserve_vcc 1
		.amdhsa_reserve_flat_scratch 0
		.amdhsa_float_round_mode_32 0
		.amdhsa_float_round_mode_16_64 0
		.amdhsa_float_denorm_mode_32 3
		.amdhsa_float_denorm_mode_16_64 3
		.amdhsa_dx10_clamp 1
		.amdhsa_ieee_mode 1
		.amdhsa_fp16_overflow 0
		.amdhsa_tg_split 0
		.amdhsa_exception_fp_ieee_invalid_op 0
		.amdhsa_exception_fp_denorm_src 0
		.amdhsa_exception_fp_ieee_div_zero 0
		.amdhsa_exception_fp_ieee_overflow 0
		.amdhsa_exception_fp_ieee_underflow 0
		.amdhsa_exception_fp_ieee_inexact 0
		.amdhsa_exception_int_div_zero 0
	.end_amdhsa_kernel
	.section	.text._ZN2at6native12_GLOBAL__N_125multi_tensor_apply_kernelINS1_18TensorListMetadataILi4EEENS1_24PointwiseOpScalarFunctorIsLi4ELi3ELi3EEEJSt7dividesIsEsEEEvT_T0_DpT1_,"axG",@progbits,_ZN2at6native12_GLOBAL__N_125multi_tensor_apply_kernelINS1_18TensorListMetadataILi4EEENS1_24PointwiseOpScalarFunctorIsLi4ELi3ELi3EEEJSt7dividesIsEsEEEvT_T0_DpT1_,comdat
.Lfunc_end48:
	.size	_ZN2at6native12_GLOBAL__N_125multi_tensor_apply_kernelINS1_18TensorListMetadataILi4EEENS1_24PointwiseOpScalarFunctorIsLi4ELi3ELi3EEEJSt7dividesIsEsEEEvT_T0_DpT1_, .Lfunc_end48-_ZN2at6native12_GLOBAL__N_125multi_tensor_apply_kernelINS1_18TensorListMetadataILi4EEENS1_24PointwiseOpScalarFunctorIsLi4ELi3ELi3EEEJSt7dividesIsEsEEEvT_T0_DpT1_
                                        ; -- End function
	.section	.AMDGPU.csdata,"",@progbits
; Kernel info:
; codeLenInByte = 2696
; NumSgprs: 36
; NumVgprs: 55
; NumAgprs: 0
; TotalNumVgprs: 55
; ScratchSize: 0
; MemoryBound: 0
; FloatMode: 240
; IeeeMode: 1
; LDSByteSize: 0 bytes/workgroup (compile time only)
; SGPRBlocks: 4
; VGPRBlocks: 6
; NumSGPRsForWavesPerEU: 36
; NumVGPRsForWavesPerEU: 55
; AccumOffset: 56
; Occupancy: 8
; WaveLimiterHint : 0
; COMPUTE_PGM_RSRC2:SCRATCH_EN: 0
; COMPUTE_PGM_RSRC2:USER_SGPR: 6
; COMPUTE_PGM_RSRC2:TRAP_HANDLER: 0
; COMPUTE_PGM_RSRC2:TGID_X_EN: 1
; COMPUTE_PGM_RSRC2:TGID_Y_EN: 0
; COMPUTE_PGM_RSRC2:TGID_Z_EN: 0
; COMPUTE_PGM_RSRC2:TIDIG_COMP_CNT: 0
; COMPUTE_PGM_RSRC3_GFX90A:ACCUM_OFFSET: 13
; COMPUTE_PGM_RSRC3_GFX90A:TG_SPLIT: 0
	.section	.text._ZN2at6native12_GLOBAL__N_125multi_tensor_apply_kernelINS1_18TensorListMetadataILi4EEENS1_24PointwiseOpScalarFunctorIdLi4ELi3ELi3EEEJSt7dividesIdEdEEEvT_T0_DpT1_,"axG",@progbits,_ZN2at6native12_GLOBAL__N_125multi_tensor_apply_kernelINS1_18TensorListMetadataILi4EEENS1_24PointwiseOpScalarFunctorIdLi4ELi3ELi3EEEJSt7dividesIdEdEEEvT_T0_DpT1_,comdat
	.globl	_ZN2at6native12_GLOBAL__N_125multi_tensor_apply_kernelINS1_18TensorListMetadataILi4EEENS1_24PointwiseOpScalarFunctorIdLi4ELi3ELi3EEEJSt7dividesIdEdEEEvT_T0_DpT1_ ; -- Begin function _ZN2at6native12_GLOBAL__N_125multi_tensor_apply_kernelINS1_18TensorListMetadataILi4EEENS1_24PointwiseOpScalarFunctorIdLi4ELi3ELi3EEEJSt7dividesIdEdEEEvT_T0_DpT1_
	.p2align	8
	.type	_ZN2at6native12_GLOBAL__N_125multi_tensor_apply_kernelINS1_18TensorListMetadataILi4EEENS1_24PointwiseOpScalarFunctorIdLi4ELi3ELi3EEEJSt7dividesIdEdEEEvT_T0_DpT1_,@function
_ZN2at6native12_GLOBAL__N_125multi_tensor_apply_kernelINS1_18TensorListMetadataILi4EEENS1_24PointwiseOpScalarFunctorIdLi4ELi3ELi3EEEJSt7dividesIdEdEEEvT_T0_DpT1_: ; @_ZN2at6native12_GLOBAL__N_125multi_tensor_apply_kernelINS1_18TensorListMetadataILi4EEENS1_24PointwiseOpScalarFunctorIdLi4ELi3ELi3EEEJSt7dividesIdEdEEEvT_T0_DpT1_
; %bb.0:
	v_mov_b32_e32 v1, s6
	global_load_ubyte v1, v1, s[4:5] offset:1440
	s_add_u32 s0, s4, s6
	s_mul_hi_u32 s1, s6, 3
	s_mul_i32 s6, s6, 3
	s_addc_u32 s2, s5, 0
	s_add_u32 s0, s0, s6
	s_addc_u32 s1, s2, s1
	s_load_dword s0, s[0:1], 0x6e0
	s_mov_b32 s19, 0
	s_mov_b32 s15, s19
	;; [unrolled: 1-line block ×3, first 2 shown]
	s_waitcnt lgkmcnt(0)
	s_ashr_i32 s1, s0, 31
	s_lshl_b64 s[16:17], s[0:1], 19
	s_waitcnt vmcnt(0)
	v_readfirstlane_b32 s2, v1
	s_lshl_b32 s14, s2, 3
	s_load_dwordx2 s[10:11], s[4:5], s14 offset:0x0
	s_load_dwordx2 s[12:13], s[4:5], 0xbf0
	s_load_dwordx2 s[22:23], s[4:5], s14 offset:0x480
	s_load_dwordx2 s[8:9], s[4:5], s14 offset:0x120
	;; [unrolled: 1-line block ×4, first 2 shown]
	s_waitcnt lgkmcnt(0)
	s_add_u32 s24, s10, s16
	s_addc_u32 s25, s11, s17
	s_and_b32 s18, s24, 31
	s_add_u32 s26, s8, s16
	s_addc_u32 s27, s9, s17
	s_and_b32 s14, s26, 31
	s_cmp_eq_u64 s[14:15], 0
	s_cselect_b64 s[14:15], -1, 0
	s_add_u32 s28, s6, s16
	s_addc_u32 s29, s7, s17
	s_add_u32 s30, s2, s16
	s_addc_u32 s31, s3, s17
	s_or_b32 s20, s30, s28
	s_and_b32 s20, s20, 31
	s_cmp_eq_u32 s20, 0
	s_cselect_b64 s[34:35], -1, 0
	s_lshl_b64 s[0:1], s[0:1], 16
	s_and_b64 s[34:35], s[34:35], s[14:15]
	s_sub_u32 s14, s22, s0
	s_subb_u32 s15, s23, s1
	s_and_b32 s20, s22, 3
	s_or_b64 s[0:1], s[18:19], s[20:21]
	s_cmp_eq_u64 s[0:1], 0
	s_cselect_b64 s[0:1], -1, 0
	s_and_b64 s[18:19], s[34:35], s[0:1]
	s_mov_b64 s[0:1], -1
	s_and_b64 vcc, exec, s[18:19]
	s_cbranch_vccnz .LBB49_29
; %bb.1:
	v_cmp_lt_i64_e64 s[0:1], s[14:15], 1
	s_and_b64 vcc, exec, s[0:1]
	s_cbranch_vccnz .LBB49_28
; %bb.2:
	s_load_dword s0, s[4:5], 0xc04
	v_mov_b32_e32 v2, 0x10000
	v_mov_b32_e32 v3, 0
	v_cmp_lt_u64_e32 vcc, s[14:15], v[2:3]
	v_lshlrev_b32_e32 v30, 3, v0
	s_waitcnt lgkmcnt(0)
	s_and_b32 s22, s0, 0xffff
	s_and_b64 s[0:1], vcc, exec
	v_mov_b32_e32 v21, s11
	v_add_co_u32_e32 v2, vcc, s10, v30
	v_addc_co_u32_e32 v1, vcc, 0, v21, vcc
	v_mov_b32_e32 v31, 0
	v_mov_b32_e32 v23, s9
	v_add_co_u32_e32 v4, vcc, s8, v30
	v_addc_co_u32_e32 v3, vcc, 0, v23, vcc
	v_mad_u64_u32 v[12:13], s[20:21], s22, 24, v[30:31]
	v_add_co_u32_e32 v6, vcc, s10, v12
	v_addc_co_u32_e32 v5, vcc, v21, v13, vcc
	v_add_co_u32_e32 v8, vcc, s8, v12
	v_addc_co_u32_e32 v7, vcc, v23, v13, vcc
	v_mov_b32_e32 v27, s7
	v_add_co_u32_e32 v10, vcc, s6, v12
	v_addc_co_u32_e32 v9, vcc, v27, v13, vcc
	v_mov_b32_e32 v34, s3
	v_add_co_u32_e32 v12, vcc, s2, v12
	s_mul_i32 s36, s22, 3
	v_addc_co_u32_e32 v11, vcc, v34, v13, vcc
	s_cselect_b32 s19, s15, 0
	s_cselect_b32 s18, s14, 0x10000
	v_add_co_u32_e32 v33, vcc, s36, v0
	s_lshl_b32 s3, s22, 4
	v_addc_co_u32_e64 v58, s[20:21], 0, 0, vcc
	v_add_co_u32_e32 v19, vcc, s3, v30
	v_addc_co_u32_e64 v22, s[20:21], 0, 0, vcc
	v_add_co_u32_e32 v14, vcc, s10, v19
	v_addc_co_u32_e32 v13, vcc, v21, v22, vcc
	v_add_co_u32_e32 v16, vcc, s8, v19
	v_addc_co_u32_e32 v15, vcc, v23, v22, vcc
	;; [unrolled: 2-line block ×3, first 2 shown]
	v_add_co_u32_e32 v20, vcc, s2, v19
	s_lshl_b32 s23, s22, 1
	v_addc_co_u32_e32 v19, vcc, v34, v22, vcc
	v_add_co_u32_e32 v59, vcc, s23, v0
	v_addc_co_u32_e64 v60, s[20:21], 0, 0, vcc
	v_add_co_u32_e32 v61, vcc, s22, v0
	v_lshlrev_b32_e32 v31, 3, v61
	v_addc_co_u32_e64 v62, s[20:21], 0, 0, vcc
	v_add_co_u32_e32 v22, vcc, s10, v31
	v_addc_co_u32_e32 v21, vcc, 0, v21, vcc
	v_add_co_u32_e32 v24, vcc, s8, v31
	v_addc_co_u32_e32 v23, vcc, 0, v23, vcc
	;; [unrolled: 2-line block ×5, first 2 shown]
	v_add_co_u32_e32 v32, vcc, s2, v31
	s_mov_b32 s33, 0
	v_cmp_eq_f64_e64 s[0:1], s[12:13], 1.0
	s_lshl_b32 s34, s22, 2
	s_lshl_b32 s35, s22, 5
	s_mov_b64 s[20:21], 0
	v_addc_co_u32_e32 v31, vcc, 0, v34, vcc
	s_branch .LBB49_4
.LBB49_3:                               ;   in Loop: Header=BB49_4 Depth=1
	s_or_b64 exec, exec, s[2:3]
	s_add_u32 s20, s20, s34
	s_addc_u32 s21, s21, 0
	s_waitcnt vmcnt(1)
	v_pk_mov_b32 v[34:35], s[14:15], s[14:15] op_sel:[0,1]
	v_cmp_lt_i64_e32 vcc, s[20:21], v[34:35]
	v_mov_b32_e32 v34, 0x10000
	v_mov_b32_e32 v35, 0
	v_cmp_lt_u64_e64 s[2:3], s[20:21], v[34:35]
	s_and_b64 s[2:3], vcc, s[2:3]
	v_mov_b32_e32 v34, s33
	v_add_co_u32_e32 v2, vcc, s35, v2
	v_addc_co_u32_e32 v1, vcc, v1, v34, vcc
	v_add_co_u32_e32 v4, vcc, s35, v4
	v_addc_co_u32_e32 v3, vcc, v3, v34, vcc
	;; [unrolled: 2-line block ×16, first 2 shown]
	s_and_b64 vcc, exec, s[2:3]
	s_cbranch_vccz .LBB49_28
.LBB49_4:                               ; =>This Inner Loop Header: Depth=1
	v_mov_b32_e32 v35, s21
	v_add_co_u32_e32 v34, vcc, s20, v0
	v_addc_co_u32_e32 v35, vcc, 0, v35, vcc
	s_waitcnt vmcnt(0)
	v_pk_mov_b32 v[36:37], 0, 0
	v_cmp_gt_u64_e32 vcc, s[18:19], v[34:35]
	v_pk_mov_b32 v[34:35], v[36:37], v[36:37] op_sel:[0,1]
	v_pk_mov_b32 v[38:39], v[36:37], v[36:37] op_sel:[0,1]
	s_and_saveexec_b64 s[6:7], vcc
	s_cbranch_execz .LBB49_6
; %bb.5:                                ;   in Loop: Header=BB49_4 Depth=1
	v_mov_b32_e32 v34, s17
	v_add_co_u32_e64 v40, s[2:3], s16, v2
	v_addc_co_u32_e64 v41, s[2:3], v1, v34, s[2:3]
	v_add_co_u32_e64 v42, s[2:3], s16, v4
	v_addc_co_u32_e64 v43, s[2:3], v3, v34, s[2:3]
	global_load_dwordx2 v[34:35], v[40:41], off
	global_load_dwordx2 v[38:39], v[42:43], off
.LBB49_6:                               ;   in Loop: Header=BB49_4 Depth=1
	s_or_b64 exec, exec, s[6:7]
	s_and_saveexec_b64 s[6:7], vcc
	s_cbranch_execz .LBB49_8
; %bb.7:                                ;   in Loop: Header=BB49_4 Depth=1
	v_mov_b32_e32 v37, s17
	v_add_co_u32_e64 v36, s[2:3], s16, v26
	v_addc_co_u32_e64 v37, s[2:3], v25, v37, s[2:3]
	global_load_dwordx2 v[36:37], v[36:37], off
.LBB49_8:                               ;   in Loop: Header=BB49_4 Depth=1
	s_or_b64 exec, exec, s[6:7]
	v_mov_b32_e32 v41, s21
	v_add_co_u32_e64 v40, s[2:3], s20, v61
	v_addc_co_u32_e64 v41, s[2:3], v62, v41, s[2:3]
	v_pk_mov_b32 v[42:43], 0, 0
	v_cmp_gt_u64_e64 s[2:3], s[18:19], v[40:41]
	v_pk_mov_b32 v[40:41], v[42:43], v[42:43] op_sel:[0,1]
	v_pk_mov_b32 v[44:45], v[42:43], v[42:43] op_sel:[0,1]
	s_and_saveexec_b64 s[8:9], s[2:3]
	s_cbranch_execz .LBB49_10
; %bb.9:                                ;   in Loop: Header=BB49_4 Depth=1
	v_mov_b32_e32 v40, s17
	v_add_co_u32_e64 v46, s[6:7], s16, v22
	v_addc_co_u32_e64 v47, s[6:7], v21, v40, s[6:7]
	v_add_co_u32_e64 v48, s[6:7], s16, v24
	v_addc_co_u32_e64 v49, s[6:7], v23, v40, s[6:7]
	global_load_dwordx2 v[40:41], v[46:47], off
	global_load_dwordx2 v[44:45], v[48:49], off
.LBB49_10:                              ;   in Loop: Header=BB49_4 Depth=1
	s_or_b64 exec, exec, s[8:9]
	s_and_saveexec_b64 s[8:9], s[2:3]
	s_cbranch_execz .LBB49_12
; %bb.11:                               ;   in Loop: Header=BB49_4 Depth=1
	v_mov_b32_e32 v43, s17
	v_add_co_u32_e64 v42, s[6:7], s16, v28
	v_addc_co_u32_e64 v43, s[6:7], v27, v43, s[6:7]
	global_load_dwordx2 v[42:43], v[42:43], off
.LBB49_12:                              ;   in Loop: Header=BB49_4 Depth=1
	s_or_b64 exec, exec, s[8:9]
	v_mov_b32_e32 v47, s21
	v_add_co_u32_e64 v46, s[6:7], s20, v59
	v_addc_co_u32_e64 v47, s[6:7], v60, v47, s[6:7]
	v_pk_mov_b32 v[48:49], 0, 0
	v_cmp_gt_u64_e64 s[6:7], s[18:19], v[46:47]
	v_pk_mov_b32 v[46:47], v[48:49], v[48:49] op_sel:[0,1]
	v_pk_mov_b32 v[50:51], v[48:49], v[48:49] op_sel:[0,1]
	s_and_saveexec_b64 s[10:11], s[6:7]
	s_cbranch_execz .LBB49_14
; %bb.13:                               ;   in Loop: Header=BB49_4 Depth=1
	v_mov_b32_e32 v46, s17
	v_add_co_u32_e64 v52, s[8:9], s16, v14
	v_addc_co_u32_e64 v53, s[8:9], v13, v46, s[8:9]
	v_add_co_u32_e64 v54, s[8:9], s16, v16
	v_addc_co_u32_e64 v55, s[8:9], v15, v46, s[8:9]
	global_load_dwordx2 v[46:47], v[52:53], off
	global_load_dwordx2 v[50:51], v[54:55], off
.LBB49_14:                              ;   in Loop: Header=BB49_4 Depth=1
	s_or_b64 exec, exec, s[10:11]
	s_and_saveexec_b64 s[10:11], s[6:7]
	s_cbranch_execz .LBB49_16
; %bb.15:                               ;   in Loop: Header=BB49_4 Depth=1
	v_mov_b32_e32 v49, s17
	v_add_co_u32_e64 v48, s[8:9], s16, v18
	v_addc_co_u32_e64 v49, s[8:9], v17, v49, s[8:9]
	global_load_dwordx2 v[48:49], v[48:49], off
.LBB49_16:                              ;   in Loop: Header=BB49_4 Depth=1
	s_or_b64 exec, exec, s[10:11]
	v_mov_b32_e32 v53, s21
	v_add_co_u32_e64 v52, s[8:9], s20, v33
	v_addc_co_u32_e64 v53, s[8:9], v58, v53, s[8:9]
	v_pk_mov_b32 v[54:55], 0, 0
	v_cmp_gt_u64_e64 s[8:9], s[18:19], v[52:53]
	v_pk_mov_b32 v[52:53], v[54:55], v[54:55] op_sel:[0,1]
	v_pk_mov_b32 v[56:57], v[54:55], v[54:55] op_sel:[0,1]
	s_and_saveexec_b64 s[22:23], s[8:9]
	s_cbranch_execnz .LBB49_22
; %bb.17:                               ;   in Loop: Header=BB49_4 Depth=1
	s_or_b64 exec, exec, s[22:23]
	s_and_saveexec_b64 s[22:23], s[8:9]
	s_cbranch_execnz .LBB49_23
.LBB49_18:                              ;   in Loop: Header=BB49_4 Depth=1
	s_or_b64 exec, exec, s[22:23]
	s_and_saveexec_b64 s[10:11], vcc
	s_cbranch_execnz .LBB49_24
.LBB49_19:                              ;   in Loop: Header=BB49_4 Depth=1
	s_or_b64 exec, exec, s[10:11]
	s_and_saveexec_b64 s[10:11], s[2:3]
	s_cbranch_execnz .LBB49_25
.LBB49_20:                              ;   in Loop: Header=BB49_4 Depth=1
	s_or_b64 exec, exec, s[10:11]
	s_and_saveexec_b64 s[2:3], s[6:7]
	s_cbranch_execnz .LBB49_26
.LBB49_21:                              ;   in Loop: Header=BB49_4 Depth=1
	s_or_b64 exec, exec, s[2:3]
	s_and_saveexec_b64 s[2:3], s[8:9]
	s_cbranch_execz .LBB49_3
	s_branch .LBB49_27
.LBB49_22:                              ;   in Loop: Header=BB49_4 Depth=1
	v_mov_b32_e32 v52, s17
	v_add_co_u32_e64 v64, s[10:11], s16, v6
	v_addc_co_u32_e64 v65, s[10:11], v5, v52, s[10:11]
	v_add_co_u32_e64 v66, s[10:11], s16, v8
	v_addc_co_u32_e64 v67, s[10:11], v7, v52, s[10:11]
	global_load_dwordx2 v[52:53], v[64:65], off
	global_load_dwordx2 v[56:57], v[66:67], off
	s_or_b64 exec, exec, s[22:23]
	s_and_saveexec_b64 s[22:23], s[8:9]
	s_cbranch_execz .LBB49_18
.LBB49_23:                              ;   in Loop: Header=BB49_4 Depth=1
	v_mov_b32_e32 v55, s17
	v_add_co_u32_e64 v54, s[10:11], s16, v10
	v_addc_co_u32_e64 v55, s[10:11], v9, v55, s[10:11]
	global_load_dwordx2 v[54:55], v[54:55], off
	s_or_b64 exec, exec, s[22:23]
	s_and_saveexec_b64 s[10:11], vcc
	s_cbranch_execz .LBB49_19
.LBB49_24:                              ;   in Loop: Header=BB49_4 Depth=1
	s_waitcnt vmcnt(0)
	v_div_scale_f64 v[64:65], s[22:23], v[36:37], v[36:37], v[38:39]
	v_rcp_f64_e32 v[66:67], v[64:65]
	v_mov_b32_e32 v63, s17
	v_add_co_u32_e32 v68, vcc, s16, v30
	v_fma_f64 v[70:71], -v[64:65], v[66:67], 1.0
	v_fmac_f64_e32 v[66:67], v[66:67], v[70:71]
	v_addc_co_u32_e32 v69, vcc, v29, v63, vcc
	v_fma_f64 v[70:71], -v[64:65], v[66:67], 1.0
	v_fmac_f64_e32 v[66:67], v[66:67], v[70:71]
	v_div_scale_f64 v[70:71], vcc, v[38:39], v[36:37], v[38:39]
	v_mul_f64 v[72:73], v[70:71], v[66:67]
	v_fma_f64 v[64:65], -v[64:65], v[72:73], v[70:71]
	s_nop 1
	v_div_fmas_f64 v[64:65], v[64:65], v[66:67], v[72:73]
	v_div_fixup_f64 v[36:37], v[64:65], v[36:37], v[38:39]
	v_add_f64 v[38:39], v[34:35], v[36:37]
	v_fmac_f64_e32 v[34:35], s[12:13], v[36:37]
	v_cndmask_b32_e64 v35, v35, v39, s[0:1]
	v_cndmask_b32_e64 v34, v34, v38, s[0:1]
	global_store_dwordx2 v[68:69], v[34:35], off
	s_or_b64 exec, exec, s[10:11]
	s_and_saveexec_b64 s[10:11], s[2:3]
	s_cbranch_execz .LBB49_20
.LBB49_25:                              ;   in Loop: Header=BB49_4 Depth=1
	s_waitcnt vmcnt(0)
	v_div_scale_f64 v[34:35], s[2:3], v[42:43], v[42:43], v[44:45]
	v_rcp_f64_e32 v[36:37], v[34:35]
	v_div_scale_f64 v[38:39], vcc, v[44:45], v[42:43], v[44:45]
	v_fma_f64 v[64:65], -v[34:35], v[36:37], 1.0
	v_fmac_f64_e32 v[36:37], v[36:37], v[64:65]
	v_fma_f64 v[64:65], -v[34:35], v[36:37], 1.0
	v_fmac_f64_e32 v[36:37], v[36:37], v[64:65]
	v_mul_f64 v[64:65], v[38:39], v[36:37]
	v_fma_f64 v[34:35], -v[34:35], v[64:65], v[38:39]
	v_div_fmas_f64 v[34:35], v[34:35], v[36:37], v[64:65]
	v_div_fixup_f64 v[34:35], v[34:35], v[42:43], v[44:45]
	v_add_f64 v[36:37], v[40:41], v[34:35]
	v_fmac_f64_e32 v[40:41], s[12:13], v[34:35]
	v_cndmask_b32_e64 v35, v41, v37, s[0:1]
	v_cndmask_b32_e64 v34, v40, v36, s[0:1]
	v_mov_b32_e32 v37, s17
	v_add_co_u32_e32 v36, vcc, s16, v32
	v_addc_co_u32_e32 v37, vcc, v31, v37, vcc
	global_store_dwordx2 v[36:37], v[34:35], off
	s_or_b64 exec, exec, s[10:11]
	s_and_saveexec_b64 s[2:3], s[6:7]
	s_cbranch_execz .LBB49_21
.LBB49_26:                              ;   in Loop: Header=BB49_4 Depth=1
	s_waitcnt vmcnt(0)
	v_div_scale_f64 v[34:35], s[6:7], v[48:49], v[48:49], v[50:51]
	v_rcp_f64_e32 v[36:37], v[34:35]
	v_div_scale_f64 v[38:39], vcc, v[50:51], v[48:49], v[50:51]
	v_fma_f64 v[40:41], -v[34:35], v[36:37], 1.0
	v_fmac_f64_e32 v[36:37], v[36:37], v[40:41]
	v_fma_f64 v[40:41], -v[34:35], v[36:37], 1.0
	v_fmac_f64_e32 v[36:37], v[36:37], v[40:41]
	v_mul_f64 v[40:41], v[38:39], v[36:37]
	v_fma_f64 v[34:35], -v[34:35], v[40:41], v[38:39]
	v_div_fmas_f64 v[34:35], v[34:35], v[36:37], v[40:41]
	v_div_fixup_f64 v[34:35], v[34:35], v[48:49], v[50:51]
	v_add_f64 v[36:37], v[46:47], v[34:35]
	v_fmac_f64_e32 v[46:47], s[12:13], v[34:35]
	v_cndmask_b32_e64 v35, v47, v37, s[0:1]
	v_cndmask_b32_e64 v34, v46, v36, s[0:1]
	v_mov_b32_e32 v37, s17
	v_add_co_u32_e32 v36, vcc, s16, v20
	v_addc_co_u32_e32 v37, vcc, v19, v37, vcc
	global_store_dwordx2 v[36:37], v[34:35], off
	s_or_b64 exec, exec, s[2:3]
	s_and_saveexec_b64 s[2:3], s[8:9]
	s_cbranch_execz .LBB49_3
.LBB49_27:                              ;   in Loop: Header=BB49_4 Depth=1
	s_waitcnt vmcnt(0)
	v_div_scale_f64 v[34:35], s[6:7], v[54:55], v[54:55], v[56:57]
	v_rcp_f64_e32 v[36:37], v[34:35]
	v_div_scale_f64 v[38:39], vcc, v[56:57], v[54:55], v[56:57]
	v_fma_f64 v[40:41], -v[34:35], v[36:37], 1.0
	v_fmac_f64_e32 v[36:37], v[36:37], v[40:41]
	v_fma_f64 v[40:41], -v[34:35], v[36:37], 1.0
	v_fmac_f64_e32 v[36:37], v[36:37], v[40:41]
	v_mul_f64 v[40:41], v[38:39], v[36:37]
	v_fma_f64 v[34:35], -v[34:35], v[40:41], v[38:39]
	v_div_fmas_f64 v[34:35], v[34:35], v[36:37], v[40:41]
	v_div_fixup_f64 v[34:35], v[34:35], v[54:55], v[56:57]
	v_add_f64 v[36:37], v[52:53], v[34:35]
	v_fmac_f64_e32 v[52:53], s[12:13], v[34:35]
	v_cndmask_b32_e64 v35, v53, v37, s[0:1]
	v_cndmask_b32_e64 v34, v52, v36, s[0:1]
	v_mov_b32_e32 v37, s17
	v_add_co_u32_e32 v36, vcc, s16, v12
	v_addc_co_u32_e32 v37, vcc, v11, v37, vcc
	global_store_dwordx2 v[36:37], v[34:35], off
	s_branch .LBB49_3
.LBB49_28:
	s_mov_b64 s[0:1], 0
.LBB49_29:
	s_andn2_b64 vcc, exec, s[0:1]
	s_cbranch_vccnz .LBB49_33
; %bb.30:
	v_mov_b32_e32 v3, 0
	v_lshlrev_b32_e32 v2, 2, v0
	s_mov_b32 s2, 0
	v_cmp_gt_i64_e32 vcc, s[14:15], v[2:3]
	s_and_saveexec_b64 s[0:1], vcc
	s_cbranch_execz .LBB49_33
; %bb.31:
	s_load_dword s3, s[4:5], 0xc04
	v_cmp_eq_f64_e64 s[0:1], s[12:13], 1.0
	v_lshlrev_b32_e32 v4, 5, v0
	s_mov_b64 s[16:17], 0
	s_mov_b64 s[18:19], 0xffff
	s_waitcnt lgkmcnt(0)
	s_and_b32 s3, s3, 0xffff
	v_add_lshl_u32 v2, v0, s3, 2
	s_lshl_b32 s20, s3, 2
	s_lshl_b32 s21, s3, 5
	v_mov_b32_e32 v0, s2
.LBB49_32:                              ; =>This Inner Loop Header: Depth=1
	v_cmp_le_i64_e64 s[6:7], s[14:15], v[2:3]
	v_cmp_lt_u64_e64 s[8:9], s[18:19], v[2:3]
	v_add_co_u32_e64 v2, s[10:11], s20, v2
	v_mov_b32_e32 v5, s27
	v_add_co_u32_e32 v30, vcc, s26, v4
	v_mov_b32_e32 v6, s29
	v_add_co_u32_e64 v32, s[2:3], s28, v4
	v_addc_co_u32_e64 v3, s[10:11], v3, v0, s[10:11]
	v_mov_b32_e32 v1, s25
	v_mov_b32_e32 v7, s31
	v_add_co_u32_e64 v34, s[4:5], s30, v4
	s_waitcnt vmcnt(0)
	v_add_co_u32_e64 v36, s[10:11], s24, v4
	v_addc_co_u32_e32 v31, vcc, 0, v5, vcc
	v_addc_co_u32_e64 v33, vcc, 0, v6, s[2:3]
	v_addc_co_u32_e64 v37, s[10:11], 0, v1, s[10:11]
	v_addc_co_u32_e64 v35, vcc, 0, v7, s[4:5]
	global_load_dwordx4 v[6:9], v[32:33], off
	global_load_dwordx4 v[10:13], v[30:31], off
	global_load_dwordx4 v[14:17], v[30:31], off offset:16
	global_load_dwordx4 v[18:21], v[32:33], off offset:16
	global_load_dwordx4 v[22:25], v[36:37], off
	global_load_dwordx4 v[26:29], v[36:37], off offset:16
	s_or_b64 s[2:3], s[6:7], s[8:9]
	s_add_u32 s24, s24, s21
	s_addc_u32 s25, s25, 0
	s_add_u32 s30, s30, s21
	s_addc_u32 s31, s31, 0
	;; [unrolled: 2-line block ×4, first 2 shown]
	s_and_b64 s[2:3], exec, s[2:3]
	s_or_b64 s[16:17], s[2:3], s[16:17]
	s_waitcnt vmcnt(4)
	v_div_scale_f64 v[30:31], s[2:3], v[6:7], v[6:7], v[10:11]
	v_div_scale_f64 v[36:37], s[2:3], v[8:9], v[8:9], v[12:13]
	v_rcp_f64_e32 v[48:49], v[30:31]
	s_waitcnt vmcnt(2)
	v_div_scale_f64 v[40:41], s[4:5], v[18:19], v[18:19], v[14:15]
	v_rcp_f64_e32 v[50:51], v[36:37]
	v_div_scale_f64 v[44:45], s[6:7], v[20:21], v[20:21], v[16:17]
	v_rcp_f64_e32 v[52:53], v[40:41]
	v_rcp_f64_e32 v[54:55], v[44:45]
	v_fma_f64 v[56:57], -v[30:31], v[48:49], 1.0
	v_fma_f64 v[58:59], -v[36:37], v[50:51], 1.0
	v_fmac_f64_e32 v[48:49], v[48:49], v[56:57]
	v_fma_f64 v[60:61], -v[40:41], v[52:53], 1.0
	v_fmac_f64_e32 v[50:51], v[50:51], v[58:59]
	v_fma_f64 v[56:57], -v[30:31], v[48:49], 1.0
	v_div_scale_f64 v[32:33], vcc, v[10:11], v[6:7], v[10:11]
	v_fma_f64 v[62:63], -v[44:45], v[54:55], 1.0
	v_fmac_f64_e32 v[52:53], v[52:53], v[60:61]
	v_fma_f64 v[58:59], -v[36:37], v[50:51], 1.0
	v_fmac_f64_e32 v[48:49], v[48:49], v[56:57]
	v_div_scale_f64 v[38:39], s[2:3], v[12:13], v[8:9], v[12:13]
	v_fmac_f64_e32 v[54:55], v[54:55], v[62:63]
	v_fma_f64 v[60:61], -v[40:41], v[52:53], 1.0
	v_fmac_f64_e32 v[50:51], v[50:51], v[58:59]
	v_mul_f64 v[56:57], v[32:33], v[48:49]
	v_div_scale_f64 v[42:43], s[4:5], v[14:15], v[18:19], v[14:15]
	v_fma_f64 v[62:63], -v[44:45], v[54:55], 1.0
	v_fmac_f64_e32 v[52:53], v[52:53], v[60:61]
	v_mul_f64 v[58:59], v[38:39], v[50:51]
	v_fma_f64 v[30:31], -v[30:31], v[56:57], v[32:33]
	v_div_scale_f64 v[46:47], s[6:7], v[16:17], v[20:21], v[16:17]
	v_fmac_f64_e32 v[54:55], v[54:55], v[62:63]
	v_mul_f64 v[60:61], v[42:43], v[52:53]
	v_fma_f64 v[32:33], -v[36:37], v[58:59], v[38:39]
	v_div_fmas_f64 v[30:31], v[30:31], v[48:49], v[56:57]
	s_mov_b64 vcc, s[2:3]
	v_mul_f64 v[62:63], v[46:47], v[54:55]
	v_fma_f64 v[36:37], -v[40:41], v[60:61], v[42:43]
	v_div_fixup_f64 v[6:7], v[30:31], v[6:7], v[10:11]
	v_div_fmas_f64 v[10:11], v[32:33], v[50:51], v[58:59]
	s_mov_b64 vcc, s[4:5]
	v_fma_f64 v[38:39], -v[44:45], v[62:63], v[46:47]
	v_div_fixup_f64 v[8:9], v[10:11], v[8:9], v[12:13]
	v_div_fmas_f64 v[10:11], v[36:37], v[52:53], v[60:61]
	s_mov_b64 vcc, s[6:7]
	s_waitcnt vmcnt(1)
	v_add_f64 v[12:13], v[24:25], v[8:9]
	v_fmac_f64_e32 v[24:25], s[12:13], v[8:9]
	v_div_fixup_f64 v[10:11], v[10:11], v[18:19], v[14:15]
	v_div_fmas_f64 v[14:15], v[38:39], v[54:55], v[62:63]
	v_cndmask_b32_e64 v9, v25, v13, s[0:1]
	v_cndmask_b32_e64 v8, v24, v12, s[0:1]
	s_waitcnt vmcnt(0)
	v_add_f64 v[12:13], v[26:27], v[10:11]
	v_fmac_f64_e32 v[26:27], s[12:13], v[10:11]
	v_div_fixup_f64 v[14:15], v[14:15], v[20:21], v[16:17]
	v_add_f64 v[30:31], v[22:23], v[6:7]
	v_fmac_f64_e32 v[22:23], s[12:13], v[6:7]
	v_cndmask_b32_e64 v11, v27, v13, s[0:1]
	v_cndmask_b32_e64 v10, v26, v12, s[0:1]
	v_add_f64 v[12:13], v[28:29], v[14:15]
	v_fmac_f64_e32 v[28:29], s[12:13], v[14:15]
	v_cndmask_b32_e64 v7, v23, v31, s[0:1]
	v_cndmask_b32_e64 v6, v22, v30, s[0:1]
	;; [unrolled: 1-line block ×4, first 2 shown]
	global_store_dwordx4 v[34:35], v[6:9], off
	global_store_dwordx4 v[34:35], v[10:13], off offset:16
	s_andn2_b64 exec, exec, s[16:17]
	s_cbranch_execnz .LBB49_32
.LBB49_33:
	s_endpgm
	.section	.rodata,"a",@progbits
	.p2align	6, 0x0
	.amdhsa_kernel _ZN2at6native12_GLOBAL__N_125multi_tensor_apply_kernelINS1_18TensorListMetadataILi4EEENS1_24PointwiseOpScalarFunctorIdLi4ELi3ELi3EEEJSt7dividesIdEdEEEvT_T0_DpT1_
		.amdhsa_group_segment_fixed_size 0
		.amdhsa_private_segment_fixed_size 0
		.amdhsa_kernarg_size 3320
		.amdhsa_user_sgpr_count 6
		.amdhsa_user_sgpr_private_segment_buffer 1
		.amdhsa_user_sgpr_dispatch_ptr 0
		.amdhsa_user_sgpr_queue_ptr 0
		.amdhsa_user_sgpr_kernarg_segment_ptr 1
		.amdhsa_user_sgpr_dispatch_id 0
		.amdhsa_user_sgpr_flat_scratch_init 0
		.amdhsa_user_sgpr_kernarg_preload_length 0
		.amdhsa_user_sgpr_kernarg_preload_offset 0
		.amdhsa_user_sgpr_private_segment_size 0
		.amdhsa_uses_dynamic_stack 0
		.amdhsa_system_sgpr_private_segment_wavefront_offset 0
		.amdhsa_system_sgpr_workgroup_id_x 1
		.amdhsa_system_sgpr_workgroup_id_y 0
		.amdhsa_system_sgpr_workgroup_id_z 0
		.amdhsa_system_sgpr_workgroup_info 0
		.amdhsa_system_vgpr_workitem_id 0
		.amdhsa_next_free_vgpr 74
		.amdhsa_next_free_sgpr 37
		.amdhsa_accum_offset 76
		.amdhsa_reserve_vcc 1
		.amdhsa_reserve_flat_scratch 0
		.amdhsa_float_round_mode_32 0
		.amdhsa_float_round_mode_16_64 0
		.amdhsa_float_denorm_mode_32 3
		.amdhsa_float_denorm_mode_16_64 3
		.amdhsa_dx10_clamp 1
		.amdhsa_ieee_mode 1
		.amdhsa_fp16_overflow 0
		.amdhsa_tg_split 0
		.amdhsa_exception_fp_ieee_invalid_op 0
		.amdhsa_exception_fp_denorm_src 0
		.amdhsa_exception_fp_ieee_div_zero 0
		.amdhsa_exception_fp_ieee_overflow 0
		.amdhsa_exception_fp_ieee_underflow 0
		.amdhsa_exception_fp_ieee_inexact 0
		.amdhsa_exception_int_div_zero 0
	.end_amdhsa_kernel
	.section	.text._ZN2at6native12_GLOBAL__N_125multi_tensor_apply_kernelINS1_18TensorListMetadataILi4EEENS1_24PointwiseOpScalarFunctorIdLi4ELi3ELi3EEEJSt7dividesIdEdEEEvT_T0_DpT1_,"axG",@progbits,_ZN2at6native12_GLOBAL__N_125multi_tensor_apply_kernelINS1_18TensorListMetadataILi4EEENS1_24PointwiseOpScalarFunctorIdLi4ELi3ELi3EEEJSt7dividesIdEdEEEvT_T0_DpT1_,comdat
.Lfunc_end49:
	.size	_ZN2at6native12_GLOBAL__N_125multi_tensor_apply_kernelINS1_18TensorListMetadataILi4EEENS1_24PointwiseOpScalarFunctorIdLi4ELi3ELi3EEEJSt7dividesIdEdEEEvT_T0_DpT1_, .Lfunc_end49-_ZN2at6native12_GLOBAL__N_125multi_tensor_apply_kernelINS1_18TensorListMetadataILi4EEENS1_24PointwiseOpScalarFunctorIdLi4ELi3ELi3EEEJSt7dividesIdEdEEEvT_T0_DpT1_
                                        ; -- End function
	.section	.AMDGPU.csdata,"",@progbits
; Kernel info:
; codeLenInByte = 2772
; NumSgprs: 41
; NumVgprs: 74
; NumAgprs: 0
; TotalNumVgprs: 74
; ScratchSize: 0
; MemoryBound: 0
; FloatMode: 240
; IeeeMode: 1
; LDSByteSize: 0 bytes/workgroup (compile time only)
; SGPRBlocks: 5
; VGPRBlocks: 9
; NumSGPRsForWavesPerEU: 41
; NumVGPRsForWavesPerEU: 74
; AccumOffset: 76
; Occupancy: 6
; WaveLimiterHint : 0
; COMPUTE_PGM_RSRC2:SCRATCH_EN: 0
; COMPUTE_PGM_RSRC2:USER_SGPR: 6
; COMPUTE_PGM_RSRC2:TRAP_HANDLER: 0
; COMPUTE_PGM_RSRC2:TGID_X_EN: 1
; COMPUTE_PGM_RSRC2:TGID_Y_EN: 0
; COMPUTE_PGM_RSRC2:TGID_Z_EN: 0
; COMPUTE_PGM_RSRC2:TIDIG_COMP_CNT: 0
; COMPUTE_PGM_RSRC3_GFX90A:ACCUM_OFFSET: 18
; COMPUTE_PGM_RSRC3_GFX90A:TG_SPLIT: 0
	.section	.text._ZN2at6native12_GLOBAL__N_125multi_tensor_apply_kernelINS1_18TensorListMetadataILi4EEENS1_24PointwiseOpScalarFunctorIfLi4ELi3ELi3EEEJSt7dividesIfEfEEEvT_T0_DpT1_,"axG",@progbits,_ZN2at6native12_GLOBAL__N_125multi_tensor_apply_kernelINS1_18TensorListMetadataILi4EEENS1_24PointwiseOpScalarFunctorIfLi4ELi3ELi3EEEJSt7dividesIfEfEEEvT_T0_DpT1_,comdat
	.globl	_ZN2at6native12_GLOBAL__N_125multi_tensor_apply_kernelINS1_18TensorListMetadataILi4EEENS1_24PointwiseOpScalarFunctorIfLi4ELi3ELi3EEEJSt7dividesIfEfEEEvT_T0_DpT1_ ; -- Begin function _ZN2at6native12_GLOBAL__N_125multi_tensor_apply_kernelINS1_18TensorListMetadataILi4EEENS1_24PointwiseOpScalarFunctorIfLi4ELi3ELi3EEEJSt7dividesIfEfEEEvT_T0_DpT1_
	.p2align	8
	.type	_ZN2at6native12_GLOBAL__N_125multi_tensor_apply_kernelINS1_18TensorListMetadataILi4EEENS1_24PointwiseOpScalarFunctorIfLi4ELi3ELi3EEEJSt7dividesIfEfEEEvT_T0_DpT1_,@function
_ZN2at6native12_GLOBAL__N_125multi_tensor_apply_kernelINS1_18TensorListMetadataILi4EEENS1_24PointwiseOpScalarFunctorIfLi4ELi3ELi3EEEJSt7dividesIfEfEEEvT_T0_DpT1_: ; @_ZN2at6native12_GLOBAL__N_125multi_tensor_apply_kernelINS1_18TensorListMetadataILi4EEENS1_24PointwiseOpScalarFunctorIfLi4ELi3ELi3EEEJSt7dividesIfEfEEEvT_T0_DpT1_
; %bb.0:
	v_mov_b32_e32 v1, s6
	global_load_ubyte v1, v1, s[4:5] offset:1440
	s_add_u32 s0, s4, s6
	s_mul_hi_u32 s1, s6, 3
	s_mul_i32 s6, s6, 3
	s_addc_u32 s2, s5, 0
	s_add_u32 s0, s0, s6
	s_addc_u32 s1, s2, s1
	s_load_dword s0, s[0:1], 0x6e0
	s_mov_b32 s3, 0
	s_mov_b32 s7, s3
	;; [unrolled: 1-line block ×3, first 2 shown]
	s_waitcnt lgkmcnt(0)
	s_ashr_i32 s1, s0, 31
	s_lshl_b64 s[22:23], s[0:1], 18
	s_waitcnt vmcnt(0)
	v_readfirstlane_b32 s2, v1
	s_lshl_b32 s2, s2, 3
	s_load_dwordx2 s[24:25], s[4:5], s2 offset:0x0
	s_load_dwordx2 s[18:19], s[4:5], s2 offset:0x120
	s_load_dword s12, s[4:5], 0xbec
	s_load_dwordx2 s[10:11], s[4:5], s2 offset:0x480
	s_load_dwordx2 s[20:21], s[4:5], s2 offset:0x240
	;; [unrolled: 1-line block ×3, first 2 shown]
	s_waitcnt lgkmcnt(0)
	s_add_u32 s6, s18, s22
	s_and_b32 s2, s24, 15
	s_and_b32 s6, s6, 15
	s_cmp_eq_u64 s[6:7], 0
	s_cselect_b64 s[6:7], -1, 0
	s_add_u32 s8, s20, s22
	s_or_b32 s8, s14, s8
	s_and_b32 s8, s8, 15
	s_cmp_eq_u32 s8, 0
	s_cselect_b64 s[16:17], -1, 0
	s_lshl_b64 s[0:1], s[0:1], 16
	s_and_b64 s[6:7], s[16:17], s[6:7]
	s_sub_u32 s16, s10, s0
	s_subb_u32 s17, s11, s1
	s_and_b32 s8, s10, 3
	s_or_b64 s[0:1], s[2:3], s[8:9]
	s_cmp_eq_u64 s[0:1], 0
	s_cselect_b64 s[0:1], -1, 0
	s_and_b64 s[2:3], s[6:7], s[0:1]
	s_mov_b64 s[0:1], -1
	s_and_b64 vcc, exec, s[2:3]
	s_cbranch_vccnz .LBB50_29
; %bb.1:
	v_cmp_lt_i64_e64 s[0:1], s[16:17], 1
	s_and_b64 vcc, exec, s[0:1]
	s_cbranch_vccnz .LBB50_28
; %bb.2:
	s_load_dword s0, s[4:5], 0xbfc
	v_mov_b32_e32 v19, 0
	v_lshlrev_b32_e32 v18, 2, v0
	v_mov_b32_e32 v21, s25
	v_mov_b32_e32 v23, s19
	s_waitcnt lgkmcnt(0)
	s_and_b32 s8, s0, 0xffff
	v_mad_u64_u32 v[16:17], s[6:7], s8, 12, v[18:19]
	v_add_co_u32_e64 v10, s[6:7], s24, v16
	v_addc_co_u32_e64 v5, s[6:7], v21, v17, s[6:7]
	v_add_co_u32_e64 v12, s[6:7], s18, v16
	v_addc_co_u32_e64 v7, s[6:7], v23, v17, s[6:7]
	v_mov_b32_e32 v27, s21
	v_add_co_u32_e64 v14, s[6:7], s20, v16
	v_addc_co_u32_e64 v9, s[6:7], v27, v17, s[6:7]
	v_mov_b32_e32 v2, 0x10000
	v_mov_b32_e32 v31, s15
	v_add_co_u32_e64 v16, s[6:7], s14, v16
	v_mov_b32_e32 v3, 0
	s_mul_i32 s10, s8, 3
	v_addc_co_u32_e64 v11, s[6:7], v31, v17, s[6:7]
	v_cmp_lt_u64_e32 vcc, s[16:17], v[2:3]
	v_add_co_u32_e64 v33, s[6:7], s10, v0
	s_and_b64 s[0:1], vcc, exec
	v_add_co_u32_e32 v2, vcc, s24, v18
	v_addc_co_u32_e64 v34, s[6:7], 0, 0, s[6:7]
	s_cselect_b32 s27, s17, 0
	s_cselect_b32 s26, s16, 0x10000
	v_addc_co_u32_e32 v1, vcc, 0, v21, vcc
	s_lshl_b32 s6, s8, 3
	v_add_co_u32_e32 v4, vcc, s18, v18
	v_add_co_u32_e64 v19, s[6:7], s6, v18
	v_addc_co_u32_e32 v3, vcc, 0, v23, vcc
	v_addc_co_u32_e64 v25, s[6:7], 0, 0, s[6:7]
	v_add_co_u32_e32 v6, vcc, s20, v18
	v_add_co_u32_e64 v8, s[2:3], s14, v18
	v_add_co_u32_e64 v18, s[6:7], s24, v19
	v_addc_co_u32_e64 v13, s[6:7], v21, v25, s[6:7]
	v_add_co_u32_e64 v20, s[6:7], s18, v19
	v_addc_co_u32_e64 v15, s[6:7], v23, v25, s[6:7]
	;; [unrolled: 2-line block ×3, first 2 shown]
	v_add_co_u32_e64 v24, s[6:7], s14, v19
	s_lshl_b32 s9, s8, 1
	v_addc_co_u32_e64 v19, s[6:7], v31, v25, s[6:7]
	v_add_co_u32_e64 v35, s[6:7], s9, v0
	v_addc_co_u32_e64 v36, s[6:7], 0, 0, s[6:7]
	v_add_co_u32_e64 v37, s[6:7], s8, v0
	v_addc_co_u32_e64 v38, s[6:7], 0, 0, s[6:7]
	v_lshlrev_b32_e32 v29, 2, v37
	v_addc_co_u32_e32 v25, vcc, 0, v27, vcc
	v_add_co_u32_e64 v26, s[6:7], s24, v29
	v_add_co_u32_e32 v30, vcc, s20, v29
	v_addc_co_u32_e64 v21, s[6:7], 0, v21, s[6:7]
	v_addc_co_u32_e32 v27, vcc, 0, v27, vcc
	v_add_co_u32_e64 v28, s[6:7], s18, v29
	v_add_co_u32_e32 v32, vcc, s14, v29
	s_mov_b32 s13, 0
	v_cmp_eq_f32_e64 s[0:1], s12, 1.0
	s_lshl_b32 s33, s8, 2
	s_lshl_b32 s34, s8, 4
	s_mov_b64 s[28:29], 0
	v_addc_co_u32_e64 v23, s[6:7], 0, v23, s[6:7]
	v_addc_co_u32_e64 v29, s[2:3], 0, v31, s[2:3]
	v_addc_co_u32_e32 v31, vcc, 0, v31, vcc
	s_branch .LBB50_4
.LBB50_3:                               ;   in Loop: Header=BB50_4 Depth=1
	s_or_b64 exec, exec, s[2:3]
	s_waitcnt vmcnt(1)
	v_mov_b32_e32 v39, s13
	v_add_co_u32_e64 v2, s[6:7], s34, v2
	v_addc_co_u32_e64 v1, s[6:7], v1, v39, s[6:7]
	v_add_co_u32_e64 v4, s[6:7], s34, v4
	v_addc_co_u32_e64 v3, s[6:7], v3, v39, s[6:7]
	;; [unrolled: 2-line block ×12, first 2 shown]
	v_add_co_u32_e64 v26, s[6:7], s34, v26
	s_add_u32 s28, s28, s33
	v_addc_co_u32_e64 v21, s[6:7], v21, v39, s[6:7]
	s_addc_u32 s29, s29, 0
	s_waitcnt vmcnt(0)
	v_pk_mov_b32 v[40:41], s[16:17], s[16:17] op_sel:[0,1]
	v_add_co_u32_e64 v28, s[6:7], s34, v28
	v_cmp_lt_i64_e32 vcc, s[28:29], v[40:41]
	v_mov_b32_e32 v40, 0x10000
	v_addc_co_u32_e64 v23, s[6:7], v23, v39, s[6:7]
	v_mov_b32_e32 v41, 0
	v_add_co_u32_e64 v30, s[6:7], s34, v30
	v_cmp_lt_u64_e64 s[2:3], s[28:29], v[40:41]
	v_addc_co_u32_e64 v27, s[6:7], v27, v39, s[6:7]
	v_add_co_u32_e64 v32, s[6:7], s34, v32
	s_and_b64 s[2:3], vcc, s[2:3]
	v_addc_co_u32_e64 v31, s[6:7], v31, v39, s[6:7]
	s_and_b64 vcc, exec, s[2:3]
	s_cbranch_vccz .LBB50_28
.LBB50_4:                               ; =>This Inner Loop Header: Depth=1
	v_mov_b32_e32 v39, s29
	v_add_co_u32_e32 v40, vcc, s28, v0
	v_addc_co_u32_e32 v41, vcc, 0, v39, vcc
	v_cmp_gt_u64_e32 vcc, s[26:27], v[40:41]
	v_mov_b32_e32 v40, 0
	v_mov_b32_e32 v41, 0
	s_and_saveexec_b64 s[6:7], vcc
	s_cbranch_execz .LBB50_6
; %bb.5:                                ;   in Loop: Header=BB50_4 Depth=1
	v_mov_b32_e32 v39, s23
	v_add_co_u32_e64 v42, s[2:3], s22, v2
	v_addc_co_u32_e64 v43, s[2:3], v1, v39, s[2:3]
	v_add_co_u32_e64 v44, s[2:3], s22, v4
	v_addc_co_u32_e64 v45, s[2:3], v3, v39, s[2:3]
	global_load_dword v40, v[42:43], off
	global_load_dword v41, v[44:45], off
.LBB50_6:                               ;   in Loop: Header=BB50_4 Depth=1
	s_or_b64 exec, exec, s[6:7]
	v_mov_b32_e32 v39, 0
	v_mov_b32_e32 v43, 0
	s_and_saveexec_b64 s[6:7], vcc
	s_cbranch_execz .LBB50_8
; %bb.7:                                ;   in Loop: Header=BB50_4 Depth=1
	v_mov_b32_e32 v43, s23
	v_add_co_u32_e64 v42, s[2:3], s22, v6
	v_addc_co_u32_e64 v43, s[2:3], v25, v43, s[2:3]
	global_load_dword v43, v[42:43], off
.LBB50_8:                               ;   in Loop: Header=BB50_4 Depth=1
	s_or_b64 exec, exec, s[6:7]
	v_mov_b32_e32 v42, s29
	v_add_co_u32_e64 v44, s[2:3], s28, v37
	v_addc_co_u32_e64 v45, s[2:3], v38, v42, s[2:3]
	v_cmp_gt_u64_e64 s[2:3], s[26:27], v[44:45]
	v_mov_b32_e32 v44, 0
	s_and_saveexec_b64 s[8:9], s[2:3]
	s_cbranch_execz .LBB50_10
; %bb.9:                                ;   in Loop: Header=BB50_4 Depth=1
	v_mov_b32_e32 v39, s23
	v_add_co_u32_e64 v46, s[6:7], s22, v26
	v_addc_co_u32_e64 v47, s[6:7], v21, v39, s[6:7]
	v_add_co_u32_e64 v48, s[6:7], s22, v28
	v_addc_co_u32_e64 v49, s[6:7], v23, v39, s[6:7]
	global_load_dword v39, v[46:47], off
	global_load_dword v44, v[48:49], off
.LBB50_10:                              ;   in Loop: Header=BB50_4 Depth=1
	s_or_b64 exec, exec, s[8:9]
	v_mov_b32_e32 v42, 0
	v_mov_b32_e32 v47, 0
	s_and_saveexec_b64 s[8:9], s[2:3]
	s_cbranch_execz .LBB50_12
; %bb.11:                               ;   in Loop: Header=BB50_4 Depth=1
	v_mov_b32_e32 v45, s23
	v_add_co_u32_e64 v46, s[6:7], s22, v30
	v_addc_co_u32_e64 v47, s[6:7], v27, v45, s[6:7]
	global_load_dword v47, v[46:47], off
.LBB50_12:                              ;   in Loop: Header=BB50_4 Depth=1
	s_or_b64 exec, exec, s[8:9]
	v_mov_b32_e32 v45, s29
	v_add_co_u32_e64 v48, s[6:7], s28, v35
	v_addc_co_u32_e64 v49, s[6:7], v36, v45, s[6:7]
	v_cmp_gt_u64_e64 s[6:7], s[26:27], v[48:49]
	v_mov_b32_e32 v46, 0
	s_and_saveexec_b64 s[10:11], s[6:7]
	s_cbranch_execz .LBB50_14
; %bb.13:                               ;   in Loop: Header=BB50_4 Depth=1
	v_mov_b32_e32 v42, s23
	v_add_co_u32_e64 v48, s[8:9], s22, v18
	v_addc_co_u32_e64 v49, s[8:9], v13, v42, s[8:9]
	v_add_co_u32_e64 v50, s[8:9], s22, v20
	v_addc_co_u32_e64 v51, s[8:9], v15, v42, s[8:9]
	global_load_dword v42, v[48:49], off
	global_load_dword v46, v[50:51], off
.LBB50_14:                              ;   in Loop: Header=BB50_4 Depth=1
	s_or_b64 exec, exec, s[10:11]
	v_mov_b32_e32 v45, 0
	v_mov_b32_e32 v49, 0
	s_and_saveexec_b64 s[10:11], s[6:7]
	s_cbranch_execz .LBB50_16
; %bb.15:                               ;   in Loop: Header=BB50_4 Depth=1
	v_mov_b32_e32 v49, s23
	v_add_co_u32_e64 v48, s[8:9], s22, v22
	v_addc_co_u32_e64 v49, s[8:9], v17, v49, s[8:9]
	global_load_dword v49, v[48:49], off
.LBB50_16:                              ;   in Loop: Header=BB50_4 Depth=1
	s_or_b64 exec, exec, s[10:11]
	v_mov_b32_e32 v48, s29
	v_add_co_u32_e64 v50, s[8:9], s28, v33
	v_addc_co_u32_e64 v51, s[8:9], v34, v48, s[8:9]
	v_cmp_gt_u64_e64 s[8:9], s[26:27], v[50:51]
	v_mov_b32_e32 v48, 0
	s_and_saveexec_b64 s[30:31], s[8:9]
	s_cbranch_execnz .LBB50_22
; %bb.17:                               ;   in Loop: Header=BB50_4 Depth=1
	s_or_b64 exec, exec, s[30:31]
	v_mov_b32_e32 v50, 0
	s_and_saveexec_b64 s[30:31], s[8:9]
	s_cbranch_execnz .LBB50_23
.LBB50_18:                              ;   in Loop: Header=BB50_4 Depth=1
	s_or_b64 exec, exec, s[30:31]
	s_and_saveexec_b64 s[10:11], vcc
	s_cbranch_execnz .LBB50_24
.LBB50_19:                              ;   in Loop: Header=BB50_4 Depth=1
	s_or_b64 exec, exec, s[10:11]
	s_and_saveexec_b64 s[10:11], s[2:3]
	s_cbranch_execnz .LBB50_25
.LBB50_20:                              ;   in Loop: Header=BB50_4 Depth=1
	s_or_b64 exec, exec, s[10:11]
	s_and_saveexec_b64 s[2:3], s[6:7]
	s_cbranch_execnz .LBB50_26
.LBB50_21:                              ;   in Loop: Header=BB50_4 Depth=1
	s_or_b64 exec, exec, s[2:3]
	s_and_saveexec_b64 s[2:3], s[8:9]
	s_cbranch_execz .LBB50_3
	s_branch .LBB50_27
.LBB50_22:                              ;   in Loop: Header=BB50_4 Depth=1
	v_mov_b32_e32 v45, s23
	v_add_co_u32_e64 v50, s[10:11], s22, v10
	v_addc_co_u32_e64 v51, s[10:11], v5, v45, s[10:11]
	v_add_co_u32_e64 v52, s[10:11], s22, v12
	v_addc_co_u32_e64 v53, s[10:11], v7, v45, s[10:11]
	global_load_dword v45, v[50:51], off
	global_load_dword v48, v[52:53], off
	s_or_b64 exec, exec, s[30:31]
	v_mov_b32_e32 v50, 0
	s_and_saveexec_b64 s[30:31], s[8:9]
	s_cbranch_execz .LBB50_18
.LBB50_23:                              ;   in Loop: Header=BB50_4 Depth=1
	v_mov_b32_e32 v51, s23
	v_add_co_u32_e64 v50, s[10:11], s22, v14
	v_addc_co_u32_e64 v51, s[10:11], v9, v51, s[10:11]
	global_load_dword v50, v[50:51], off
	s_or_b64 exec, exec, s[30:31]
	s_and_saveexec_b64 s[10:11], vcc
	s_cbranch_execz .LBB50_19
.LBB50_24:                              ;   in Loop: Header=BB50_4 Depth=1
	s_waitcnt vmcnt(0)
	v_div_scale_f32 v54, s[30:31], v43, v43, v41
	v_rcp_f32_e32 v55, v54
	v_mov_b32_e32 v51, s23
	v_add_co_u32_e32 v52, vcc, s22, v8
	v_addc_co_u32_e32 v53, vcc, v29, v51, vcc
	v_fma_f32 v51, -v54, v55, 1.0
	v_fmac_f32_e32 v55, v51, v55
	v_div_scale_f32 v51, vcc, v41, v43, v41
	v_mul_f32_e32 v56, v51, v55
	v_fma_f32 v57, -v54, v56, v51
	v_fmac_f32_e32 v56, v57, v55
	v_fma_f32 v51, -v54, v56, v51
	v_div_fmas_f32 v51, v51, v55, v56
	v_div_fixup_f32 v41, v51, v43, v41
	v_add_f32_e32 v43, v40, v41
	v_fmac_f32_e32 v40, s12, v41
	v_cndmask_b32_e64 v40, v40, v43, s[0:1]
	global_store_dword v[52:53], v40, off
	s_or_b64 exec, exec, s[10:11]
	s_and_saveexec_b64 s[10:11], s[2:3]
	s_cbranch_execz .LBB50_20
.LBB50_25:                              ;   in Loop: Header=BB50_4 Depth=1
	s_waitcnt vmcnt(0)
	v_div_scale_f32 v40, s[2:3], v47, v47, v44
	v_rcp_f32_e32 v41, v40
	v_div_scale_f32 v43, vcc, v44, v47, v44
	v_fma_f32 v51, -v40, v41, 1.0
	v_fmac_f32_e32 v41, v51, v41
	v_mul_f32_e32 v51, v43, v41
	v_fma_f32 v52, -v40, v51, v43
	v_fmac_f32_e32 v51, v52, v41
	v_fma_f32 v40, -v40, v51, v43
	v_div_fmas_f32 v40, v40, v41, v51
	v_div_fixup_f32 v40, v40, v47, v44
	v_add_f32_e32 v41, v39, v40
	v_fmac_f32_e32 v39, s12, v40
	v_cndmask_b32_e64 v39, v39, v41, s[0:1]
	v_mov_b32_e32 v41, s23
	v_add_co_u32_e32 v40, vcc, s22, v32
	v_addc_co_u32_e32 v41, vcc, v31, v41, vcc
	global_store_dword v[40:41], v39, off
	s_or_b64 exec, exec, s[10:11]
	s_and_saveexec_b64 s[2:3], s[6:7]
	s_cbranch_execz .LBB50_21
.LBB50_26:                              ;   in Loop: Header=BB50_4 Depth=1
	s_waitcnt vmcnt(0)
	v_div_scale_f32 v39, s[6:7], v49, v49, v46
	v_rcp_f32_e32 v40, v39
	v_div_scale_f32 v41, vcc, v46, v49, v46
	v_fma_f32 v43, -v39, v40, 1.0
	v_fmac_f32_e32 v40, v43, v40
	v_mul_f32_e32 v43, v41, v40
	v_fma_f32 v44, -v39, v43, v41
	v_fmac_f32_e32 v43, v44, v40
	v_fma_f32 v39, -v39, v43, v41
	v_div_fmas_f32 v39, v39, v40, v43
	v_div_fixup_f32 v39, v39, v49, v46
	v_add_f32_e32 v40, v42, v39
	v_fmac_f32_e32 v42, s12, v39
	v_cndmask_b32_e64 v39, v42, v40, s[0:1]
	v_mov_b32_e32 v41, s23
	v_add_co_u32_e32 v40, vcc, s22, v24
	v_addc_co_u32_e32 v41, vcc, v19, v41, vcc
	global_store_dword v[40:41], v39, off
	s_or_b64 exec, exec, s[2:3]
	s_and_saveexec_b64 s[2:3], s[8:9]
	s_cbranch_execz .LBB50_3
.LBB50_27:                              ;   in Loop: Header=BB50_4 Depth=1
	s_waitcnt vmcnt(0)
	v_div_scale_f32 v39, s[6:7], v50, v50, v48
	v_rcp_f32_e32 v40, v39
	v_div_scale_f32 v41, vcc, v48, v50, v48
	v_fma_f32 v42, -v39, v40, 1.0
	v_fmac_f32_e32 v40, v42, v40
	v_mul_f32_e32 v42, v41, v40
	v_fma_f32 v43, -v39, v42, v41
	v_fmac_f32_e32 v42, v43, v40
	v_fma_f32 v39, -v39, v42, v41
	v_div_fmas_f32 v39, v39, v40, v42
	v_div_fixup_f32 v39, v39, v50, v48
	v_add_f32_e32 v40, v45, v39
	v_fmac_f32_e32 v45, s12, v39
	v_cndmask_b32_e64 v39, v45, v40, s[0:1]
	v_mov_b32_e32 v41, s23
	v_add_co_u32_e32 v40, vcc, s22, v16
	v_addc_co_u32_e32 v41, vcc, v11, v41, vcc
	global_store_dword v[40:41], v39, off
	s_branch .LBB50_3
.LBB50_28:
	s_mov_b64 s[0:1], 0
.LBB50_29:
	s_andn2_b64 vcc, exec, s[0:1]
	s_cbranch_vccnz .LBB50_33
; %bb.30:
	v_mov_b32_e32 v3, 0
	v_lshlrev_b32_e32 v2, 2, v0
	s_mov_b32 s2, 0
	v_cmp_gt_i64_e32 vcc, s[16:17], v[2:3]
	s_and_saveexec_b64 s[0:1], vcc
	s_cbranch_execz .LBB50_33
; %bb.31:
	s_load_dword s3, s[4:5], 0xbfc
	v_lshlrev_b32_e32 v1, 4, v0
	v_mov_b32_e32 v4, s23
	v_cmp_eq_f32_e64 s[0:1], s12, 1.0
	s_mov_b32 s13, s12
	s_waitcnt lgkmcnt(0)
	s_and_b32 s3, s3, 0xffff
	s_lshl_b32 s26, s3, 2
	s_add_u32 s24, s24, 8
	v_add_lshl_u32 v2, v0, s3, 2
	s_addc_u32 s4, s25, 0
	v_add_co_u32_e32 v0, vcc, s22, v1
	s_lshl_b32 s22, s3, 4
	s_add_u32 s18, s18, 8
	s_addc_u32 s5, s19, 0
	s_add_u32 s19, s20, 8
	s_addc_u32 s6, s21, 0
	v_addc_co_u32_e32 v1, vcc, 0, v4, vcc
	s_mov_b64 s[8:9], 0
	v_mov_b32_e32 v4, s4
	v_mov_b32_e32 v5, s5
	;; [unrolled: 1-line block ×4, first 2 shown]
	s_mov_b64 s[10:11], 0xffff
	v_mov_b32_e32 v8, s2
	v_mov_b32_e32 v9, s2
.LBB50_32:                              ; =>This Inner Loop Header: Depth=1
	v_add_co_u32_e32 v18, vcc, s18, v0
	v_addc_co_u32_e32 v19, vcc, v5, v1, vcc
	v_add_co_u32_e32 v20, vcc, s19, v0
	v_addc_co_u32_e32 v21, vcc, v6, v1, vcc
	global_load_dwordx4 v[10:13], v[18:19], off offset:-8
	global_load_dwordx4 v[14:17], v[20:21], off offset:-8
	v_add_co_u32_e32 v18, vcc, s24, v0
	v_addc_co_u32_e32 v19, vcc, v4, v1, vcc
	global_load_dwordx4 v[18:21], v[18:19], off offset:-8
	v_add_co_u32_e32 v22, vcc, s14, v0
	v_addc_co_u32_e32 v23, vcc, v7, v1, vcc
	v_cmp_le_i64_e32 vcc, s[16:17], v[2:3]
	v_cmp_lt_u64_e64 s[2:3], s[10:11], v[2:3]
	s_or_b64 s[2:3], vcc, s[2:3]
	v_add_co_u32_e64 v2, s[4:5], s26, v2
	s_and_b64 s[2:3], exec, s[2:3]
	v_addc_co_u32_e64 v3, s[4:5], v3, v8, s[4:5]
	s_or_b64 s[8:9], s[2:3], s[8:9]
	v_add_co_u32_e64 v0, s[4:5], s22, v0
	v_addc_co_u32_e64 v1, s[4:5], v1, v9, s[4:5]
	s_waitcnt vmcnt(1)
	v_div_scale_f32 v24, s[2:3], v15, v15, v11
	v_div_scale_f32 v26, s[2:3], v14, v14, v10
	v_rcp_f32_e32 v32, v24
	v_div_scale_f32 v28, s[4:5], v17, v17, v13
	v_rcp_f32_e32 v33, v26
	;; [unrolled: 2-line block ×3, first 2 shown]
	v_rcp_f32_e32 v35, v30
	v_fma_f32 v36, -v24, v32, 1.0
	v_div_scale_f32 v25, vcc, v11, v15, v11
	v_fma_f32 v37, -v26, v33, 1.0
	v_fmac_f32_e32 v32, v36, v32
	v_div_scale_f32 v27, s[2:3], v10, v14, v10
	v_fma_f32 v38, -v28, v34, 1.0
	v_fmac_f32_e32 v33, v37, v33
	v_mul_f32_e32 v36, v25, v32
	v_div_scale_f32 v29, s[4:5], v13, v17, v13
	v_fma_f32 v39, -v30, v35, 1.0
	v_fmac_f32_e32 v34, v38, v34
	v_mul_f32_e32 v37, v27, v33
	v_fma_f32 v40, -v24, v36, v25
	v_div_scale_f32 v31, s[6:7], v12, v16, v12
	v_fmac_f32_e32 v35, v39, v35
	v_mul_f32_e32 v38, v29, v34
	v_fma_f32 v41, -v26, v37, v27
	v_fmac_f32_e32 v36, v40, v32
	v_mul_f32_e32 v39, v31, v35
	v_fma_f32 v42, -v28, v38, v29
	v_fmac_f32_e32 v37, v41, v33
	v_fma_f32 v24, -v24, v36, v25
	v_fma_f32 v43, -v30, v39, v31
	v_fmac_f32_e32 v38, v42, v34
	v_fma_f32 v25, -v26, v37, v27
	v_div_fmas_f32 v24, v24, v32, v36
	s_mov_b64 vcc, s[2:3]
	v_fmac_f32_e32 v39, v43, v35
	v_fma_f32 v26, -v28, v38, v29
	v_div_fixup_f32 v11, v24, v15, v11
	v_div_fmas_f32 v15, v25, v33, v37
	s_mov_b64 vcc, s[4:5]
	v_fma_f32 v27, -v30, v39, v31
	v_div_fmas_f32 v24, v26, v34, v38
	s_mov_b64 vcc, s[6:7]
	v_div_fixup_f32 v10, v15, v14, v10
	v_div_fixup_f32 v13, v24, v17, v13
	v_div_fmas_f32 v17, v27, v35, v39
	s_waitcnt vmcnt(0)
	v_pk_add_f32 v[14:15], v[18:19], v[10:11]
	v_pk_fma_f32 v[10:11], s[12:13], v[10:11], v[18:19]
	v_div_fixup_f32 v12, v17, v16, v12
	v_cndmask_b32_e64 v11, v11, v15, s[0:1]
	v_cndmask_b32_e64 v10, v10, v14, s[0:1]
	v_pk_add_f32 v[14:15], v[20:21], v[12:13]
	v_pk_fma_f32 v[12:13], s[12:13], v[12:13], v[20:21]
	v_cndmask_b32_e64 v13, v13, v15, s[0:1]
	v_cndmask_b32_e64 v12, v12, v14, s[0:1]
	global_store_dwordx4 v[22:23], v[10:13], off
	s_andn2_b64 exec, exec, s[8:9]
	s_cbranch_execnz .LBB50_32
.LBB50_33:
	s_endpgm
	.section	.rodata,"a",@progbits
	.p2align	6, 0x0
	.amdhsa_kernel _ZN2at6native12_GLOBAL__N_125multi_tensor_apply_kernelINS1_18TensorListMetadataILi4EEENS1_24PointwiseOpScalarFunctorIfLi4ELi3ELi3EEEJSt7dividesIfEfEEEvT_T0_DpT1_
		.amdhsa_group_segment_fixed_size 0
		.amdhsa_private_segment_fixed_size 0
		.amdhsa_kernarg_size 3312
		.amdhsa_user_sgpr_count 6
		.amdhsa_user_sgpr_private_segment_buffer 1
		.amdhsa_user_sgpr_dispatch_ptr 0
		.amdhsa_user_sgpr_queue_ptr 0
		.amdhsa_user_sgpr_kernarg_segment_ptr 1
		.amdhsa_user_sgpr_dispatch_id 0
		.amdhsa_user_sgpr_flat_scratch_init 0
		.amdhsa_user_sgpr_kernarg_preload_length 0
		.amdhsa_user_sgpr_kernarg_preload_offset 0
		.amdhsa_user_sgpr_private_segment_size 0
		.amdhsa_uses_dynamic_stack 0
		.amdhsa_system_sgpr_private_segment_wavefront_offset 0
		.amdhsa_system_sgpr_workgroup_id_x 1
		.amdhsa_system_sgpr_workgroup_id_y 0
		.amdhsa_system_sgpr_workgroup_id_z 0
		.amdhsa_system_sgpr_workgroup_info 0
		.amdhsa_system_vgpr_workitem_id 0
		.amdhsa_next_free_vgpr 58
		.amdhsa_next_free_sgpr 35
		.amdhsa_accum_offset 60
		.amdhsa_reserve_vcc 1
		.amdhsa_reserve_flat_scratch 0
		.amdhsa_float_round_mode_32 0
		.amdhsa_float_round_mode_16_64 0
		.amdhsa_float_denorm_mode_32 3
		.amdhsa_float_denorm_mode_16_64 3
		.amdhsa_dx10_clamp 1
		.amdhsa_ieee_mode 1
		.amdhsa_fp16_overflow 0
		.amdhsa_tg_split 0
		.amdhsa_exception_fp_ieee_invalid_op 0
		.amdhsa_exception_fp_denorm_src 0
		.amdhsa_exception_fp_ieee_div_zero 0
		.amdhsa_exception_fp_ieee_overflow 0
		.amdhsa_exception_fp_ieee_underflow 0
		.amdhsa_exception_fp_ieee_inexact 0
		.amdhsa_exception_int_div_zero 0
	.end_amdhsa_kernel
	.section	.text._ZN2at6native12_GLOBAL__N_125multi_tensor_apply_kernelINS1_18TensorListMetadataILi4EEENS1_24PointwiseOpScalarFunctorIfLi4ELi3ELi3EEEJSt7dividesIfEfEEEvT_T0_DpT1_,"axG",@progbits,_ZN2at6native12_GLOBAL__N_125multi_tensor_apply_kernelINS1_18TensorListMetadataILi4EEENS1_24PointwiseOpScalarFunctorIfLi4ELi3ELi3EEEJSt7dividesIfEfEEEvT_T0_DpT1_,comdat
.Lfunc_end50:
	.size	_ZN2at6native12_GLOBAL__N_125multi_tensor_apply_kernelINS1_18TensorListMetadataILi4EEENS1_24PointwiseOpScalarFunctorIfLi4ELi3ELi3EEEJSt7dividesIfEfEEEvT_T0_DpT1_, .Lfunc_end50-_ZN2at6native12_GLOBAL__N_125multi_tensor_apply_kernelINS1_18TensorListMetadataILi4EEENS1_24PointwiseOpScalarFunctorIfLi4ELi3ELi3EEEJSt7dividesIfEfEEEvT_T0_DpT1_
                                        ; -- End function
	.section	.AMDGPU.csdata,"",@progbits
; Kernel info:
; codeLenInByte = 2760
; NumSgprs: 39
; NumVgprs: 58
; NumAgprs: 0
; TotalNumVgprs: 58
; ScratchSize: 0
; MemoryBound: 0
; FloatMode: 240
; IeeeMode: 1
; LDSByteSize: 0 bytes/workgroup (compile time only)
; SGPRBlocks: 4
; VGPRBlocks: 7
; NumSGPRsForWavesPerEU: 39
; NumVGPRsForWavesPerEU: 58
; AccumOffset: 60
; Occupancy: 8
; WaveLimiterHint : 0
; COMPUTE_PGM_RSRC2:SCRATCH_EN: 0
; COMPUTE_PGM_RSRC2:USER_SGPR: 6
; COMPUTE_PGM_RSRC2:TRAP_HANDLER: 0
; COMPUTE_PGM_RSRC2:TGID_X_EN: 1
; COMPUTE_PGM_RSRC2:TGID_Y_EN: 0
; COMPUTE_PGM_RSRC2:TGID_Z_EN: 0
; COMPUTE_PGM_RSRC2:TIDIG_COMP_CNT: 0
; COMPUTE_PGM_RSRC3_GFX90A:ACCUM_OFFSET: 14
; COMPUTE_PGM_RSRC3_GFX90A:TG_SPLIT: 0
	.section	.text._ZN2at6native12_GLOBAL__N_125multi_tensor_apply_kernelINS1_18TensorListMetadataILi4EEENS1_24PointwiseOpScalarFunctorIN3c107complexIdEELi4ELi3ELi3EEEJSt7dividesIS8_ES8_EEEvT_T0_DpT1_,"axG",@progbits,_ZN2at6native12_GLOBAL__N_125multi_tensor_apply_kernelINS1_18TensorListMetadataILi4EEENS1_24PointwiseOpScalarFunctorIN3c107complexIdEELi4ELi3ELi3EEEJSt7dividesIS8_ES8_EEEvT_T0_DpT1_,comdat
	.globl	_ZN2at6native12_GLOBAL__N_125multi_tensor_apply_kernelINS1_18TensorListMetadataILi4EEENS1_24PointwiseOpScalarFunctorIN3c107complexIdEELi4ELi3ELi3EEEJSt7dividesIS8_ES8_EEEvT_T0_DpT1_ ; -- Begin function _ZN2at6native12_GLOBAL__N_125multi_tensor_apply_kernelINS1_18TensorListMetadataILi4EEENS1_24PointwiseOpScalarFunctorIN3c107complexIdEELi4ELi3ELi3EEEJSt7dividesIS8_ES8_EEEvT_T0_DpT1_
	.p2align	8
	.type	_ZN2at6native12_GLOBAL__N_125multi_tensor_apply_kernelINS1_18TensorListMetadataILi4EEENS1_24PointwiseOpScalarFunctorIN3c107complexIdEELi4ELi3ELi3EEEJSt7dividesIS8_ES8_EEEvT_T0_DpT1_,@function
_ZN2at6native12_GLOBAL__N_125multi_tensor_apply_kernelINS1_18TensorListMetadataILi4EEENS1_24PointwiseOpScalarFunctorIN3c107complexIdEELi4ELi3ELi3EEEJSt7dividesIS8_ES8_EEEvT_T0_DpT1_: ; @_ZN2at6native12_GLOBAL__N_125multi_tensor_apply_kernelINS1_18TensorListMetadataILi4EEENS1_24PointwiseOpScalarFunctorIN3c107complexIdEELi4ELi3ELi3EEEJSt7dividesIS8_ES8_EEEvT_T0_DpT1_
; %bb.0:
	v_mov_b32_e32 v1, s6
	global_load_ubyte v1, v1, s[4:5] offset:1440
	s_add_u32 s0, s4, s6
	s_mul_hi_u32 s1, s6, 3
	s_mul_i32 s6, s6, 3
	s_addc_u32 s2, s5, 0
	s_add_u32 s0, s0, s6
	s_addc_u32 s1, s2, s1
	s_load_dword s10, s[0:1], 0x6e0
	s_mov_b32 s13, 0
	s_mov_b32 s15, s13
	s_waitcnt lgkmcnt(0)
	s_ashr_i32 s11, s10, 31
	s_lshl_b64 s[22:23], s[10:11], 20
	s_waitcnt vmcnt(0)
	v_readfirstlane_b32 s0, v1
	s_lshl_b32 s12, s0, 3
	s_load_dwordx2 s[2:3], s[4:5], s12 offset:0x0
	s_load_dwordx4 s[16:19], s[4:5], 0xbf0
	s_load_dwordx2 s[24:25], s[4:5], s12 offset:0x480
	s_load_dwordx2 s[0:1], s[4:5], s12 offset:0x120
	;; [unrolled: 1-line block ×4, first 2 shown]
	s_waitcnt lgkmcnt(0)
	s_add_u32 s33, s2, s22
	s_addc_u32 s36, s3, s23
	s_add_u32 s37, s0, s22
	s_addc_u32 s38, s1, s23
	s_and_b32 s12, s37, 63
	s_add_u32 s39, s6, s22
	s_addc_u32 s40, s7, s23
	s_add_u32 s41, s8, s22
	s_addc_u32 s42, s9, s23
	s_or_b32 s14, s41, s39
	s_and_b32 s14, s14, 63
	s_cmp_eq_u32 s14, 0
	s_cselect_b64 s[20:21], -1, 0
	s_and_b32 s14, s33, 63
	s_cmp_eq_u64 s[12:13], 0
	s_cselect_b64 s[26:27], -1, 0
	s_lshl_b64 s[10:11], s[10:11], 16
	s_and_b64 s[26:27], s[20:21], s[26:27]
	s_sub_u32 s20, s24, s10
	s_subb_u32 s21, s25, s11
	s_and_b32 s12, s24, 3
	s_or_b64 s[10:11], s[14:15], s[12:13]
	s_cmp_eq_u64 s[10:11], 0
	s_cselect_b64 s[10:11], -1, 0
	s_and_b64 s[12:13], s[26:27], s[10:11]
	s_mov_b64 s[10:11], -1
	s_and_b64 vcc, exec, s[12:13]
	s_cbranch_vccnz .LBB51_109
; %bb.1:
	v_cmp_lt_i64_e64 s[10:11], s[20:21], 1
	s_and_b64 vcc, exec, s[10:11]
	s_cbranch_vccnz .LBB51_108
; %bb.2:
	s_load_dword s10, s[4:5], 0xc0c
	v_mov_b32_e32 v2, 0x10000
	v_mov_b32_e32 v3, 0
	v_lshlrev_b32_e32 v6, 4, v0
	v_cmp_lt_u64_e32 vcc, s[20:21], v[2:3]
	s_waitcnt lgkmcnt(0)
	s_and_b32 s44, s10, 0xffff
	v_or_b32_e32 v2, 8, v6
	s_and_b64 s[10:11], vcc, exec
	v_mov_b32_e32 v8, s3
	v_add_co_u32_e32 v50, vcc, s2, v2
	v_addc_co_u32_e32 v51, vcc, 0, v8, vcc
	v_add_lshl_u32 v9, v0, s44, 4
	v_mov_b32_e32 v10, s9
	v_add_co_u32_e32 v52, vcc, s8, v9
	v_addc_co_u32_e32 v53, vcc, 0, v10, vcc
	v_mov_b32_e32 v11, s7
	v_add_co_u32_e32 v54, vcc, s6, v2
	v_addc_co_u32_e32 v55, vcc, 0, v11, vcc
	v_add_co_u32_e32 v56, vcc, s6, v9
	v_addc_co_u32_e32 v57, vcc, 0, v11, vcc
	v_add_co_u32_e32 v58, vcc, s8, v2
	v_mov_b32_e32 v1, 0
	v_addc_co_u32_e32 v59, vcc, 0, v10, vcc
	v_cmp_neq_f64_e64 s[10:11], s[16:17], 1.0
	v_cmp_neq_f64_e64 s[12:13], s[18:19], 0
	v_mov_b32_e32 v3, v1
	v_add_co_u32_e32 v60, vcc, s2, v9
	s_cselect_b32 s25, s21, 0
	s_cselect_b32 s24, s20, 0x10000
	s_or_b64 s[26:27], s[10:11], s[12:13]
	v_addc_co_u32_e32 v61, vcc, 0, v8, vcc
	v_mad_u64_u32 v[4:5], s[10:11], s44, 48, v[2:3]
	v_mov_b32_e32 v7, s1
	v_add_co_u32_e32 v62, vcc, s0, v4
	v_addc_co_u32_e32 v63, vcc, v7, v5, vcc
	v_add_co_u32_e32 v64, vcc, s2, v4
	v_addc_co_u32_e32 v65, vcc, v8, v5, vcc
	;; [unrolled: 2-line block ×3, first 2 shown]
	s_lshl_b32 s1, s44, 5
	v_add_co_u32_e32 v3, vcc, s1, v6
	v_addc_co_u32_e64 v6, s[10:11], 0, 0, vcc
	v_add_co_u32_e32 v68, vcc, s8, v3
	v_addc_co_u32_e32 v69, vcc, v10, v6, vcc
	v_add_co_u32_e32 v70, vcc, s8, v4
	v_addc_co_u32_e32 v71, vcc, v10, v5, vcc
	;; [unrolled: 2-line block ×3, first 2 shown]
	v_or_b32_e32 v3, 8, v3
	v_add_co_u32_e32 v74, vcc, s2, v3
	v_addc_co_u32_e32 v75, vcc, v8, v6, vcc
	v_add_co_u32_e32 v76, vcc, s0, v3
	v_addc_co_u32_e32 v77, vcc, v7, v6, vcc
	v_add_co_u32_e32 v78, vcc, s0, v2
	s_mov_b32 s43, 0
	v_addc_co_u32_e32 v79, vcc, 0, v7, vcc
	s_lshl_b32 s28, s44, 2
	s_mov_b32 s29, s43
	v_add_co_u32_e32 v80, vcc, s0, v9
	s_lshl_b32 s45, s44, 1
	s_mov_b32 s46, s43
	s_mul_i32 s47, s44, 3
	s_mov_b32 s48, s43
	s_lshl_b32 s49, s44, 6
	s_mov_b32 s50, s43
	s_mov_b64 s[30:31], s[28:29]
	v_addc_co_u32_e32 v81, vcc, 0, v7, vcc
	v_pk_mov_b32 v[82:83], v[0:1], v[0:1] op_sel:[0,1]
	s_branch .LBB51_4
.LBB51_3:                               ;   in Loop: Header=BB51_4 Depth=1
	s_or_b64 exec, exec, s[0:1]
	v_pk_mov_b32 v[2:3], s[20:21], s[20:21] op_sel:[0,1]
	v_cmp_ge_i64_e32 vcc, s[30:31], v[2:3]
	v_mov_b32_e32 v2, 0xffff
	v_mov_b32_e32 v3, 0
	v_cmp_gt_u64_e64 s[0:1], s[30:31], v[2:3]
	s_or_b64 s[0:1], vcc, s[0:1]
	v_mov_b32_e32 v1, s29
	v_add_co_u32_e32 v82, vcc, s28, v82
	v_addc_co_u32_e32 v83, vcc, v83, v1, vcc
	v_mov_b32_e32 v1, s50
	v_add_co_u32_e32 v78, vcc, s49, v78
	v_addc_co_u32_e32 v79, vcc, v79, v1, vcc
	v_add_co_u32_e32 v50, vcc, s49, v50
	v_addc_co_u32_e32 v51, vcc, v51, v1, vcc
	;; [unrolled: 2-line block ×15, first 2 shown]
	v_add_co_u32_e32 v74, vcc, s49, v74
	s_add_u32 s30, s30, s28
	v_addc_co_u32_e32 v75, vcc, v75, v1, vcc
	s_addc_u32 s31, s31, 0
	s_and_b64 vcc, exec, s[0:1]
	s_cbranch_vccnz .LBB51_108
.LBB51_4:                               ; =>This Inner Loop Header: Depth=1
	v_pk_mov_b32 v[48:49], 0, 0
	v_cmp_gt_u64_e64 s[0:1], s[24:25], v[82:83]
	v_pk_mov_b32 v[44:45], v[48:49], v[48:49] op_sel:[0,1]
	v_pk_mov_b32 v[42:43], v[48:49], v[48:49] op_sel:[0,1]
	;; [unrolled: 1-line block ×4, first 2 shown]
	s_and_saveexec_b64 s[2:3], s[0:1]
	s_cbranch_execz .LBB51_6
; %bb.5:                                ;   in Loop: Header=BB51_4 Depth=1
	v_mov_b32_e32 v1, s23
	v_add_co_u32_e32 v6, vcc, s22, v78
	v_addc_co_u32_e32 v7, vcc, v79, v1, vcc
	v_add_co_u32_e32 v8, vcc, s22, v50
	v_addc_co_u32_e32 v9, vcc, v51, v1, vcc
	global_load_dwordx4 v[2:5], v[8:9], off offset:-8
	global_load_dwordx4 v[42:45], v[6:7], off offset:-8
.LBB51_6:                               ;   in Loop: Header=BB51_4 Depth=1
	s_or_b64 exec, exec, s[2:3]
	v_pk_mov_b32 v[46:47], v[48:49], v[48:49] op_sel:[0,1]
	s_and_saveexec_b64 s[2:3], s[0:1]
	s_cbranch_execz .LBB51_8
; %bb.7:                                ;   in Loop: Header=BB51_4 Depth=1
	v_mov_b32_e32 v1, s23
	v_add_co_u32_e32 v6, vcc, s22, v54
	v_addc_co_u32_e32 v7, vcc, v55, v1, vcc
	global_load_dwordx4 v[46:49], v[6:7], off offset:-8
.LBB51_8:                               ;   in Loop: Header=BB51_4 Depth=1
	s_or_b64 exec, exec, s[2:3]
	v_mov_b32_e32 v1, s43
	v_add_co_u32_e32 v6, vcc, s44, v82
	v_addc_co_u32_e32 v7, vcc, v1, v83, vcc
	v_pk_mov_b32 v[40:41], 0, 0
	v_cmp_gt_u64_e64 s[2:3], s[24:25], v[6:7]
	v_pk_mov_b32 v[36:37], v[40:41], v[40:41] op_sel:[0,1]
	v_pk_mov_b32 v[34:35], v[40:41], v[40:41] op_sel:[0,1]
	;; [unrolled: 1-line block ×4, first 2 shown]
	s_and_saveexec_b64 s[6:7], s[2:3]
	s_cbranch_execz .LBB51_10
; %bb.9:                                ;   in Loop: Header=BB51_4 Depth=1
	v_mov_b32_e32 v1, s23
	v_add_co_u32_e32 v10, vcc, s22, v80
	v_addc_co_u32_e32 v11, vcc, v81, v1, vcc
	v_add_co_u32_e32 v12, vcc, s22, v60
	v_addc_co_u32_e32 v13, vcc, v61, v1, vcc
	global_load_dwordx4 v[6:9], v[12:13], off
	global_load_dwordx4 v[34:37], v[10:11], off
.LBB51_10:                              ;   in Loop: Header=BB51_4 Depth=1
	s_or_b64 exec, exec, s[6:7]
	v_pk_mov_b32 v[38:39], v[40:41], v[40:41] op_sel:[0,1]
	s_and_saveexec_b64 s[6:7], s[2:3]
	s_cbranch_execz .LBB51_12
; %bb.11:                               ;   in Loop: Header=BB51_4 Depth=1
	v_mov_b32_e32 v1, s23
	v_add_co_u32_e32 v10, vcc, s22, v56
	v_addc_co_u32_e32 v11, vcc, v57, v1, vcc
	global_load_dwordx4 v[38:41], v[10:11], off
.LBB51_12:                              ;   in Loop: Header=BB51_4 Depth=1
	s_or_b64 exec, exec, s[6:7]
	v_mov_b32_e32 v1, s46
	v_add_co_u32_e32 v10, vcc, s45, v82
	v_addc_co_u32_e32 v11, vcc, v1, v83, vcc
	v_pk_mov_b32 v[32:33], 0, 0
	v_cmp_gt_u64_e64 s[6:7], s[24:25], v[10:11]
	v_pk_mov_b32 v[28:29], v[32:33], v[32:33] op_sel:[0,1]
	v_pk_mov_b32 v[26:27], v[32:33], v[32:33] op_sel:[0,1]
	;; [unrolled: 1-line block ×4, first 2 shown]
	s_and_saveexec_b64 s[8:9], s[6:7]
	s_cbranch_execz .LBB51_14
; %bb.13:                               ;   in Loop: Header=BB51_4 Depth=1
	v_mov_b32_e32 v1, s23
	v_add_co_u32_e32 v14, vcc, s22, v76
	v_addc_co_u32_e32 v15, vcc, v77, v1, vcc
	v_add_co_u32_e32 v16, vcc, s22, v74
	v_addc_co_u32_e32 v17, vcc, v75, v1, vcc
	global_load_dwordx4 v[10:13], v[16:17], off offset:-8
	global_load_dwordx4 v[26:29], v[14:15], off offset:-8
.LBB51_14:                              ;   in Loop: Header=BB51_4 Depth=1
	s_or_b64 exec, exec, s[8:9]
	v_pk_mov_b32 v[30:31], v[32:33], v[32:33] op_sel:[0,1]
	s_and_saveexec_b64 s[8:9], s[6:7]
	s_cbranch_execz .LBB51_16
; %bb.15:                               ;   in Loop: Header=BB51_4 Depth=1
	v_mov_b32_e32 v1, s23
	v_add_co_u32_e32 v14, vcc, s22, v72
	v_addc_co_u32_e32 v15, vcc, v73, v1, vcc
	global_load_dwordx4 v[30:33], v[14:15], off
.LBB51_16:                              ;   in Loop: Header=BB51_4 Depth=1
	s_or_b64 exec, exec, s[8:9]
	v_mov_b32_e32 v1, s48
	v_add_co_u32_e32 v14, vcc, s47, v82
	v_addc_co_u32_e32 v15, vcc, v1, v83, vcc
	v_pk_mov_b32 v[24:25], 0, 0
	v_cmp_gt_u64_e64 s[8:9], s[24:25], v[14:15]
	v_pk_mov_b32 v[20:21], v[24:25], v[24:25] op_sel:[0,1]
	v_pk_mov_b32 v[18:19], v[24:25], v[24:25] op_sel:[0,1]
	;; [unrolled: 1-line block ×4, first 2 shown]
	s_and_saveexec_b64 s[10:11], s[8:9]
	s_cbranch_execz .LBB51_18
; %bb.17:                               ;   in Loop: Header=BB51_4 Depth=1
	v_mov_b32_e32 v1, s23
	v_add_co_u32_e32 v22, vcc, s22, v62
	v_addc_co_u32_e32 v23, vcc, v63, v1, vcc
	v_add_co_u32_e32 v84, vcc, s22, v64
	v_addc_co_u32_e32 v85, vcc, v65, v1, vcc
	global_load_dwordx4 v[14:17], v[84:85], off offset:-8
	global_load_dwordx4 v[18:21], v[22:23], off offset:-8
.LBB51_18:                              ;   in Loop: Header=BB51_4 Depth=1
	s_or_b64 exec, exec, s[10:11]
	v_pk_mov_b32 v[22:23], v[24:25], v[24:25] op_sel:[0,1]
	s_and_saveexec_b64 s[10:11], s[8:9]
	s_cbranch_execz .LBB51_20
; %bb.19:                               ;   in Loop: Header=BB51_4 Depth=1
	v_mov_b32_e32 v1, s23
	v_add_co_u32_e32 v22, vcc, s22, v66
	v_addc_co_u32_e32 v23, vcc, v67, v1, vcc
	global_load_dwordx4 v[22:25], v[22:23], off offset:-8
.LBB51_20:                              ;   in Loop: Header=BB51_4 Depth=1
	s_or_b64 exec, exec, s[10:11]
	s_waitcnt vmcnt(0)
	v_xor_b32_e32 v1, 0x80000000, v47
	v_cmp_gt_f64_e32 vcc, 0, v[46:47]
	v_cndmask_b32_e32 v91, v47, v1, vcc
	v_cndmask_b32_e32 v90, v46, v46, vcc
	v_xor_b32_e32 v1, 0x80000000, v49
	v_cmp_gt_f64_e32 vcc, 0, v[48:49]
	v_cndmask_b32_e32 v89, v49, v1, vcc
	v_cndmask_b32_e32 v88, v48, v48, vcc
	v_cmp_ge_f64_e64 s[10:11], v[90:91], v[88:89]
	s_and_b64 vcc, exec, s[26:27]
	s_cbranch_vccz .LBB51_30
; %bb.21:                               ;   in Loop: Header=BB51_4 Depth=1
                                        ; implicit-def: $vgpr86_vgpr87
                                        ; implicit-def: $vgpr92_vgpr93
	s_and_saveexec_b64 s[12:13], s[10:11]
	s_xor_b64 s[14:15], exec, s[12:13]
	s_cbranch_execz .LBB51_27
; %bb.22:                               ;   in Loop: Header=BB51_4 Depth=1
	v_cmp_neq_f64_e32 vcc, 0, v[46:47]
	v_cmp_neq_f64_e64 s[12:13], 0, v[48:49]
	s_or_b64 s[12:13], s[12:13], vcc
                                        ; implicit-def: $vgpr86_vgpr87
                                        ; implicit-def: $vgpr92_vgpr93
	s_and_saveexec_b64 s[34:35], s[12:13]
	s_xor_b64 s[12:13], exec, s[34:35]
	s_cbranch_execz .LBB51_24
; %bb.23:                               ;   in Loop: Header=BB51_4 Depth=1
	v_div_scale_f64 v[84:85], s[34:35], v[46:47], v[46:47], v[48:49]
	v_rcp_f64_e32 v[86:87], v[84:85]
	v_div_scale_f64 v[92:93], vcc, v[48:49], v[46:47], v[48:49]
	v_fma_f64 v[94:95], -v[84:85], v[86:87], 1.0
	v_fmac_f64_e32 v[86:87], v[86:87], v[94:95]
	v_fma_f64 v[94:95], -v[84:85], v[86:87], 1.0
	v_fmac_f64_e32 v[86:87], v[86:87], v[94:95]
	v_mul_f64 v[94:95], v[92:93], v[86:87]
	v_fma_f64 v[84:85], -v[84:85], v[94:95], v[92:93]
	v_div_fmas_f64 v[84:85], v[84:85], v[86:87], v[94:95]
	v_div_fixup_f64 v[84:85], v[84:85], v[46:47], v[48:49]
	v_fma_f64 v[86:87], v[48:49], v[84:85], v[46:47]
	v_div_scale_f64 v[92:93], s[34:35], v[86:87], v[86:87], 1.0
	v_rcp_f64_e32 v[94:95], v[92:93]
	v_fma_f64 v[96:97], -v[92:93], v[94:95], 1.0
	v_fmac_f64_e32 v[94:95], v[94:95], v[96:97]
	v_fma_f64 v[96:97], -v[92:93], v[94:95], 1.0
	v_fmac_f64_e32 v[94:95], v[94:95], v[96:97]
	v_div_scale_f64 v[96:97], vcc, 1.0, v[86:87], 1.0
	v_mul_f64 v[98:99], v[96:97], v[94:95]
	v_fma_f64 v[92:93], -v[92:93], v[98:99], v[96:97]
	s_nop 1
	v_div_fmas_f64 v[92:93], v[92:93], v[94:95], v[98:99]
	v_div_fixup_f64 v[86:87], v[92:93], v[86:87], 1.0
	v_fma_f64 v[92:93], v[44:45], v[84:85], v[42:43]
	v_fma_f64 v[84:85], -v[42:43], v[84:85], v[44:45]
	v_mul_f64 v[92:93], v[92:93], v[86:87]
	v_mul_f64 v[86:87], v[84:85], v[86:87]
.LBB51_24:                              ;   in Loop: Header=BB51_4 Depth=1
	s_andn2_saveexec_b64 s[12:13], s[12:13]
	s_cbranch_execz .LBB51_26
; %bb.25:                               ;   in Loop: Header=BB51_4 Depth=1
	v_div_scale_f64 v[84:85], s[34:35], v[90:91], v[90:91], v[42:43]
	v_rcp_f64_e32 v[86:87], v[84:85]
	v_div_scale_f64 v[96:97], s[34:35], v[88:89], v[88:89], v[44:45]
	v_div_scale_f64 v[92:93], vcc, v[42:43], v[90:91], v[42:43]
	v_fma_f64 v[94:95], -v[84:85], v[86:87], 1.0
	v_fmac_f64_e32 v[86:87], v[86:87], v[94:95]
	v_fma_f64 v[94:95], -v[84:85], v[86:87], 1.0
	v_fmac_f64_e32 v[86:87], v[86:87], v[94:95]
	v_rcp_f64_e32 v[98:99], v[96:97]
	v_mul_f64 v[94:95], v[92:93], v[86:87]
	v_fma_f64 v[84:85], -v[84:85], v[94:95], v[92:93]
	v_div_fmas_f64 v[84:85], v[84:85], v[86:87], v[94:95]
	v_div_fixup_f64 v[92:93], v[84:85], v[90:91], v[42:43]
	v_fma_f64 v[84:85], -v[96:97], v[98:99], 1.0
	v_fmac_f64_e32 v[98:99], v[98:99], v[84:85]
	v_fma_f64 v[84:85], -v[96:97], v[98:99], 1.0
	v_fmac_f64_e32 v[98:99], v[98:99], v[84:85]
	v_div_scale_f64 v[84:85], vcc, v[44:45], v[88:89], v[44:45]
	v_mul_f64 v[86:87], v[84:85], v[98:99]
	v_fma_f64 v[84:85], -v[96:97], v[86:87], v[84:85]
	s_nop 1
	v_div_fmas_f64 v[84:85], v[84:85], v[98:99], v[86:87]
	v_div_fixup_f64 v[86:87], v[84:85], v[88:89], v[44:45]
.LBB51_26:                              ;   in Loop: Header=BB51_4 Depth=1
	s_or_b64 exec, exec, s[12:13]
.LBB51_27:                              ;   in Loop: Header=BB51_4 Depth=1
	s_andn2_saveexec_b64 s[12:13], s[14:15]
	s_cbranch_execz .LBB51_29
; %bb.28:                               ;   in Loop: Header=BB51_4 Depth=1
	v_div_scale_f64 v[84:85], s[14:15], v[48:49], v[48:49], v[46:47]
	v_rcp_f64_e32 v[86:87], v[84:85]
	v_div_scale_f64 v[92:93], vcc, v[46:47], v[48:49], v[46:47]
	v_fma_f64 v[94:95], -v[84:85], v[86:87], 1.0
	v_fmac_f64_e32 v[86:87], v[86:87], v[94:95]
	v_fma_f64 v[94:95], -v[84:85], v[86:87], 1.0
	v_fmac_f64_e32 v[86:87], v[86:87], v[94:95]
	v_mul_f64 v[94:95], v[92:93], v[86:87]
	v_fma_f64 v[84:85], -v[84:85], v[94:95], v[92:93]
	v_div_fmas_f64 v[84:85], v[84:85], v[86:87], v[94:95]
	v_div_fixup_f64 v[84:85], v[84:85], v[48:49], v[46:47]
	v_fma_f64 v[86:87], v[46:47], v[84:85], v[48:49]
	v_div_scale_f64 v[92:93], s[14:15], v[86:87], v[86:87], 1.0
	v_rcp_f64_e32 v[94:95], v[92:93]
	v_fma_f64 v[96:97], -v[92:93], v[94:95], 1.0
	v_fmac_f64_e32 v[94:95], v[94:95], v[96:97]
	v_fma_f64 v[96:97], -v[92:93], v[94:95], 1.0
	v_fmac_f64_e32 v[94:95], v[94:95], v[96:97]
	v_div_scale_f64 v[96:97], vcc, 1.0, v[86:87], 1.0
	v_mul_f64 v[98:99], v[96:97], v[94:95]
	v_fma_f64 v[92:93], -v[92:93], v[98:99], v[96:97]
	s_nop 1
	v_div_fmas_f64 v[92:93], v[92:93], v[94:95], v[98:99]
	v_div_fixup_f64 v[86:87], v[92:93], v[86:87], 1.0
	v_fma_f64 v[92:93], v[42:43], v[84:85], v[44:45]
	v_fma_f64 v[84:85], v[44:45], v[84:85], -v[42:43]
	v_mul_f64 v[92:93], v[92:93], v[86:87]
	v_mul_f64 v[86:87], v[84:85], v[86:87]
.LBB51_29:                              ;   in Loop: Header=BB51_4 Depth=1
	s_or_b64 exec, exec, s[12:13]
	v_mul_f64 v[84:85], s[18:19], v[86:87]
	v_mul_f64 v[86:87], s[16:17], v[86:87]
	v_fma_f64 v[84:85], s[16:17], v[92:93], -v[84:85]
	v_fmac_f64_e32 v[86:87], s[18:19], v[92:93]
	s_branch .LBB51_40
.LBB51_30:                              ;   in Loop: Header=BB51_4 Depth=1
                                        ; implicit-def: $vgpr86_vgpr87
                                        ; implicit-def: $vgpr84_vgpr85
	s_cbranch_execz .LBB51_40
; %bb.31:                               ;   in Loop: Header=BB51_4 Depth=1
                                        ; implicit-def: $vgpr86_vgpr87
                                        ; implicit-def: $vgpr84_vgpr85
	s_and_saveexec_b64 s[12:13], s[10:11]
	s_xor_b64 s[12:13], exec, s[12:13]
	s_cbranch_execz .LBB51_37
; %bb.32:                               ;   in Loop: Header=BB51_4 Depth=1
	v_cmp_neq_f64_e32 vcc, 0, v[46:47]
	v_cmp_neq_f64_e64 s[10:11], 0, v[48:49]
	s_or_b64 s[10:11], s[10:11], vcc
                                        ; implicit-def: $vgpr86_vgpr87
                                        ; implicit-def: $vgpr84_vgpr85
	s_and_saveexec_b64 s[14:15], s[10:11]
	s_xor_b64 s[10:11], exec, s[14:15]
	s_cbranch_execz .LBB51_34
; %bb.33:                               ;   in Loop: Header=BB51_4 Depth=1
	v_div_scale_f64 v[84:85], s[14:15], v[46:47], v[46:47], v[48:49]
	v_rcp_f64_e32 v[86:87], v[84:85]
	v_div_scale_f64 v[88:89], vcc, v[48:49], v[46:47], v[48:49]
	v_fma_f64 v[90:91], -v[84:85], v[86:87], 1.0
	v_fmac_f64_e32 v[86:87], v[86:87], v[90:91]
	v_fma_f64 v[90:91], -v[84:85], v[86:87], 1.0
	v_fmac_f64_e32 v[86:87], v[86:87], v[90:91]
	v_mul_f64 v[90:91], v[88:89], v[86:87]
	v_fma_f64 v[84:85], -v[84:85], v[90:91], v[88:89]
	v_div_fmas_f64 v[84:85], v[84:85], v[86:87], v[90:91]
	v_div_fixup_f64 v[86:87], v[84:85], v[46:47], v[48:49]
	v_fmac_f64_e32 v[46:47], v[48:49], v[86:87]
	v_div_scale_f64 v[48:49], s[14:15], v[46:47], v[46:47], 1.0
	v_rcp_f64_e32 v[84:85], v[48:49]
	v_fma_f64 v[88:89], -v[48:49], v[84:85], 1.0
	v_fmac_f64_e32 v[84:85], v[84:85], v[88:89]
	v_fma_f64 v[88:89], -v[48:49], v[84:85], 1.0
	v_fmac_f64_e32 v[84:85], v[84:85], v[88:89]
	v_div_scale_f64 v[88:89], vcc, 1.0, v[46:47], 1.0
	v_mul_f64 v[90:91], v[88:89], v[84:85]
	v_fma_f64 v[48:49], -v[48:49], v[90:91], v[88:89]
                                        ; implicit-def: $vgpr88_vgpr89
	s_nop 1
	v_div_fmas_f64 v[48:49], v[48:49], v[84:85], v[90:91]
	v_div_fixup_f64 v[46:47], v[48:49], v[46:47], 1.0
	v_fma_f64 v[48:49], v[44:45], v[86:87], v[42:43]
	v_fma_f64 v[42:43], -v[42:43], v[86:87], v[44:45]
	v_mul_f64 v[84:85], v[48:49], v[46:47]
	v_mul_f64 v[86:87], v[42:43], v[46:47]
                                        ; implicit-def: $vgpr90_vgpr91
                                        ; implicit-def: $vgpr42_vgpr43
.LBB51_34:                              ;   in Loop: Header=BB51_4 Depth=1
	s_andn2_saveexec_b64 s[10:11], s[10:11]
	s_cbranch_execz .LBB51_36
; %bb.35:                               ;   in Loop: Header=BB51_4 Depth=1
	v_div_scale_f64 v[46:47], s[14:15], v[90:91], v[90:91], v[42:43]
	v_rcp_f64_e32 v[48:49], v[46:47]
	v_div_scale_f64 v[92:93], s[14:15], v[88:89], v[88:89], v[44:45]
	v_div_scale_f64 v[84:85], vcc, v[42:43], v[90:91], v[42:43]
	v_fma_f64 v[86:87], -v[46:47], v[48:49], 1.0
	v_fmac_f64_e32 v[48:49], v[48:49], v[86:87]
	v_fma_f64 v[86:87], -v[46:47], v[48:49], 1.0
	v_fmac_f64_e32 v[48:49], v[48:49], v[86:87]
	v_rcp_f64_e32 v[94:95], v[92:93]
	v_mul_f64 v[86:87], v[84:85], v[48:49]
	v_fma_f64 v[46:47], -v[46:47], v[86:87], v[84:85]
	v_div_fmas_f64 v[46:47], v[46:47], v[48:49], v[86:87]
	v_div_fixup_f64 v[84:85], v[46:47], v[90:91], v[42:43]
	v_fma_f64 v[42:43], -v[92:93], v[94:95], 1.0
	v_fmac_f64_e32 v[94:95], v[94:95], v[42:43]
	v_fma_f64 v[42:43], -v[92:93], v[94:95], 1.0
	v_fmac_f64_e32 v[94:95], v[94:95], v[42:43]
	v_div_scale_f64 v[42:43], vcc, v[44:45], v[88:89], v[44:45]
	v_mul_f64 v[46:47], v[42:43], v[94:95]
	v_fma_f64 v[42:43], -v[92:93], v[46:47], v[42:43]
	s_nop 1
	v_div_fmas_f64 v[42:43], v[42:43], v[94:95], v[46:47]
	v_div_fixup_f64 v[86:87], v[42:43], v[88:89], v[44:45]
.LBB51_36:                              ;   in Loop: Header=BB51_4 Depth=1
	s_or_b64 exec, exec, s[10:11]
                                        ; implicit-def: $vgpr48_vgpr49
                                        ; implicit-def: $vgpr42_vgpr43
.LBB51_37:                              ;   in Loop: Header=BB51_4 Depth=1
	s_andn2_saveexec_b64 s[10:11], s[12:13]
	s_cbranch_execz .LBB51_39
; %bb.38:                               ;   in Loop: Header=BB51_4 Depth=1
	v_div_scale_f64 v[84:85], s[12:13], v[48:49], v[48:49], v[46:47]
	v_rcp_f64_e32 v[86:87], v[84:85]
	v_div_scale_f64 v[88:89], vcc, v[46:47], v[48:49], v[46:47]
	v_fma_f64 v[90:91], -v[84:85], v[86:87], 1.0
	v_fmac_f64_e32 v[86:87], v[86:87], v[90:91]
	v_fma_f64 v[90:91], -v[84:85], v[86:87], 1.0
	v_fmac_f64_e32 v[86:87], v[86:87], v[90:91]
	v_mul_f64 v[90:91], v[88:89], v[86:87]
	v_fma_f64 v[84:85], -v[84:85], v[90:91], v[88:89]
	v_div_fmas_f64 v[84:85], v[84:85], v[86:87], v[90:91]
	v_div_fixup_f64 v[86:87], v[84:85], v[48:49], v[46:47]
	v_fmac_f64_e32 v[48:49], v[46:47], v[86:87]
	v_div_scale_f64 v[46:47], s[12:13], v[48:49], v[48:49], 1.0
	v_rcp_f64_e32 v[84:85], v[46:47]
	v_fma_f64 v[88:89], -v[46:47], v[84:85], 1.0
	v_fmac_f64_e32 v[84:85], v[84:85], v[88:89]
	v_fma_f64 v[88:89], -v[46:47], v[84:85], 1.0
	v_fmac_f64_e32 v[84:85], v[84:85], v[88:89]
	v_div_scale_f64 v[88:89], vcc, 1.0, v[48:49], 1.0
	v_mul_f64 v[90:91], v[88:89], v[84:85]
	v_fma_f64 v[46:47], -v[46:47], v[90:91], v[88:89]
	s_nop 1
	v_div_fmas_f64 v[46:47], v[46:47], v[84:85], v[90:91]
	v_div_fixup_f64 v[46:47], v[46:47], v[48:49], 1.0
	v_fma_f64 v[48:49], v[42:43], v[86:87], v[44:45]
	v_fma_f64 v[42:43], v[44:45], v[86:87], -v[42:43]
	v_mul_f64 v[84:85], v[48:49], v[46:47]
	v_mul_f64 v[86:87], v[42:43], v[46:47]
.LBB51_39:                              ;   in Loop: Header=BB51_4 Depth=1
	s_or_b64 exec, exec, s[10:11]
.LBB51_40:                              ;   in Loop: Header=BB51_4 Depth=1
	v_xor_b32_e32 v1, 0x80000000, v39
	v_cmp_gt_f64_e32 vcc, 0, v[38:39]
	v_cndmask_b32_e32 v49, v39, v1, vcc
	v_cndmask_b32_e32 v48, v38, v38, vcc
	v_xor_b32_e32 v1, 0x80000000, v41
	v_cmp_gt_f64_e32 vcc, 0, v[40:41]
	v_cndmask_b32_e32 v47, v41, v1, vcc
	v_cndmask_b32_e32 v46, v40, v40, vcc
	v_cndmask_b32_e64 v1, 0, 1, s[26:27]
	v_cmp_ne_u32_e64 s[10:11], 1, v1
	s_andn2_b64 vcc, exec, s[26:27]
	v_cmp_ge_f64_e64 s[12:13], v[48:49], v[46:47]
	s_cbranch_vccnz .LBB51_50
; %bb.41:                               ;   in Loop: Header=BB51_4 Depth=1
                                        ; implicit-def: $vgpr44_vgpr45
                                        ; implicit-def: $vgpr88_vgpr89
	s_and_saveexec_b64 s[14:15], s[12:13]
	s_xor_b64 s[34:35], exec, s[14:15]
	s_cbranch_execz .LBB51_47
; %bb.42:                               ;   in Loop: Header=BB51_4 Depth=1
	v_cmp_neq_f64_e32 vcc, 0, v[38:39]
	v_cmp_neq_f64_e64 s[14:15], 0, v[40:41]
	s_or_b64 s[14:15], s[14:15], vcc
                                        ; implicit-def: $vgpr44_vgpr45
                                        ; implicit-def: $vgpr88_vgpr89
	s_and_saveexec_b64 s[52:53], s[14:15]
	s_xor_b64 s[14:15], exec, s[52:53]
	s_cbranch_execz .LBB51_44
; %bb.43:                               ;   in Loop: Header=BB51_4 Depth=1
	v_div_scale_f64 v[42:43], s[52:53], v[38:39], v[38:39], v[40:41]
	v_rcp_f64_e32 v[44:45], v[42:43]
	v_div_scale_f64 v[88:89], vcc, v[40:41], v[38:39], v[40:41]
	v_fma_f64 v[90:91], -v[42:43], v[44:45], 1.0
	v_fmac_f64_e32 v[44:45], v[44:45], v[90:91]
	v_fma_f64 v[90:91], -v[42:43], v[44:45], 1.0
	v_fmac_f64_e32 v[44:45], v[44:45], v[90:91]
	v_mul_f64 v[90:91], v[88:89], v[44:45]
	v_fma_f64 v[42:43], -v[42:43], v[90:91], v[88:89]
	v_div_fmas_f64 v[42:43], v[42:43], v[44:45], v[90:91]
	v_div_fixup_f64 v[42:43], v[42:43], v[38:39], v[40:41]
	v_fma_f64 v[44:45], v[40:41], v[42:43], v[38:39]
	v_div_scale_f64 v[88:89], s[52:53], v[44:45], v[44:45], 1.0
	v_rcp_f64_e32 v[90:91], v[88:89]
	v_fma_f64 v[92:93], -v[88:89], v[90:91], 1.0
	v_fmac_f64_e32 v[90:91], v[90:91], v[92:93]
	v_fma_f64 v[92:93], -v[88:89], v[90:91], 1.0
	v_fmac_f64_e32 v[90:91], v[90:91], v[92:93]
	v_div_scale_f64 v[92:93], vcc, 1.0, v[44:45], 1.0
	v_mul_f64 v[94:95], v[92:93], v[90:91]
	v_fma_f64 v[88:89], -v[88:89], v[94:95], v[92:93]
	s_nop 1
	v_div_fmas_f64 v[88:89], v[88:89], v[90:91], v[94:95]
	v_div_fixup_f64 v[44:45], v[88:89], v[44:45], 1.0
	v_fma_f64 v[88:89], v[36:37], v[42:43], v[34:35]
	v_fma_f64 v[42:43], -v[34:35], v[42:43], v[36:37]
	v_mul_f64 v[88:89], v[88:89], v[44:45]
	v_mul_f64 v[44:45], v[42:43], v[44:45]
.LBB51_44:                              ;   in Loop: Header=BB51_4 Depth=1
	s_andn2_saveexec_b64 s[14:15], s[14:15]
	s_cbranch_execz .LBB51_46
; %bb.45:                               ;   in Loop: Header=BB51_4 Depth=1
	v_div_scale_f64 v[42:43], s[52:53], v[48:49], v[48:49], v[34:35]
	v_rcp_f64_e32 v[44:45], v[42:43]
	v_div_scale_f64 v[92:93], s[52:53], v[46:47], v[46:47], v[36:37]
	v_div_scale_f64 v[88:89], vcc, v[34:35], v[48:49], v[34:35]
	v_fma_f64 v[90:91], -v[42:43], v[44:45], 1.0
	v_fmac_f64_e32 v[44:45], v[44:45], v[90:91]
	v_fma_f64 v[90:91], -v[42:43], v[44:45], 1.0
	v_fmac_f64_e32 v[44:45], v[44:45], v[90:91]
	v_rcp_f64_e32 v[94:95], v[92:93]
	v_mul_f64 v[90:91], v[88:89], v[44:45]
	v_fma_f64 v[42:43], -v[42:43], v[90:91], v[88:89]
	v_div_fmas_f64 v[42:43], v[42:43], v[44:45], v[90:91]
	v_div_fixup_f64 v[88:89], v[42:43], v[48:49], v[34:35]
	v_fma_f64 v[42:43], -v[92:93], v[94:95], 1.0
	v_fmac_f64_e32 v[94:95], v[94:95], v[42:43]
	v_fma_f64 v[42:43], -v[92:93], v[94:95], 1.0
	v_fmac_f64_e32 v[94:95], v[94:95], v[42:43]
	v_div_scale_f64 v[42:43], vcc, v[36:37], v[46:47], v[36:37]
	v_mul_f64 v[44:45], v[42:43], v[94:95]
	v_fma_f64 v[42:43], -v[92:93], v[44:45], v[42:43]
	s_nop 1
	v_div_fmas_f64 v[42:43], v[42:43], v[94:95], v[44:45]
	v_div_fixup_f64 v[44:45], v[42:43], v[46:47], v[36:37]
.LBB51_46:                              ;   in Loop: Header=BB51_4 Depth=1
	s_or_b64 exec, exec, s[14:15]
.LBB51_47:                              ;   in Loop: Header=BB51_4 Depth=1
	s_andn2_saveexec_b64 s[14:15], s[34:35]
	s_cbranch_execz .LBB51_49
; %bb.48:                               ;   in Loop: Header=BB51_4 Depth=1
	v_div_scale_f64 v[42:43], s[34:35], v[40:41], v[40:41], v[38:39]
	v_rcp_f64_e32 v[44:45], v[42:43]
	v_div_scale_f64 v[88:89], vcc, v[38:39], v[40:41], v[38:39]
	v_fma_f64 v[90:91], -v[42:43], v[44:45], 1.0
	v_fmac_f64_e32 v[44:45], v[44:45], v[90:91]
	v_fma_f64 v[90:91], -v[42:43], v[44:45], 1.0
	v_fmac_f64_e32 v[44:45], v[44:45], v[90:91]
	v_mul_f64 v[90:91], v[88:89], v[44:45]
	v_fma_f64 v[42:43], -v[42:43], v[90:91], v[88:89]
	v_div_fmas_f64 v[42:43], v[42:43], v[44:45], v[90:91]
	v_div_fixup_f64 v[42:43], v[42:43], v[40:41], v[38:39]
	v_fma_f64 v[44:45], v[38:39], v[42:43], v[40:41]
	v_div_scale_f64 v[88:89], s[34:35], v[44:45], v[44:45], 1.0
	v_rcp_f64_e32 v[90:91], v[88:89]
	v_fma_f64 v[92:93], -v[88:89], v[90:91], 1.0
	v_fmac_f64_e32 v[90:91], v[90:91], v[92:93]
	v_fma_f64 v[92:93], -v[88:89], v[90:91], 1.0
	v_fmac_f64_e32 v[90:91], v[90:91], v[92:93]
	v_div_scale_f64 v[92:93], vcc, 1.0, v[44:45], 1.0
	v_mul_f64 v[94:95], v[92:93], v[90:91]
	v_fma_f64 v[88:89], -v[88:89], v[94:95], v[92:93]
	s_nop 1
	v_div_fmas_f64 v[88:89], v[88:89], v[90:91], v[94:95]
	v_div_fixup_f64 v[44:45], v[88:89], v[44:45], 1.0
	v_fma_f64 v[88:89], v[34:35], v[42:43], v[36:37]
	v_fma_f64 v[42:43], v[36:37], v[42:43], -v[34:35]
	v_mul_f64 v[88:89], v[88:89], v[44:45]
	v_mul_f64 v[44:45], v[42:43], v[44:45]
.LBB51_49:                              ;   in Loop: Header=BB51_4 Depth=1
	s_or_b64 exec, exec, s[14:15]
	v_mul_f64 v[42:43], s[18:19], v[44:45]
	v_mul_f64 v[44:45], s[16:17], v[44:45]
	v_fma_f64 v[42:43], s[16:17], v[88:89], -v[42:43]
	v_fmac_f64_e32 v[44:45], s[18:19], v[88:89]
	s_branch .LBB51_60
.LBB51_50:                              ;   in Loop: Header=BB51_4 Depth=1
                                        ; implicit-def: $vgpr44_vgpr45
                                        ; implicit-def: $vgpr42_vgpr43
	s_cbranch_execz .LBB51_60
; %bb.51:                               ;   in Loop: Header=BB51_4 Depth=1
                                        ; implicit-def: $vgpr44_vgpr45
                                        ; implicit-def: $vgpr42_vgpr43
	s_and_saveexec_b64 s[14:15], s[12:13]
	s_xor_b64 s[14:15], exec, s[14:15]
	s_cbranch_execz .LBB51_57
; %bb.52:                               ;   in Loop: Header=BB51_4 Depth=1
	v_cmp_neq_f64_e32 vcc, 0, v[38:39]
	v_cmp_neq_f64_e64 s[12:13], 0, v[40:41]
	s_or_b64 s[12:13], s[12:13], vcc
                                        ; implicit-def: $vgpr44_vgpr45
                                        ; implicit-def: $vgpr42_vgpr43
	s_and_saveexec_b64 s[34:35], s[12:13]
	s_xor_b64 s[12:13], exec, s[34:35]
	s_cbranch_execz .LBB51_54
; %bb.53:                               ;   in Loop: Header=BB51_4 Depth=1
	v_div_scale_f64 v[42:43], s[34:35], v[38:39], v[38:39], v[40:41]
	v_rcp_f64_e32 v[44:45], v[42:43]
	v_div_scale_f64 v[46:47], vcc, v[40:41], v[38:39], v[40:41]
	v_fma_f64 v[48:49], -v[42:43], v[44:45], 1.0
	v_fmac_f64_e32 v[44:45], v[44:45], v[48:49]
	v_fma_f64 v[48:49], -v[42:43], v[44:45], 1.0
	v_fmac_f64_e32 v[44:45], v[44:45], v[48:49]
	v_mul_f64 v[48:49], v[46:47], v[44:45]
	v_fma_f64 v[42:43], -v[42:43], v[48:49], v[46:47]
	v_div_fmas_f64 v[42:43], v[42:43], v[44:45], v[48:49]
	v_div_fixup_f64 v[44:45], v[42:43], v[38:39], v[40:41]
	v_fmac_f64_e32 v[38:39], v[40:41], v[44:45]
	v_div_scale_f64 v[40:41], s[34:35], v[38:39], v[38:39], 1.0
	v_rcp_f64_e32 v[42:43], v[40:41]
	v_fma_f64 v[46:47], -v[40:41], v[42:43], 1.0
	v_fmac_f64_e32 v[42:43], v[42:43], v[46:47]
	v_fma_f64 v[46:47], -v[40:41], v[42:43], 1.0
	v_fmac_f64_e32 v[42:43], v[42:43], v[46:47]
	v_div_scale_f64 v[46:47], vcc, 1.0, v[38:39], 1.0
	v_mul_f64 v[48:49], v[46:47], v[42:43]
	v_fma_f64 v[40:41], -v[40:41], v[48:49], v[46:47]
                                        ; implicit-def: $vgpr46_vgpr47
	s_nop 1
	v_div_fmas_f64 v[40:41], v[40:41], v[42:43], v[48:49]
	v_div_fixup_f64 v[38:39], v[40:41], v[38:39], 1.0
	v_fma_f64 v[40:41], v[36:37], v[44:45], v[34:35]
	v_fma_f64 v[34:35], -v[34:35], v[44:45], v[36:37]
	v_mul_f64 v[42:43], v[40:41], v[38:39]
	v_mul_f64 v[44:45], v[34:35], v[38:39]
                                        ; implicit-def: $vgpr48_vgpr49
                                        ; implicit-def: $vgpr34_vgpr35
.LBB51_54:                              ;   in Loop: Header=BB51_4 Depth=1
	s_andn2_saveexec_b64 s[12:13], s[12:13]
	s_cbranch_execz .LBB51_56
; %bb.55:                               ;   in Loop: Header=BB51_4 Depth=1
	v_div_scale_f64 v[38:39], s[34:35], v[48:49], v[48:49], v[34:35]
	v_rcp_f64_e32 v[40:41], v[38:39]
	v_div_scale_f64 v[88:89], s[34:35], v[46:47], v[46:47], v[36:37]
	v_div_scale_f64 v[42:43], vcc, v[34:35], v[48:49], v[34:35]
	v_fma_f64 v[44:45], -v[38:39], v[40:41], 1.0
	v_fmac_f64_e32 v[40:41], v[40:41], v[44:45]
	v_fma_f64 v[44:45], -v[38:39], v[40:41], 1.0
	v_fmac_f64_e32 v[40:41], v[40:41], v[44:45]
	v_rcp_f64_e32 v[90:91], v[88:89]
	v_mul_f64 v[44:45], v[42:43], v[40:41]
	v_fma_f64 v[38:39], -v[38:39], v[44:45], v[42:43]
	v_div_fmas_f64 v[38:39], v[38:39], v[40:41], v[44:45]
	v_div_fixup_f64 v[42:43], v[38:39], v[48:49], v[34:35]
	v_fma_f64 v[34:35], -v[88:89], v[90:91], 1.0
	v_fmac_f64_e32 v[90:91], v[90:91], v[34:35]
	v_fma_f64 v[34:35], -v[88:89], v[90:91], 1.0
	v_fmac_f64_e32 v[90:91], v[90:91], v[34:35]
	v_div_scale_f64 v[34:35], vcc, v[36:37], v[46:47], v[36:37]
	v_mul_f64 v[38:39], v[34:35], v[90:91]
	v_fma_f64 v[34:35], -v[88:89], v[38:39], v[34:35]
	s_nop 1
	v_div_fmas_f64 v[34:35], v[34:35], v[90:91], v[38:39]
	v_div_fixup_f64 v[44:45], v[34:35], v[46:47], v[36:37]
.LBB51_56:                              ;   in Loop: Header=BB51_4 Depth=1
	s_or_b64 exec, exec, s[12:13]
                                        ; implicit-def: $vgpr40_vgpr41
                                        ; implicit-def: $vgpr34_vgpr35
.LBB51_57:                              ;   in Loop: Header=BB51_4 Depth=1
	s_andn2_saveexec_b64 s[12:13], s[14:15]
	s_cbranch_execz .LBB51_59
; %bb.58:                               ;   in Loop: Header=BB51_4 Depth=1
	v_div_scale_f64 v[42:43], s[14:15], v[40:41], v[40:41], v[38:39]
	v_rcp_f64_e32 v[44:45], v[42:43]
	v_div_scale_f64 v[46:47], vcc, v[38:39], v[40:41], v[38:39]
	v_fma_f64 v[48:49], -v[42:43], v[44:45], 1.0
	v_fmac_f64_e32 v[44:45], v[44:45], v[48:49]
	v_fma_f64 v[48:49], -v[42:43], v[44:45], 1.0
	v_fmac_f64_e32 v[44:45], v[44:45], v[48:49]
	v_mul_f64 v[48:49], v[46:47], v[44:45]
	v_fma_f64 v[42:43], -v[42:43], v[48:49], v[46:47]
	v_div_fmas_f64 v[42:43], v[42:43], v[44:45], v[48:49]
	v_div_fixup_f64 v[44:45], v[42:43], v[40:41], v[38:39]
	v_fmac_f64_e32 v[40:41], v[38:39], v[44:45]
	v_div_scale_f64 v[38:39], s[14:15], v[40:41], v[40:41], 1.0
	v_rcp_f64_e32 v[42:43], v[38:39]
	v_fma_f64 v[46:47], -v[38:39], v[42:43], 1.0
	v_fmac_f64_e32 v[42:43], v[42:43], v[46:47]
	v_fma_f64 v[46:47], -v[38:39], v[42:43], 1.0
	v_fmac_f64_e32 v[42:43], v[42:43], v[46:47]
	v_div_scale_f64 v[46:47], vcc, 1.0, v[40:41], 1.0
	v_mul_f64 v[48:49], v[46:47], v[42:43]
	v_fma_f64 v[38:39], -v[38:39], v[48:49], v[46:47]
	s_nop 1
	v_div_fmas_f64 v[38:39], v[38:39], v[42:43], v[48:49]
	v_div_fixup_f64 v[38:39], v[38:39], v[40:41], 1.0
	v_fma_f64 v[40:41], v[34:35], v[44:45], v[36:37]
	v_fma_f64 v[34:35], v[36:37], v[44:45], -v[34:35]
	v_mul_f64 v[42:43], v[40:41], v[38:39]
	v_mul_f64 v[44:45], v[34:35], v[38:39]
.LBB51_59:                              ;   in Loop: Header=BB51_4 Depth=1
	s_or_b64 exec, exec, s[12:13]
.LBB51_60:                              ;   in Loop: Header=BB51_4 Depth=1
	v_xor_b32_e32 v1, 0x80000000, v31
	v_cmp_gt_f64_e32 vcc, 0, v[30:31]
	v_cndmask_b32_e32 v41, v31, v1, vcc
	v_cndmask_b32_e32 v40, v30, v30, vcc
	v_xor_b32_e32 v1, 0x80000000, v33
	v_cmp_gt_f64_e32 vcc, 0, v[32:33]
	v_cndmask_b32_e32 v39, v33, v1, vcc
	v_cndmask_b32_e32 v38, v32, v32, vcc
	s_and_b64 vcc, exec, s[10:11]
	v_cmp_ge_f64_e64 s[12:13], v[40:41], v[38:39]
	s_cbranch_vccnz .LBB51_70
; %bb.61:                               ;   in Loop: Header=BB51_4 Depth=1
                                        ; implicit-def: $vgpr36_vgpr37
                                        ; implicit-def: $vgpr46_vgpr47
	s_and_saveexec_b64 s[14:15], s[12:13]
	s_xor_b64 s[34:35], exec, s[14:15]
	s_cbranch_execz .LBB51_67
; %bb.62:                               ;   in Loop: Header=BB51_4 Depth=1
	v_cmp_neq_f64_e32 vcc, 0, v[30:31]
	v_cmp_neq_f64_e64 s[14:15], 0, v[32:33]
	s_or_b64 s[14:15], s[14:15], vcc
                                        ; implicit-def: $vgpr36_vgpr37
                                        ; implicit-def: $vgpr46_vgpr47
	s_and_saveexec_b64 s[52:53], s[14:15]
	s_xor_b64 s[14:15], exec, s[52:53]
	s_cbranch_execz .LBB51_64
; %bb.63:                               ;   in Loop: Header=BB51_4 Depth=1
	v_div_scale_f64 v[34:35], s[52:53], v[30:31], v[30:31], v[32:33]
	v_rcp_f64_e32 v[36:37], v[34:35]
	v_div_scale_f64 v[46:47], vcc, v[32:33], v[30:31], v[32:33]
	v_fma_f64 v[48:49], -v[34:35], v[36:37], 1.0
	v_fmac_f64_e32 v[36:37], v[36:37], v[48:49]
	v_fma_f64 v[48:49], -v[34:35], v[36:37], 1.0
	v_fmac_f64_e32 v[36:37], v[36:37], v[48:49]
	v_mul_f64 v[48:49], v[46:47], v[36:37]
	v_fma_f64 v[34:35], -v[34:35], v[48:49], v[46:47]
	v_div_fmas_f64 v[34:35], v[34:35], v[36:37], v[48:49]
	v_div_fixup_f64 v[34:35], v[34:35], v[30:31], v[32:33]
	v_fma_f64 v[36:37], v[32:33], v[34:35], v[30:31]
	v_div_scale_f64 v[46:47], s[52:53], v[36:37], v[36:37], 1.0
	v_rcp_f64_e32 v[48:49], v[46:47]
	v_fma_f64 v[88:89], -v[46:47], v[48:49], 1.0
	v_fmac_f64_e32 v[48:49], v[48:49], v[88:89]
	v_fma_f64 v[88:89], -v[46:47], v[48:49], 1.0
	v_fmac_f64_e32 v[48:49], v[48:49], v[88:89]
	v_div_scale_f64 v[88:89], vcc, 1.0, v[36:37], 1.0
	v_mul_f64 v[90:91], v[88:89], v[48:49]
	v_fma_f64 v[46:47], -v[46:47], v[90:91], v[88:89]
	s_nop 1
	v_div_fmas_f64 v[46:47], v[46:47], v[48:49], v[90:91]
	v_div_fixup_f64 v[36:37], v[46:47], v[36:37], 1.0
	v_fma_f64 v[46:47], v[28:29], v[34:35], v[26:27]
	v_fma_f64 v[34:35], -v[26:27], v[34:35], v[28:29]
	v_mul_f64 v[46:47], v[46:47], v[36:37]
	v_mul_f64 v[36:37], v[34:35], v[36:37]
.LBB51_64:                              ;   in Loop: Header=BB51_4 Depth=1
	s_andn2_saveexec_b64 s[14:15], s[14:15]
	s_cbranch_execz .LBB51_66
; %bb.65:                               ;   in Loop: Header=BB51_4 Depth=1
	v_div_scale_f64 v[34:35], s[52:53], v[40:41], v[40:41], v[26:27]
	v_rcp_f64_e32 v[36:37], v[34:35]
	v_div_scale_f64 v[88:89], s[52:53], v[38:39], v[38:39], v[28:29]
	v_div_scale_f64 v[46:47], vcc, v[26:27], v[40:41], v[26:27]
	v_fma_f64 v[48:49], -v[34:35], v[36:37], 1.0
	v_fmac_f64_e32 v[36:37], v[36:37], v[48:49]
	v_fma_f64 v[48:49], -v[34:35], v[36:37], 1.0
	v_fmac_f64_e32 v[36:37], v[36:37], v[48:49]
	v_rcp_f64_e32 v[90:91], v[88:89]
	v_mul_f64 v[48:49], v[46:47], v[36:37]
	v_fma_f64 v[34:35], -v[34:35], v[48:49], v[46:47]
	v_div_fmas_f64 v[34:35], v[34:35], v[36:37], v[48:49]
	v_div_fixup_f64 v[46:47], v[34:35], v[40:41], v[26:27]
	v_fma_f64 v[34:35], -v[88:89], v[90:91], 1.0
	v_fmac_f64_e32 v[90:91], v[90:91], v[34:35]
	v_fma_f64 v[34:35], -v[88:89], v[90:91], 1.0
	v_fmac_f64_e32 v[90:91], v[90:91], v[34:35]
	v_div_scale_f64 v[34:35], vcc, v[28:29], v[38:39], v[28:29]
	v_mul_f64 v[36:37], v[34:35], v[90:91]
	v_fma_f64 v[34:35], -v[88:89], v[36:37], v[34:35]
	s_nop 1
	v_div_fmas_f64 v[34:35], v[34:35], v[90:91], v[36:37]
	v_div_fixup_f64 v[36:37], v[34:35], v[38:39], v[28:29]
.LBB51_66:                              ;   in Loop: Header=BB51_4 Depth=1
	s_or_b64 exec, exec, s[14:15]
.LBB51_67:                              ;   in Loop: Header=BB51_4 Depth=1
	s_andn2_saveexec_b64 s[14:15], s[34:35]
	s_cbranch_execz .LBB51_69
; %bb.68:                               ;   in Loop: Header=BB51_4 Depth=1
	v_div_scale_f64 v[34:35], s[34:35], v[32:33], v[32:33], v[30:31]
	v_rcp_f64_e32 v[36:37], v[34:35]
	v_div_scale_f64 v[46:47], vcc, v[30:31], v[32:33], v[30:31]
	v_fma_f64 v[48:49], -v[34:35], v[36:37], 1.0
	v_fmac_f64_e32 v[36:37], v[36:37], v[48:49]
	v_fma_f64 v[48:49], -v[34:35], v[36:37], 1.0
	v_fmac_f64_e32 v[36:37], v[36:37], v[48:49]
	v_mul_f64 v[48:49], v[46:47], v[36:37]
	v_fma_f64 v[34:35], -v[34:35], v[48:49], v[46:47]
	v_div_fmas_f64 v[34:35], v[34:35], v[36:37], v[48:49]
	v_div_fixup_f64 v[34:35], v[34:35], v[32:33], v[30:31]
	v_fma_f64 v[36:37], v[30:31], v[34:35], v[32:33]
	v_div_scale_f64 v[46:47], s[34:35], v[36:37], v[36:37], 1.0
	v_rcp_f64_e32 v[48:49], v[46:47]
	v_fma_f64 v[88:89], -v[46:47], v[48:49], 1.0
	v_fmac_f64_e32 v[48:49], v[48:49], v[88:89]
	v_fma_f64 v[88:89], -v[46:47], v[48:49], 1.0
	v_fmac_f64_e32 v[48:49], v[48:49], v[88:89]
	v_div_scale_f64 v[88:89], vcc, 1.0, v[36:37], 1.0
	v_mul_f64 v[90:91], v[88:89], v[48:49]
	v_fma_f64 v[46:47], -v[46:47], v[90:91], v[88:89]
	s_nop 1
	v_div_fmas_f64 v[46:47], v[46:47], v[48:49], v[90:91]
	v_div_fixup_f64 v[36:37], v[46:47], v[36:37], 1.0
	v_fma_f64 v[46:47], v[26:27], v[34:35], v[28:29]
	v_fma_f64 v[34:35], v[28:29], v[34:35], -v[26:27]
	v_mul_f64 v[46:47], v[46:47], v[36:37]
	v_mul_f64 v[36:37], v[34:35], v[36:37]
.LBB51_69:                              ;   in Loop: Header=BB51_4 Depth=1
	s_or_b64 exec, exec, s[14:15]
	v_mul_f64 v[34:35], s[18:19], v[36:37]
	v_mul_f64 v[36:37], s[16:17], v[36:37]
	v_fma_f64 v[34:35], s[16:17], v[46:47], -v[34:35]
	v_fmac_f64_e32 v[36:37], s[18:19], v[46:47]
	s_branch .LBB51_80
.LBB51_70:                              ;   in Loop: Header=BB51_4 Depth=1
                                        ; implicit-def: $vgpr36_vgpr37
                                        ; implicit-def: $vgpr34_vgpr35
	s_cbranch_execz .LBB51_80
; %bb.71:                               ;   in Loop: Header=BB51_4 Depth=1
                                        ; implicit-def: $vgpr36_vgpr37
                                        ; implicit-def: $vgpr34_vgpr35
	s_and_saveexec_b64 s[14:15], s[12:13]
	s_xor_b64 s[14:15], exec, s[14:15]
	s_cbranch_execz .LBB51_77
; %bb.72:                               ;   in Loop: Header=BB51_4 Depth=1
	v_cmp_neq_f64_e32 vcc, 0, v[30:31]
	v_cmp_neq_f64_e64 s[12:13], 0, v[32:33]
	s_or_b64 s[12:13], s[12:13], vcc
                                        ; implicit-def: $vgpr36_vgpr37
                                        ; implicit-def: $vgpr34_vgpr35
	s_and_saveexec_b64 s[34:35], s[12:13]
	s_xor_b64 s[12:13], exec, s[34:35]
	s_cbranch_execz .LBB51_74
; %bb.73:                               ;   in Loop: Header=BB51_4 Depth=1
	v_div_scale_f64 v[34:35], s[34:35], v[30:31], v[30:31], v[32:33]
	v_rcp_f64_e32 v[36:37], v[34:35]
	v_div_scale_f64 v[38:39], vcc, v[32:33], v[30:31], v[32:33]
	v_fma_f64 v[40:41], -v[34:35], v[36:37], 1.0
	v_fmac_f64_e32 v[36:37], v[36:37], v[40:41]
	v_fma_f64 v[40:41], -v[34:35], v[36:37], 1.0
	v_fmac_f64_e32 v[36:37], v[36:37], v[40:41]
	v_mul_f64 v[40:41], v[38:39], v[36:37]
	v_fma_f64 v[34:35], -v[34:35], v[40:41], v[38:39]
	v_div_fmas_f64 v[34:35], v[34:35], v[36:37], v[40:41]
	v_div_fixup_f64 v[36:37], v[34:35], v[30:31], v[32:33]
	v_fmac_f64_e32 v[30:31], v[32:33], v[36:37]
	v_div_scale_f64 v[32:33], s[34:35], v[30:31], v[30:31], 1.0
	v_rcp_f64_e32 v[34:35], v[32:33]
	v_fma_f64 v[38:39], -v[32:33], v[34:35], 1.0
	v_fmac_f64_e32 v[34:35], v[34:35], v[38:39]
	v_fma_f64 v[38:39], -v[32:33], v[34:35], 1.0
	v_fmac_f64_e32 v[34:35], v[34:35], v[38:39]
	v_div_scale_f64 v[38:39], vcc, 1.0, v[30:31], 1.0
	v_mul_f64 v[40:41], v[38:39], v[34:35]
	v_fma_f64 v[32:33], -v[32:33], v[40:41], v[38:39]
                                        ; implicit-def: $vgpr38_vgpr39
	s_nop 1
	v_div_fmas_f64 v[32:33], v[32:33], v[34:35], v[40:41]
	v_div_fixup_f64 v[30:31], v[32:33], v[30:31], 1.0
	v_fma_f64 v[32:33], v[28:29], v[36:37], v[26:27]
	v_fma_f64 v[26:27], -v[26:27], v[36:37], v[28:29]
	v_mul_f64 v[34:35], v[32:33], v[30:31]
	v_mul_f64 v[36:37], v[26:27], v[30:31]
                                        ; implicit-def: $vgpr40_vgpr41
                                        ; implicit-def: $vgpr26_vgpr27
.LBB51_74:                              ;   in Loop: Header=BB51_4 Depth=1
	s_andn2_saveexec_b64 s[12:13], s[12:13]
	s_cbranch_execz .LBB51_76
; %bb.75:                               ;   in Loop: Header=BB51_4 Depth=1
	v_div_scale_f64 v[30:31], s[34:35], v[40:41], v[40:41], v[26:27]
	v_rcp_f64_e32 v[32:33], v[30:31]
	v_div_scale_f64 v[46:47], s[34:35], v[38:39], v[38:39], v[28:29]
	v_div_scale_f64 v[34:35], vcc, v[26:27], v[40:41], v[26:27]
	v_fma_f64 v[36:37], -v[30:31], v[32:33], 1.0
	v_fmac_f64_e32 v[32:33], v[32:33], v[36:37]
	v_fma_f64 v[36:37], -v[30:31], v[32:33], 1.0
	v_fmac_f64_e32 v[32:33], v[32:33], v[36:37]
	v_rcp_f64_e32 v[48:49], v[46:47]
	v_mul_f64 v[36:37], v[34:35], v[32:33]
	v_fma_f64 v[30:31], -v[30:31], v[36:37], v[34:35]
	v_div_fmas_f64 v[30:31], v[30:31], v[32:33], v[36:37]
	v_div_fixup_f64 v[34:35], v[30:31], v[40:41], v[26:27]
	v_fma_f64 v[26:27], -v[46:47], v[48:49], 1.0
	v_fmac_f64_e32 v[48:49], v[48:49], v[26:27]
	v_fma_f64 v[26:27], -v[46:47], v[48:49], 1.0
	v_fmac_f64_e32 v[48:49], v[48:49], v[26:27]
	v_div_scale_f64 v[26:27], vcc, v[28:29], v[38:39], v[28:29]
	v_mul_f64 v[30:31], v[26:27], v[48:49]
	v_fma_f64 v[26:27], -v[46:47], v[30:31], v[26:27]
	s_nop 1
	v_div_fmas_f64 v[26:27], v[26:27], v[48:49], v[30:31]
	v_div_fixup_f64 v[36:37], v[26:27], v[38:39], v[28:29]
.LBB51_76:                              ;   in Loop: Header=BB51_4 Depth=1
	s_or_b64 exec, exec, s[12:13]
                                        ; implicit-def: $vgpr32_vgpr33
                                        ; implicit-def: $vgpr26_vgpr27
.LBB51_77:                              ;   in Loop: Header=BB51_4 Depth=1
	s_andn2_saveexec_b64 s[12:13], s[14:15]
	s_cbranch_execz .LBB51_79
; %bb.78:                               ;   in Loop: Header=BB51_4 Depth=1
	v_div_scale_f64 v[34:35], s[14:15], v[32:33], v[32:33], v[30:31]
	v_rcp_f64_e32 v[36:37], v[34:35]
	v_div_scale_f64 v[38:39], vcc, v[30:31], v[32:33], v[30:31]
	v_fma_f64 v[40:41], -v[34:35], v[36:37], 1.0
	v_fmac_f64_e32 v[36:37], v[36:37], v[40:41]
	v_fma_f64 v[40:41], -v[34:35], v[36:37], 1.0
	v_fmac_f64_e32 v[36:37], v[36:37], v[40:41]
	v_mul_f64 v[40:41], v[38:39], v[36:37]
	v_fma_f64 v[34:35], -v[34:35], v[40:41], v[38:39]
	v_div_fmas_f64 v[34:35], v[34:35], v[36:37], v[40:41]
	v_div_fixup_f64 v[36:37], v[34:35], v[32:33], v[30:31]
	v_fmac_f64_e32 v[32:33], v[30:31], v[36:37]
	v_div_scale_f64 v[30:31], s[14:15], v[32:33], v[32:33], 1.0
	v_rcp_f64_e32 v[34:35], v[30:31]
	v_fma_f64 v[38:39], -v[30:31], v[34:35], 1.0
	v_fmac_f64_e32 v[34:35], v[34:35], v[38:39]
	v_fma_f64 v[38:39], -v[30:31], v[34:35], 1.0
	v_fmac_f64_e32 v[34:35], v[34:35], v[38:39]
	v_div_scale_f64 v[38:39], vcc, 1.0, v[32:33], 1.0
	v_mul_f64 v[40:41], v[38:39], v[34:35]
	v_fma_f64 v[30:31], -v[30:31], v[40:41], v[38:39]
	s_nop 1
	v_div_fmas_f64 v[30:31], v[30:31], v[34:35], v[40:41]
	v_div_fixup_f64 v[30:31], v[30:31], v[32:33], 1.0
	v_fma_f64 v[32:33], v[26:27], v[36:37], v[28:29]
	v_fma_f64 v[26:27], v[28:29], v[36:37], -v[26:27]
	v_mul_f64 v[34:35], v[32:33], v[30:31]
	v_mul_f64 v[36:37], v[26:27], v[30:31]
.LBB51_79:                              ;   in Loop: Header=BB51_4 Depth=1
	s_or_b64 exec, exec, s[12:13]
.LBB51_80:                              ;   in Loop: Header=BB51_4 Depth=1
	v_xor_b32_e32 v1, 0x80000000, v23
	v_cmp_gt_f64_e32 vcc, 0, v[22:23]
	v_cndmask_b32_e32 v29, v23, v1, vcc
	v_cndmask_b32_e32 v28, v22, v22, vcc
	v_xor_b32_e32 v1, 0x80000000, v25
	v_cmp_gt_f64_e32 vcc, 0, v[24:25]
	v_cndmask_b32_e32 v27, v25, v1, vcc
	v_cndmask_b32_e32 v26, v24, v24, vcc
	s_and_b64 vcc, exec, s[10:11]
	v_cmp_ge_f64_e64 s[10:11], v[28:29], v[26:27]
	s_cbranch_vccnz .LBB51_90
; %bb.81:                               ;   in Loop: Header=BB51_4 Depth=1
                                        ; implicit-def: $vgpr32_vgpr33
                                        ; implicit-def: $vgpr38_vgpr39
	s_and_saveexec_b64 s[12:13], s[10:11]
	s_xor_b64 s[14:15], exec, s[12:13]
	s_cbranch_execz .LBB51_87
; %bb.82:                               ;   in Loop: Header=BB51_4 Depth=1
	v_cmp_neq_f64_e32 vcc, 0, v[22:23]
	v_cmp_neq_f64_e64 s[12:13], 0, v[24:25]
	s_or_b64 s[12:13], s[12:13], vcc
                                        ; implicit-def: $vgpr32_vgpr33
                                        ; implicit-def: $vgpr38_vgpr39
	s_and_saveexec_b64 s[34:35], s[12:13]
	s_xor_b64 s[12:13], exec, s[34:35]
	s_cbranch_execz .LBB51_84
; %bb.83:                               ;   in Loop: Header=BB51_4 Depth=1
	v_div_scale_f64 v[30:31], s[34:35], v[22:23], v[22:23], v[24:25]
	v_rcp_f64_e32 v[32:33], v[30:31]
	v_div_scale_f64 v[38:39], vcc, v[24:25], v[22:23], v[24:25]
	v_fma_f64 v[40:41], -v[30:31], v[32:33], 1.0
	v_fmac_f64_e32 v[32:33], v[32:33], v[40:41]
	v_fma_f64 v[40:41], -v[30:31], v[32:33], 1.0
	v_fmac_f64_e32 v[32:33], v[32:33], v[40:41]
	v_mul_f64 v[40:41], v[38:39], v[32:33]
	v_fma_f64 v[30:31], -v[30:31], v[40:41], v[38:39]
	v_div_fmas_f64 v[30:31], v[30:31], v[32:33], v[40:41]
	v_div_fixup_f64 v[30:31], v[30:31], v[22:23], v[24:25]
	v_fma_f64 v[32:33], v[24:25], v[30:31], v[22:23]
	v_div_scale_f64 v[38:39], s[34:35], v[32:33], v[32:33], 1.0
	v_rcp_f64_e32 v[40:41], v[38:39]
	v_fma_f64 v[46:47], -v[38:39], v[40:41], 1.0
	v_fmac_f64_e32 v[40:41], v[40:41], v[46:47]
	v_fma_f64 v[46:47], -v[38:39], v[40:41], 1.0
	v_fmac_f64_e32 v[40:41], v[40:41], v[46:47]
	v_div_scale_f64 v[46:47], vcc, 1.0, v[32:33], 1.0
	v_mul_f64 v[48:49], v[46:47], v[40:41]
	v_fma_f64 v[38:39], -v[38:39], v[48:49], v[46:47]
	s_nop 1
	v_div_fmas_f64 v[38:39], v[38:39], v[40:41], v[48:49]
	v_div_fixup_f64 v[32:33], v[38:39], v[32:33], 1.0
	v_fma_f64 v[38:39], v[20:21], v[30:31], v[18:19]
	v_fma_f64 v[30:31], -v[18:19], v[30:31], v[20:21]
	v_mul_f64 v[38:39], v[38:39], v[32:33]
	v_mul_f64 v[32:33], v[30:31], v[32:33]
.LBB51_84:                              ;   in Loop: Header=BB51_4 Depth=1
	s_andn2_saveexec_b64 s[12:13], s[12:13]
	s_cbranch_execz .LBB51_86
; %bb.85:                               ;   in Loop: Header=BB51_4 Depth=1
	v_div_scale_f64 v[30:31], s[34:35], v[28:29], v[28:29], v[18:19]
	v_rcp_f64_e32 v[32:33], v[30:31]
	v_div_scale_f64 v[46:47], s[34:35], v[26:27], v[26:27], v[20:21]
	v_div_scale_f64 v[38:39], vcc, v[18:19], v[28:29], v[18:19]
	v_fma_f64 v[40:41], -v[30:31], v[32:33], 1.0
	v_fmac_f64_e32 v[32:33], v[32:33], v[40:41]
	v_fma_f64 v[40:41], -v[30:31], v[32:33], 1.0
	v_fmac_f64_e32 v[32:33], v[32:33], v[40:41]
	v_rcp_f64_e32 v[48:49], v[46:47]
	v_mul_f64 v[40:41], v[38:39], v[32:33]
	v_fma_f64 v[30:31], -v[30:31], v[40:41], v[38:39]
	v_div_fmas_f64 v[30:31], v[30:31], v[32:33], v[40:41]
	v_div_fixup_f64 v[38:39], v[30:31], v[28:29], v[18:19]
	v_fma_f64 v[30:31], -v[46:47], v[48:49], 1.0
	v_fmac_f64_e32 v[48:49], v[48:49], v[30:31]
	v_fma_f64 v[30:31], -v[46:47], v[48:49], 1.0
	v_fmac_f64_e32 v[48:49], v[48:49], v[30:31]
	v_div_scale_f64 v[30:31], vcc, v[20:21], v[26:27], v[20:21]
	v_mul_f64 v[32:33], v[30:31], v[48:49]
	v_fma_f64 v[30:31], -v[46:47], v[32:33], v[30:31]
	s_nop 1
	v_div_fmas_f64 v[30:31], v[30:31], v[48:49], v[32:33]
	v_div_fixup_f64 v[32:33], v[30:31], v[26:27], v[20:21]
.LBB51_86:                              ;   in Loop: Header=BB51_4 Depth=1
	s_or_b64 exec, exec, s[12:13]
.LBB51_87:                              ;   in Loop: Header=BB51_4 Depth=1
	s_andn2_saveexec_b64 s[12:13], s[14:15]
	s_cbranch_execz .LBB51_89
; %bb.88:                               ;   in Loop: Header=BB51_4 Depth=1
	v_div_scale_f64 v[30:31], s[14:15], v[24:25], v[24:25], v[22:23]
	v_rcp_f64_e32 v[32:33], v[30:31]
	v_div_scale_f64 v[38:39], vcc, v[22:23], v[24:25], v[22:23]
	v_fma_f64 v[40:41], -v[30:31], v[32:33], 1.0
	v_fmac_f64_e32 v[32:33], v[32:33], v[40:41]
	v_fma_f64 v[40:41], -v[30:31], v[32:33], 1.0
	v_fmac_f64_e32 v[32:33], v[32:33], v[40:41]
	v_mul_f64 v[40:41], v[38:39], v[32:33]
	v_fma_f64 v[30:31], -v[30:31], v[40:41], v[38:39]
	v_div_fmas_f64 v[30:31], v[30:31], v[32:33], v[40:41]
	v_div_fixup_f64 v[30:31], v[30:31], v[24:25], v[22:23]
	v_fma_f64 v[32:33], v[22:23], v[30:31], v[24:25]
	v_div_scale_f64 v[38:39], s[14:15], v[32:33], v[32:33], 1.0
	v_rcp_f64_e32 v[40:41], v[38:39]
	v_fma_f64 v[46:47], -v[38:39], v[40:41], 1.0
	v_fmac_f64_e32 v[40:41], v[40:41], v[46:47]
	v_fma_f64 v[46:47], -v[38:39], v[40:41], 1.0
	v_fmac_f64_e32 v[40:41], v[40:41], v[46:47]
	v_div_scale_f64 v[46:47], vcc, 1.0, v[32:33], 1.0
	v_mul_f64 v[48:49], v[46:47], v[40:41]
	v_fma_f64 v[38:39], -v[38:39], v[48:49], v[46:47]
	s_nop 1
	v_div_fmas_f64 v[38:39], v[38:39], v[40:41], v[48:49]
	v_div_fixup_f64 v[32:33], v[38:39], v[32:33], 1.0
	v_fma_f64 v[38:39], v[18:19], v[30:31], v[20:21]
	v_fma_f64 v[30:31], v[20:21], v[30:31], -v[18:19]
	v_mul_f64 v[38:39], v[38:39], v[32:33]
	v_mul_f64 v[32:33], v[30:31], v[32:33]
.LBB51_89:                              ;   in Loop: Header=BB51_4 Depth=1
	s_or_b64 exec, exec, s[12:13]
	v_mul_f64 v[30:31], s[18:19], v[32:33]
	v_mul_f64 v[32:33], s[16:17], v[32:33]
	v_fma_f64 v[30:31], s[16:17], v[38:39], -v[30:31]
	v_fmac_f64_e32 v[32:33], s[18:19], v[38:39]
	s_branch .LBB51_100
.LBB51_90:                              ;   in Loop: Header=BB51_4 Depth=1
                                        ; implicit-def: $vgpr32_vgpr33
                                        ; implicit-def: $vgpr30_vgpr31
	s_cbranch_execz .LBB51_100
; %bb.91:                               ;   in Loop: Header=BB51_4 Depth=1
                                        ; implicit-def: $vgpr32_vgpr33
                                        ; implicit-def: $vgpr30_vgpr31
	s_and_saveexec_b64 s[12:13], s[10:11]
	s_xor_b64 s[12:13], exec, s[12:13]
	s_cbranch_execz .LBB51_97
; %bb.92:                               ;   in Loop: Header=BB51_4 Depth=1
	v_cmp_neq_f64_e32 vcc, 0, v[22:23]
	v_cmp_neq_f64_e64 s[10:11], 0, v[24:25]
	s_or_b64 s[10:11], s[10:11], vcc
                                        ; implicit-def: $vgpr32_vgpr33
                                        ; implicit-def: $vgpr30_vgpr31
	s_and_saveexec_b64 s[14:15], s[10:11]
	s_xor_b64 s[10:11], exec, s[14:15]
	s_cbranch_execz .LBB51_94
; %bb.93:                               ;   in Loop: Header=BB51_4 Depth=1
	v_div_scale_f64 v[26:27], s[14:15], v[22:23], v[22:23], v[24:25]
	v_rcp_f64_e32 v[28:29], v[26:27]
	v_div_scale_f64 v[30:31], vcc, v[24:25], v[22:23], v[24:25]
	v_fma_f64 v[32:33], -v[26:27], v[28:29], 1.0
	v_fmac_f64_e32 v[28:29], v[28:29], v[32:33]
	v_fma_f64 v[32:33], -v[26:27], v[28:29], 1.0
	v_fmac_f64_e32 v[28:29], v[28:29], v[32:33]
	v_mul_f64 v[32:33], v[30:31], v[28:29]
	v_fma_f64 v[26:27], -v[26:27], v[32:33], v[30:31]
	v_div_fmas_f64 v[26:27], v[26:27], v[28:29], v[32:33]
	v_div_fixup_f64 v[26:27], v[26:27], v[22:23], v[24:25]
	v_fmac_f64_e32 v[22:23], v[24:25], v[26:27]
	v_div_scale_f64 v[24:25], s[14:15], v[22:23], v[22:23], 1.0
	v_rcp_f64_e32 v[28:29], v[24:25]
	v_fma_f64 v[30:31], -v[24:25], v[28:29], 1.0
	v_fmac_f64_e32 v[28:29], v[28:29], v[30:31]
	v_fma_f64 v[30:31], -v[24:25], v[28:29], 1.0
	v_fmac_f64_e32 v[28:29], v[28:29], v[30:31]
	v_div_scale_f64 v[30:31], vcc, 1.0, v[22:23], 1.0
	v_mul_f64 v[32:33], v[30:31], v[28:29]
	v_fma_f64 v[24:25], -v[24:25], v[32:33], v[30:31]
	s_nop 1
	v_div_fmas_f64 v[24:25], v[24:25], v[28:29], v[32:33]
	v_div_fixup_f64 v[22:23], v[24:25], v[22:23], 1.0
	v_fma_f64 v[24:25], v[20:21], v[26:27], v[18:19]
	v_fma_f64 v[18:19], -v[18:19], v[26:27], v[20:21]
	v_mul_f64 v[30:31], v[24:25], v[22:23]
	v_mul_f64 v[32:33], v[18:19], v[22:23]
                                        ; implicit-def: $vgpr28_vgpr29
                                        ; implicit-def: $vgpr18_vgpr19
                                        ; implicit-def: $vgpr26_vgpr27
.LBB51_94:                              ;   in Loop: Header=BB51_4 Depth=1
	s_andn2_saveexec_b64 s[10:11], s[10:11]
	s_cbranch_execz .LBB51_96
; %bb.95:                               ;   in Loop: Header=BB51_4 Depth=1
	v_div_scale_f64 v[22:23], s[14:15], v[28:29], v[28:29], v[18:19]
	v_rcp_f64_e32 v[24:25], v[22:23]
	v_div_scale_f64 v[38:39], s[14:15], v[26:27], v[26:27], v[20:21]
	v_div_scale_f64 v[30:31], vcc, v[18:19], v[28:29], v[18:19]
	v_fma_f64 v[32:33], -v[22:23], v[24:25], 1.0
	v_fmac_f64_e32 v[24:25], v[24:25], v[32:33]
	v_fma_f64 v[32:33], -v[22:23], v[24:25], 1.0
	v_fmac_f64_e32 v[24:25], v[24:25], v[32:33]
	v_rcp_f64_e32 v[40:41], v[38:39]
	v_mul_f64 v[32:33], v[30:31], v[24:25]
	v_fma_f64 v[22:23], -v[22:23], v[32:33], v[30:31]
	v_div_fmas_f64 v[22:23], v[22:23], v[24:25], v[32:33]
	v_div_fixup_f64 v[30:31], v[22:23], v[28:29], v[18:19]
	v_fma_f64 v[18:19], -v[38:39], v[40:41], 1.0
	v_fmac_f64_e32 v[40:41], v[40:41], v[18:19]
	v_fma_f64 v[18:19], -v[38:39], v[40:41], 1.0
	v_fmac_f64_e32 v[40:41], v[40:41], v[18:19]
	v_div_scale_f64 v[18:19], vcc, v[20:21], v[26:27], v[20:21]
	v_mul_f64 v[22:23], v[18:19], v[40:41]
	v_fma_f64 v[18:19], -v[38:39], v[22:23], v[18:19]
	s_nop 1
	v_div_fmas_f64 v[18:19], v[18:19], v[40:41], v[22:23]
	v_div_fixup_f64 v[32:33], v[18:19], v[26:27], v[20:21]
.LBB51_96:                              ;   in Loop: Header=BB51_4 Depth=1
	s_or_b64 exec, exec, s[10:11]
                                        ; implicit-def: $vgpr24_vgpr25
                                        ; implicit-def: $vgpr18_vgpr19
.LBB51_97:                              ;   in Loop: Header=BB51_4 Depth=1
	s_andn2_saveexec_b64 s[10:11], s[12:13]
	s_cbranch_execz .LBB51_99
; %bb.98:                               ;   in Loop: Header=BB51_4 Depth=1
	v_div_scale_f64 v[26:27], s[12:13], v[24:25], v[24:25], v[22:23]
	v_rcp_f64_e32 v[28:29], v[26:27]
	v_div_scale_f64 v[30:31], vcc, v[22:23], v[24:25], v[22:23]
	v_fma_f64 v[32:33], -v[26:27], v[28:29], 1.0
	v_fmac_f64_e32 v[28:29], v[28:29], v[32:33]
	v_fma_f64 v[32:33], -v[26:27], v[28:29], 1.0
	v_fmac_f64_e32 v[28:29], v[28:29], v[32:33]
	v_mul_f64 v[32:33], v[30:31], v[28:29]
	v_fma_f64 v[26:27], -v[26:27], v[32:33], v[30:31]
	v_div_fmas_f64 v[26:27], v[26:27], v[28:29], v[32:33]
	v_div_fixup_f64 v[26:27], v[26:27], v[24:25], v[22:23]
	v_fmac_f64_e32 v[24:25], v[22:23], v[26:27]
	v_div_scale_f64 v[22:23], s[12:13], v[24:25], v[24:25], 1.0
	v_rcp_f64_e32 v[28:29], v[22:23]
	v_fma_f64 v[30:31], -v[22:23], v[28:29], 1.0
	v_fmac_f64_e32 v[28:29], v[28:29], v[30:31]
	v_fma_f64 v[30:31], -v[22:23], v[28:29], 1.0
	v_fmac_f64_e32 v[28:29], v[28:29], v[30:31]
	v_div_scale_f64 v[30:31], vcc, 1.0, v[24:25], 1.0
	v_mul_f64 v[32:33], v[30:31], v[28:29]
	v_fma_f64 v[22:23], -v[22:23], v[32:33], v[30:31]
	s_nop 1
	v_div_fmas_f64 v[22:23], v[22:23], v[28:29], v[32:33]
	v_div_fixup_f64 v[22:23], v[22:23], v[24:25], 1.0
	v_fma_f64 v[24:25], v[18:19], v[26:27], v[20:21]
	v_fma_f64 v[18:19], v[20:21], v[26:27], -v[18:19]
	v_mul_f64 v[30:31], v[24:25], v[22:23]
	v_mul_f64 v[32:33], v[18:19], v[22:23]
.LBB51_99:                              ;   in Loop: Header=BB51_4 Depth=1
	s_or_b64 exec, exec, s[10:11]
.LBB51_100:                             ;   in Loop: Header=BB51_4 Depth=1
	s_and_saveexec_b64 s[10:11], s[0:1]
	s_xor_b64 s[0:1], exec, s[10:11]
	s_cbranch_execnz .LBB51_104
; %bb.101:                              ;   in Loop: Header=BB51_4 Depth=1
	s_or_b64 exec, exec, s[0:1]
	s_and_saveexec_b64 s[0:1], s[2:3]
	s_cbranch_execnz .LBB51_105
.LBB51_102:                             ;   in Loop: Header=BB51_4 Depth=1
	s_or_b64 exec, exec, s[0:1]
	s_and_saveexec_b64 s[0:1], s[6:7]
	s_cbranch_execnz .LBB51_106
.LBB51_103:                             ;   in Loop: Header=BB51_4 Depth=1
	s_or_b64 exec, exec, s[0:1]
	s_and_saveexec_b64 s[0:1], s[8:9]
	s_cbranch_execz .LBB51_3
	s_branch .LBB51_107
.LBB51_104:                             ;   in Loop: Header=BB51_4 Depth=1
	v_mov_b32_e32 v1, s23
	v_add_co_u32_e32 v18, vcc, s22, v58
	v_add_f64 v[4:5], v[4:5], v[86:87]
	v_add_f64 v[2:3], v[2:3], v[84:85]
	v_addc_co_u32_e32 v19, vcc, v59, v1, vcc
	global_store_dwordx4 v[18:19], v[2:5], off offset:-8
	s_or_b64 exec, exec, s[0:1]
	s_and_saveexec_b64 s[0:1], s[2:3]
	s_cbranch_execz .LBB51_102
.LBB51_105:                             ;   in Loop: Header=BB51_4 Depth=1
	v_add_f64 v[2:3], v[6:7], v[42:43]
	v_mov_b32_e32 v1, s23
	v_add_co_u32_e32 v6, vcc, s22, v52
	v_add_f64 v[4:5], v[8:9], v[44:45]
	v_addc_co_u32_e32 v7, vcc, v53, v1, vcc
	global_store_dwordx4 v[6:7], v[2:5], off
	s_or_b64 exec, exec, s[0:1]
	s_and_saveexec_b64 s[0:1], s[6:7]
	s_cbranch_execz .LBB51_103
.LBB51_106:                             ;   in Loop: Header=BB51_4 Depth=1
	v_mov_b32_e32 v1, s23
	v_add_co_u32_e32 v6, vcc, s22, v68
	v_add_f64 v[4:5], v[12:13], v[36:37]
	v_add_f64 v[2:3], v[10:11], v[34:35]
	v_addc_co_u32_e32 v7, vcc, v69, v1, vcc
	global_store_dwordx4 v[6:7], v[2:5], off
	s_or_b64 exec, exec, s[0:1]
	s_and_saveexec_b64 s[0:1], s[8:9]
	s_cbranch_execz .LBB51_3
.LBB51_107:                             ;   in Loop: Header=BB51_4 Depth=1
	v_mov_b32_e32 v1, s23
	v_add_co_u32_e32 v6, vcc, s22, v70
	v_add_f64 v[4:5], v[16:17], v[32:33]
	v_add_f64 v[2:3], v[14:15], v[30:31]
	v_addc_co_u32_e32 v7, vcc, v71, v1, vcc
	global_store_dwordx4 v[6:7], v[2:5], off offset:-8
	s_branch .LBB51_3
.LBB51_108:
	s_mov_b64 s[10:11], 0
.LBB51_109:
	s_andn2_b64 vcc, exec, s[10:11]
	s_cbranch_vccnz .LBB51_193
; %bb.110:
	v_mov_b32_e32 v49, 0
	v_lshlrev_b32_e32 v48, 2, v0
	s_mov_b32 s14, 0
	v_cmp_gt_i64_e32 vcc, s[20:21], v[48:49]
	s_and_saveexec_b64 s[0:1], vcc
	s_cbranch_execz .LBB51_193
; %bb.111:
	s_load_dword s4, s[4:5], 0xc0c
	v_cmp_neq_f64_e64 s[0:1], s[16:17], 1.0
	v_cmp_neq_f64_e64 s[2:3], s[18:19], 0
	s_or_b64 s[8:9], s[0:1], s[2:3]
	s_mov_b64 s[6:7], 0
	s_waitcnt lgkmcnt(0)
	s_and_b32 s0, s4, 0xffff
	v_add_lshl_u32 v48, v0, s0, 2
	s_lshl_b32 s15, s0, 2
	v_lshlrev_b32_e32 v50, 6, v0
	s_lshl_b32 s22, s0, 6
	s_mov_b64 s[10:11], 0xffff
	s_branch .LBB51_114
.LBB51_112:                             ;   in Loop: Header=BB51_114 Depth=1
	s_or_b64 exec, exec, s[0:1]
.LBB51_113:                             ;   in Loop: Header=BB51_114 Depth=1
	v_mov_b32_e32 v17, s42
	v_add_co_u32_e32 v16, vcc, s41, v50
	v_addc_co_u32_e32 v17, vcc, 0, v17, vcc
	v_cmp_le_i64_e32 vcc, s[20:21], v[48:49]
	v_cmp_lt_u64_e64 s[0:1], s[10:11], v[48:49]
	s_or_b64 s[0:1], vcc, s[0:1]
	s_add_u32 s33, s33, s22
	s_addc_u32 s36, s36, 0
	s_add_u32 s41, s41, s22
	s_addc_u32 s42, s42, 0
	;; [unrolled: 2-line block ×3, first 2 shown]
	s_add_u32 s39, s39, s22
	v_add_f64 v[6:7], v[6:7], v[54:55]
	v_add_f64 v[4:5], v[4:5], v[52:53]
	v_add_f64 v[0:1], v[0:1], v[28:29]
	s_addc_u32 s40, s40, 0
	v_add_f64 v[14:15], v[14:15], v[34:35]
	v_add_f64 v[12:13], v[12:13], v[32:33]
	;; [unrolled: 1-line block ×5, first 2 shown]
	global_store_dwordx4 v[16:17], v[4:7], off
	global_store_dwordx4 v[16:17], v[8:11], off offset:16
	global_store_dwordx4 v[16:17], v[12:15], off offset:32
	;; [unrolled: 1-line block ×3, first 2 shown]
	s_and_b64 s[0:1], exec, s[0:1]
	v_mov_b32_e32 v0, s14
	v_add_co_u32_e32 v48, vcc, s15, v48
	s_or_b64 s[6:7], s[0:1], s[6:7]
	v_addc_co_u32_e32 v49, vcc, v49, v0, vcc
	s_andn2_b64 exec, exec, s[6:7]
	s_cbranch_execz .LBB51_193
.LBB51_114:                             ; =>This Inner Loop Header: Depth=1
	v_mov_b32_e32 v0, s36
	v_add_co_u32_e32 v16, vcc, s33, v50
	v_addc_co_u32_e32 v17, vcc, 0, v0, vcc
	global_load_dwordx4 v[0:3], v[16:17], off offset:48
	global_load_dwordx4 v[12:15], v[16:17], off offset:32
	;; [unrolled: 1-line block ×3, first 2 shown]
	global_load_dwordx4 v[4:7], v[16:17], off
	v_mov_b32_e32 v16, s40
	v_add_co_u32_e32 v52, vcc, s39, v50
	v_addc_co_u32_e32 v53, vcc, 0, v16, vcc
	v_mov_b32_e32 v16, s38
	v_add_co_u32_e32 v54, vcc, s37, v50
	v_addc_co_u32_e32 v55, vcc, 0, v16, vcc
	global_load_dwordx4 v[36:39], v[52:53], off offset:16
	global_load_dwordx4 v[44:47], v[52:53], off
	global_load_dwordx4 v[16:19], v[54:55], off offset:48
	global_load_dwordx4 v[24:27], v[54:55], off offset:32
	;; [unrolled: 1-line block ×3, first 2 shown]
	global_load_dwordx4 v[40:43], v[54:55], off
	global_load_dwordx4 v[20:23], v[52:53], off offset:48
	global_load_dwordx4 v[28:31], v[52:53], off offset:32
	s_and_b64 vcc, exec, s[8:9]
	s_waitcnt vmcnt(6)
	v_xor_b32_e32 v51, 0x80000000, v45
	v_cmp_gt_f64_e64 s[0:1], 0, v[44:45]
	v_xor_b32_e32 v52, 0x80000000, v47
	v_cndmask_b32_e64 v59, v45, v51, s[0:1]
	v_cmp_gt_f64_e64 s[0:1], 0, v[46:47]
	v_mov_b32_e32 v58, v44
	v_mov_b32_e32 v56, v46
	v_cndmask_b32_e64 v57, v47, v52, s[0:1]
	v_cmp_ge_f64_e64 s[0:1], v[58:59], v[56:57]
	s_cbranch_vccz .LBB51_124
; %bb.115:                              ;   in Loop: Header=BB51_114 Depth=1
                                        ; implicit-def: $vgpr54_vgpr55
                                        ; implicit-def: $vgpr60_vgpr61
	s_and_saveexec_b64 s[2:3], s[0:1]
	s_xor_b64 s[4:5], exec, s[2:3]
	s_cbranch_execz .LBB51_121
; %bb.116:                              ;   in Loop: Header=BB51_114 Depth=1
	v_cmp_neq_f64_e32 vcc, 0, v[44:45]
	v_cmp_neq_f64_e64 s[2:3], 0, v[46:47]
	s_or_b64 s[2:3], vcc, s[2:3]
                                        ; implicit-def: $vgpr54_vgpr55
                                        ; implicit-def: $vgpr60_vgpr61
	s_and_saveexec_b64 s[12:13], s[2:3]
	s_xor_b64 s[2:3], exec, s[12:13]
	s_cbranch_execz .LBB51_118
; %bb.117:                              ;   in Loop: Header=BB51_114 Depth=1
	v_div_scale_f64 v[52:53], s[12:13], v[44:45], v[44:45], v[46:47]
	v_rcp_f64_e32 v[54:55], v[52:53]
	v_div_scale_f64 v[60:61], vcc, v[46:47], v[44:45], v[46:47]
	v_fma_f64 v[62:63], -v[52:53], v[54:55], 1.0
	v_fmac_f64_e32 v[54:55], v[54:55], v[62:63]
	v_fma_f64 v[62:63], -v[52:53], v[54:55], 1.0
	v_fmac_f64_e32 v[54:55], v[54:55], v[62:63]
	v_mul_f64 v[62:63], v[60:61], v[54:55]
	v_fma_f64 v[52:53], -v[52:53], v[62:63], v[60:61]
	v_div_fmas_f64 v[52:53], v[52:53], v[54:55], v[62:63]
	v_div_fixup_f64 v[52:53], v[52:53], v[44:45], v[46:47]
	v_fma_f64 v[54:55], v[46:47], v[52:53], v[44:45]
	v_div_scale_f64 v[60:61], s[12:13], v[54:55], v[54:55], 1.0
	v_rcp_f64_e32 v[62:63], v[60:61]
	v_fma_f64 v[64:65], -v[60:61], v[62:63], 1.0
	v_fmac_f64_e32 v[62:63], v[62:63], v[64:65]
	v_fma_f64 v[64:65], -v[60:61], v[62:63], 1.0
	v_fmac_f64_e32 v[62:63], v[62:63], v[64:65]
	v_div_scale_f64 v[64:65], vcc, 1.0, v[54:55], 1.0
	v_mul_f64 v[66:67], v[64:65], v[62:63]
	v_fma_f64 v[60:61], -v[60:61], v[66:67], v[64:65]
	s_nop 1
	v_div_fmas_f64 v[60:61], v[60:61], v[62:63], v[66:67]
	v_div_fixup_f64 v[54:55], v[60:61], v[54:55], 1.0
	s_waitcnt vmcnt(2)
	v_fma_f64 v[60:61], v[42:43], v[52:53], v[40:41]
	v_fma_f64 v[52:53], -v[40:41], v[52:53], v[42:43]
	v_mul_f64 v[60:61], v[60:61], v[54:55]
	v_mul_f64 v[54:55], v[52:53], v[54:55]
.LBB51_118:                             ;   in Loop: Header=BB51_114 Depth=1
	s_andn2_saveexec_b64 s[2:3], s[2:3]
	s_cbranch_execz .LBB51_120
; %bb.119:                              ;   in Loop: Header=BB51_114 Depth=1
	s_waitcnt vmcnt(2)
	v_div_scale_f64 v[52:53], s[12:13], v[58:59], v[58:59], v[40:41]
	v_rcp_f64_e32 v[54:55], v[52:53]
	v_div_scale_f64 v[64:65], s[12:13], v[56:57], v[56:57], v[42:43]
	v_div_scale_f64 v[60:61], vcc, v[40:41], v[58:59], v[40:41]
	v_fma_f64 v[62:63], -v[52:53], v[54:55], 1.0
	v_fmac_f64_e32 v[54:55], v[54:55], v[62:63]
	v_fma_f64 v[62:63], -v[52:53], v[54:55], 1.0
	v_fmac_f64_e32 v[54:55], v[54:55], v[62:63]
	v_rcp_f64_e32 v[66:67], v[64:65]
	v_mul_f64 v[62:63], v[60:61], v[54:55]
	v_fma_f64 v[52:53], -v[52:53], v[62:63], v[60:61]
	v_div_fmas_f64 v[52:53], v[52:53], v[54:55], v[62:63]
	v_div_fixup_f64 v[60:61], v[52:53], v[58:59], v[40:41]
	v_fma_f64 v[52:53], -v[64:65], v[66:67], 1.0
	v_fmac_f64_e32 v[66:67], v[66:67], v[52:53]
	v_fma_f64 v[52:53], -v[64:65], v[66:67], 1.0
	v_fmac_f64_e32 v[66:67], v[66:67], v[52:53]
	v_div_scale_f64 v[52:53], vcc, v[42:43], v[56:57], v[42:43]
	v_mul_f64 v[54:55], v[52:53], v[66:67]
	v_fma_f64 v[52:53], -v[64:65], v[54:55], v[52:53]
	s_nop 1
	v_div_fmas_f64 v[52:53], v[52:53], v[66:67], v[54:55]
	v_div_fixup_f64 v[54:55], v[52:53], v[56:57], v[42:43]
.LBB51_120:                             ;   in Loop: Header=BB51_114 Depth=1
	s_or_b64 exec, exec, s[2:3]
.LBB51_121:                             ;   in Loop: Header=BB51_114 Depth=1
	s_andn2_saveexec_b64 s[2:3], s[4:5]
	s_cbranch_execz .LBB51_123
; %bb.122:                              ;   in Loop: Header=BB51_114 Depth=1
	v_div_scale_f64 v[52:53], s[4:5], v[46:47], v[46:47], v[44:45]
	v_rcp_f64_e32 v[54:55], v[52:53]
	v_div_scale_f64 v[60:61], vcc, v[44:45], v[46:47], v[44:45]
	v_fma_f64 v[62:63], -v[52:53], v[54:55], 1.0
	v_fmac_f64_e32 v[54:55], v[54:55], v[62:63]
	v_fma_f64 v[62:63], -v[52:53], v[54:55], 1.0
	v_fmac_f64_e32 v[54:55], v[54:55], v[62:63]
	v_mul_f64 v[62:63], v[60:61], v[54:55]
	v_fma_f64 v[52:53], -v[52:53], v[62:63], v[60:61]
	v_div_fmas_f64 v[52:53], v[52:53], v[54:55], v[62:63]
	v_div_fixup_f64 v[52:53], v[52:53], v[46:47], v[44:45]
	v_fma_f64 v[54:55], v[44:45], v[52:53], v[46:47]
	v_div_scale_f64 v[60:61], s[4:5], v[54:55], v[54:55], 1.0
	v_rcp_f64_e32 v[62:63], v[60:61]
	v_fma_f64 v[64:65], -v[60:61], v[62:63], 1.0
	v_fmac_f64_e32 v[62:63], v[62:63], v[64:65]
	v_fma_f64 v[64:65], -v[60:61], v[62:63], 1.0
	v_fmac_f64_e32 v[62:63], v[62:63], v[64:65]
	v_div_scale_f64 v[64:65], vcc, 1.0, v[54:55], 1.0
	v_mul_f64 v[66:67], v[64:65], v[62:63]
	v_fma_f64 v[60:61], -v[60:61], v[66:67], v[64:65]
	s_nop 1
	v_div_fmas_f64 v[60:61], v[60:61], v[62:63], v[66:67]
	v_div_fixup_f64 v[54:55], v[60:61], v[54:55], 1.0
	s_waitcnt vmcnt(2)
	v_fma_f64 v[60:61], v[40:41], v[52:53], v[42:43]
	v_fma_f64 v[52:53], v[42:43], v[52:53], -v[40:41]
	v_mul_f64 v[60:61], v[60:61], v[54:55]
	v_mul_f64 v[54:55], v[52:53], v[54:55]
.LBB51_123:                             ;   in Loop: Header=BB51_114 Depth=1
	s_or_b64 exec, exec, s[2:3]
	v_mul_f64 v[52:53], s[18:19], v[54:55]
	v_mul_f64 v[54:55], s[16:17], v[54:55]
	v_fma_f64 v[52:53], s[16:17], v[60:61], -v[52:53]
	v_fmac_f64_e32 v[54:55], s[18:19], v[60:61]
	s_branch .LBB51_134
.LBB51_124:                             ;   in Loop: Header=BB51_114 Depth=1
                                        ; implicit-def: $vgpr54_vgpr55
                                        ; implicit-def: $vgpr52_vgpr53
	s_cbranch_execz .LBB51_134
; %bb.125:                              ;   in Loop: Header=BB51_114 Depth=1
                                        ; implicit-def: $vgpr54_vgpr55
                                        ; implicit-def: $vgpr52_vgpr53
	s_and_saveexec_b64 s[2:3], s[0:1]
	s_xor_b64 s[2:3], exec, s[2:3]
	s_cbranch_execz .LBB51_131
; %bb.126:                              ;   in Loop: Header=BB51_114 Depth=1
	v_cmp_neq_f64_e32 vcc, 0, v[44:45]
	v_cmp_neq_f64_e64 s[0:1], 0, v[46:47]
	s_or_b64 s[0:1], vcc, s[0:1]
                                        ; implicit-def: $vgpr54_vgpr55
                                        ; implicit-def: $vgpr52_vgpr53
	s_and_saveexec_b64 s[4:5], s[0:1]
	s_xor_b64 s[0:1], exec, s[4:5]
	s_cbranch_execz .LBB51_128
; %bb.127:                              ;   in Loop: Header=BB51_114 Depth=1
	v_div_scale_f64 v[52:53], s[4:5], v[44:45], v[44:45], v[46:47]
	v_rcp_f64_e32 v[54:55], v[52:53]
	v_div_scale_f64 v[56:57], vcc, v[46:47], v[44:45], v[46:47]
	v_fma_f64 v[58:59], -v[52:53], v[54:55], 1.0
	v_fmac_f64_e32 v[54:55], v[54:55], v[58:59]
	v_fma_f64 v[58:59], -v[52:53], v[54:55], 1.0
	v_fmac_f64_e32 v[54:55], v[54:55], v[58:59]
	v_mul_f64 v[58:59], v[56:57], v[54:55]
	v_fma_f64 v[52:53], -v[52:53], v[58:59], v[56:57]
	v_div_fmas_f64 v[52:53], v[52:53], v[54:55], v[58:59]
	v_div_fixup_f64 v[54:55], v[52:53], v[44:45], v[46:47]
	v_fmac_f64_e32 v[44:45], v[46:47], v[54:55]
	v_div_scale_f64 v[46:47], s[4:5], v[44:45], v[44:45], 1.0
	v_rcp_f64_e32 v[52:53], v[46:47]
	v_fma_f64 v[56:57], -v[46:47], v[52:53], 1.0
	v_fmac_f64_e32 v[52:53], v[52:53], v[56:57]
	v_fma_f64 v[56:57], -v[46:47], v[52:53], 1.0
	v_fmac_f64_e32 v[52:53], v[52:53], v[56:57]
	v_div_scale_f64 v[56:57], vcc, 1.0, v[44:45], 1.0
	v_mul_f64 v[58:59], v[56:57], v[52:53]
	v_fma_f64 v[46:47], -v[46:47], v[58:59], v[56:57]
                                        ; implicit-def: $vgpr56_vgpr57
	s_nop 1
	v_div_fmas_f64 v[46:47], v[46:47], v[52:53], v[58:59]
	v_div_fixup_f64 v[44:45], v[46:47], v[44:45], 1.0
	s_waitcnt vmcnt(2)
	v_fma_f64 v[46:47], v[42:43], v[54:55], v[40:41]
	v_fma_f64 v[40:41], -v[40:41], v[54:55], v[42:43]
	v_mul_f64 v[52:53], v[46:47], v[44:45]
	v_mul_f64 v[54:55], v[40:41], v[44:45]
                                        ; implicit-def: $vgpr58_vgpr59
                                        ; implicit-def: $vgpr40_vgpr41
.LBB51_128:                             ;   in Loop: Header=BB51_114 Depth=1
	s_andn2_saveexec_b64 s[0:1], s[0:1]
	s_cbranch_execz .LBB51_130
; %bb.129:                              ;   in Loop: Header=BB51_114 Depth=1
	s_waitcnt vmcnt(2)
	v_div_scale_f64 v[44:45], s[4:5], v[58:59], v[58:59], v[40:41]
	v_rcp_f64_e32 v[46:47], v[44:45]
	v_div_scale_f64 v[60:61], s[4:5], v[56:57], v[56:57], v[42:43]
	v_div_scale_f64 v[52:53], vcc, v[40:41], v[58:59], v[40:41]
	v_fma_f64 v[54:55], -v[44:45], v[46:47], 1.0
	v_fmac_f64_e32 v[46:47], v[46:47], v[54:55]
	v_fma_f64 v[54:55], -v[44:45], v[46:47], 1.0
	v_fmac_f64_e32 v[46:47], v[46:47], v[54:55]
	v_rcp_f64_e32 v[62:63], v[60:61]
	v_mul_f64 v[54:55], v[52:53], v[46:47]
	v_fma_f64 v[44:45], -v[44:45], v[54:55], v[52:53]
	v_div_fmas_f64 v[44:45], v[44:45], v[46:47], v[54:55]
	v_div_fixup_f64 v[52:53], v[44:45], v[58:59], v[40:41]
	v_fma_f64 v[40:41], -v[60:61], v[62:63], 1.0
	v_fmac_f64_e32 v[62:63], v[62:63], v[40:41]
	v_fma_f64 v[40:41], -v[60:61], v[62:63], 1.0
	v_fmac_f64_e32 v[62:63], v[62:63], v[40:41]
	v_div_scale_f64 v[40:41], vcc, v[42:43], v[56:57], v[42:43]
	v_mul_f64 v[44:45], v[40:41], v[62:63]
	v_fma_f64 v[40:41], -v[60:61], v[44:45], v[40:41]
	s_nop 1
	v_div_fmas_f64 v[40:41], v[40:41], v[62:63], v[44:45]
	v_div_fixup_f64 v[54:55], v[40:41], v[56:57], v[42:43]
.LBB51_130:                             ;   in Loop: Header=BB51_114 Depth=1
	s_or_b64 exec, exec, s[0:1]
                                        ; implicit-def: $vgpr46_vgpr47
                                        ; implicit-def: $vgpr40_vgpr41
.LBB51_131:                             ;   in Loop: Header=BB51_114 Depth=1
	s_andn2_saveexec_b64 s[0:1], s[2:3]
	s_cbranch_execz .LBB51_133
; %bb.132:                              ;   in Loop: Header=BB51_114 Depth=1
	v_div_scale_f64 v[52:53], s[2:3], v[46:47], v[46:47], v[44:45]
	v_rcp_f64_e32 v[54:55], v[52:53]
	v_div_scale_f64 v[56:57], vcc, v[44:45], v[46:47], v[44:45]
	v_fma_f64 v[58:59], -v[52:53], v[54:55], 1.0
	v_fmac_f64_e32 v[54:55], v[54:55], v[58:59]
	v_fma_f64 v[58:59], -v[52:53], v[54:55], 1.0
	v_fmac_f64_e32 v[54:55], v[54:55], v[58:59]
	v_mul_f64 v[58:59], v[56:57], v[54:55]
	v_fma_f64 v[52:53], -v[52:53], v[58:59], v[56:57]
	v_div_fmas_f64 v[52:53], v[52:53], v[54:55], v[58:59]
	v_div_fixup_f64 v[54:55], v[52:53], v[46:47], v[44:45]
	v_fmac_f64_e32 v[46:47], v[44:45], v[54:55]
	v_div_scale_f64 v[44:45], s[2:3], v[46:47], v[46:47], 1.0
	v_rcp_f64_e32 v[52:53], v[44:45]
	v_fma_f64 v[56:57], -v[44:45], v[52:53], 1.0
	v_fmac_f64_e32 v[52:53], v[52:53], v[56:57]
	v_fma_f64 v[56:57], -v[44:45], v[52:53], 1.0
	v_fmac_f64_e32 v[52:53], v[52:53], v[56:57]
	v_div_scale_f64 v[56:57], vcc, 1.0, v[46:47], 1.0
	v_mul_f64 v[58:59], v[56:57], v[52:53]
	v_fma_f64 v[44:45], -v[44:45], v[58:59], v[56:57]
	s_nop 1
	v_div_fmas_f64 v[44:45], v[44:45], v[52:53], v[58:59]
	v_div_fixup_f64 v[44:45], v[44:45], v[46:47], 1.0
	s_waitcnt vmcnt(2)
	v_fma_f64 v[46:47], v[40:41], v[54:55], v[42:43]
	v_fma_f64 v[40:41], v[42:43], v[54:55], -v[40:41]
	v_mul_f64 v[52:53], v[46:47], v[44:45]
	v_mul_f64 v[54:55], v[40:41], v[44:45]
.LBB51_133:                             ;   in Loop: Header=BB51_114 Depth=1
	s_or_b64 exec, exec, s[0:1]
.LBB51_134:                             ;   in Loop: Header=BB51_114 Depth=1
	s_waitcnt vmcnt(2)
	v_xor_b32_e32 v40, 0x80000000, v37
	v_cmp_gt_f64_e32 vcc, 0, v[36:37]
	v_cndmask_b32_e32 v47, v37, v40, vcc
	v_xor_b32_e32 v40, 0x80000000, v39
	v_cmp_gt_f64_e32 vcc, 0, v[38:39]
	v_mov_b32_e32 v46, v36
	v_cndmask_b32_e32 v45, v39, v40, vcc
	v_mov_b32_e32 v44, v38
	v_cndmask_b32_e64 v40, 0, 1, s[8:9]
	v_cmp_ne_u32_e64 s[0:1], 1, v40
	s_andn2_b64 vcc, exec, s[8:9]
	v_cmp_ge_f64_e64 s[2:3], v[46:47], v[44:45]
	s_cbranch_vccnz .LBB51_144
; %bb.135:                              ;   in Loop: Header=BB51_114 Depth=1
                                        ; implicit-def: $vgpr42_vgpr43
                                        ; implicit-def: $vgpr56_vgpr57
	s_and_saveexec_b64 s[4:5], s[2:3]
	s_xor_b64 s[12:13], exec, s[4:5]
	s_cbranch_execz .LBB51_141
; %bb.136:                              ;   in Loop: Header=BB51_114 Depth=1
	v_cmp_neq_f64_e32 vcc, 0, v[36:37]
	v_cmp_neq_f64_e64 s[4:5], 0, v[38:39]
	s_or_b64 s[4:5], vcc, s[4:5]
                                        ; implicit-def: $vgpr42_vgpr43
                                        ; implicit-def: $vgpr56_vgpr57
	s_and_saveexec_b64 s[24:25], s[4:5]
	s_xor_b64 s[4:5], exec, s[24:25]
	s_cbranch_execz .LBB51_138
; %bb.137:                              ;   in Loop: Header=BB51_114 Depth=1
	v_div_scale_f64 v[40:41], s[24:25], v[36:37], v[36:37], v[38:39]
	v_rcp_f64_e32 v[42:43], v[40:41]
	v_div_scale_f64 v[56:57], vcc, v[38:39], v[36:37], v[38:39]
	v_fma_f64 v[58:59], -v[40:41], v[42:43], 1.0
	v_fmac_f64_e32 v[42:43], v[42:43], v[58:59]
	v_fma_f64 v[58:59], -v[40:41], v[42:43], 1.0
	v_fmac_f64_e32 v[42:43], v[42:43], v[58:59]
	v_mul_f64 v[58:59], v[56:57], v[42:43]
	v_fma_f64 v[40:41], -v[40:41], v[58:59], v[56:57]
	v_div_fmas_f64 v[40:41], v[40:41], v[42:43], v[58:59]
	v_div_fixup_f64 v[40:41], v[40:41], v[36:37], v[38:39]
	v_fma_f64 v[42:43], v[38:39], v[40:41], v[36:37]
	v_div_scale_f64 v[56:57], s[24:25], v[42:43], v[42:43], 1.0
	v_rcp_f64_e32 v[58:59], v[56:57]
	v_fma_f64 v[60:61], -v[56:57], v[58:59], 1.0
	v_fmac_f64_e32 v[58:59], v[58:59], v[60:61]
	v_fma_f64 v[60:61], -v[56:57], v[58:59], 1.0
	v_fmac_f64_e32 v[58:59], v[58:59], v[60:61]
	v_div_scale_f64 v[60:61], vcc, 1.0, v[42:43], 1.0
	v_mul_f64 v[62:63], v[60:61], v[58:59]
	v_fma_f64 v[56:57], -v[56:57], v[62:63], v[60:61]
	s_nop 1
	v_div_fmas_f64 v[56:57], v[56:57], v[58:59], v[62:63]
	v_div_fixup_f64 v[42:43], v[56:57], v[42:43], 1.0
	v_fma_f64 v[56:57], v[34:35], v[40:41], v[32:33]
	v_fma_f64 v[40:41], -v[32:33], v[40:41], v[34:35]
	v_mul_f64 v[56:57], v[56:57], v[42:43]
	v_mul_f64 v[42:43], v[40:41], v[42:43]
.LBB51_138:                             ;   in Loop: Header=BB51_114 Depth=1
	s_andn2_saveexec_b64 s[4:5], s[4:5]
	s_cbranch_execz .LBB51_140
; %bb.139:                              ;   in Loop: Header=BB51_114 Depth=1
	v_div_scale_f64 v[40:41], s[24:25], v[46:47], v[46:47], v[32:33]
	v_rcp_f64_e32 v[42:43], v[40:41]
	v_div_scale_f64 v[60:61], s[24:25], v[44:45], v[44:45], v[34:35]
	v_div_scale_f64 v[56:57], vcc, v[32:33], v[46:47], v[32:33]
	v_fma_f64 v[58:59], -v[40:41], v[42:43], 1.0
	v_fmac_f64_e32 v[42:43], v[42:43], v[58:59]
	v_fma_f64 v[58:59], -v[40:41], v[42:43], 1.0
	v_fmac_f64_e32 v[42:43], v[42:43], v[58:59]
	v_rcp_f64_e32 v[62:63], v[60:61]
	v_mul_f64 v[58:59], v[56:57], v[42:43]
	v_fma_f64 v[40:41], -v[40:41], v[58:59], v[56:57]
	v_div_fmas_f64 v[40:41], v[40:41], v[42:43], v[58:59]
	v_div_fixup_f64 v[56:57], v[40:41], v[46:47], v[32:33]
	v_fma_f64 v[40:41], -v[60:61], v[62:63], 1.0
	v_fmac_f64_e32 v[62:63], v[62:63], v[40:41]
	v_fma_f64 v[40:41], -v[60:61], v[62:63], 1.0
	v_fmac_f64_e32 v[62:63], v[62:63], v[40:41]
	v_div_scale_f64 v[40:41], vcc, v[34:35], v[44:45], v[34:35]
	v_mul_f64 v[42:43], v[40:41], v[62:63]
	v_fma_f64 v[40:41], -v[60:61], v[42:43], v[40:41]
	s_nop 1
	v_div_fmas_f64 v[40:41], v[40:41], v[62:63], v[42:43]
	v_div_fixup_f64 v[42:43], v[40:41], v[44:45], v[34:35]
.LBB51_140:                             ;   in Loop: Header=BB51_114 Depth=1
	s_or_b64 exec, exec, s[4:5]
.LBB51_141:                             ;   in Loop: Header=BB51_114 Depth=1
	s_andn2_saveexec_b64 s[4:5], s[12:13]
	s_cbranch_execz .LBB51_143
; %bb.142:                              ;   in Loop: Header=BB51_114 Depth=1
	v_div_scale_f64 v[40:41], s[12:13], v[38:39], v[38:39], v[36:37]
	v_rcp_f64_e32 v[42:43], v[40:41]
	v_div_scale_f64 v[56:57], vcc, v[36:37], v[38:39], v[36:37]
	v_fma_f64 v[58:59], -v[40:41], v[42:43], 1.0
	v_fmac_f64_e32 v[42:43], v[42:43], v[58:59]
	v_fma_f64 v[58:59], -v[40:41], v[42:43], 1.0
	v_fmac_f64_e32 v[42:43], v[42:43], v[58:59]
	v_mul_f64 v[58:59], v[56:57], v[42:43]
	v_fma_f64 v[40:41], -v[40:41], v[58:59], v[56:57]
	v_div_fmas_f64 v[40:41], v[40:41], v[42:43], v[58:59]
	v_div_fixup_f64 v[40:41], v[40:41], v[38:39], v[36:37]
	v_fma_f64 v[42:43], v[36:37], v[40:41], v[38:39]
	v_div_scale_f64 v[56:57], s[12:13], v[42:43], v[42:43], 1.0
	v_rcp_f64_e32 v[58:59], v[56:57]
	v_fma_f64 v[60:61], -v[56:57], v[58:59], 1.0
	v_fmac_f64_e32 v[58:59], v[58:59], v[60:61]
	v_fma_f64 v[60:61], -v[56:57], v[58:59], 1.0
	v_fmac_f64_e32 v[58:59], v[58:59], v[60:61]
	v_div_scale_f64 v[60:61], vcc, 1.0, v[42:43], 1.0
	v_mul_f64 v[62:63], v[60:61], v[58:59]
	v_fma_f64 v[56:57], -v[56:57], v[62:63], v[60:61]
	s_nop 1
	v_div_fmas_f64 v[56:57], v[56:57], v[58:59], v[62:63]
	v_div_fixup_f64 v[42:43], v[56:57], v[42:43], 1.0
	v_fma_f64 v[56:57], v[32:33], v[40:41], v[34:35]
	v_fma_f64 v[40:41], v[34:35], v[40:41], -v[32:33]
	v_mul_f64 v[56:57], v[56:57], v[42:43]
	v_mul_f64 v[42:43], v[40:41], v[42:43]
.LBB51_143:                             ;   in Loop: Header=BB51_114 Depth=1
	s_or_b64 exec, exec, s[4:5]
	v_mul_f64 v[40:41], s[18:19], v[42:43]
	v_mul_f64 v[42:43], s[16:17], v[42:43]
	v_fma_f64 v[40:41], s[16:17], v[56:57], -v[40:41]
	v_fmac_f64_e32 v[42:43], s[18:19], v[56:57]
	s_branch .LBB51_154
.LBB51_144:                             ;   in Loop: Header=BB51_114 Depth=1
                                        ; implicit-def: $vgpr42_vgpr43
                                        ; implicit-def: $vgpr40_vgpr41
	s_cbranch_execz .LBB51_154
; %bb.145:                              ;   in Loop: Header=BB51_114 Depth=1
                                        ; implicit-def: $vgpr42_vgpr43
                                        ; implicit-def: $vgpr40_vgpr41
	s_and_saveexec_b64 s[4:5], s[2:3]
	s_xor_b64 s[4:5], exec, s[4:5]
	s_cbranch_execz .LBB51_151
; %bb.146:                              ;   in Loop: Header=BB51_114 Depth=1
	v_cmp_neq_f64_e32 vcc, 0, v[36:37]
	v_cmp_neq_f64_e64 s[2:3], 0, v[38:39]
	s_or_b64 s[2:3], vcc, s[2:3]
                                        ; implicit-def: $vgpr42_vgpr43
                                        ; implicit-def: $vgpr40_vgpr41
	s_and_saveexec_b64 s[12:13], s[2:3]
	s_xor_b64 s[2:3], exec, s[12:13]
	s_cbranch_execz .LBB51_148
; %bb.147:                              ;   in Loop: Header=BB51_114 Depth=1
	v_div_scale_f64 v[40:41], s[12:13], v[36:37], v[36:37], v[38:39]
	v_rcp_f64_e32 v[42:43], v[40:41]
	v_div_scale_f64 v[44:45], vcc, v[38:39], v[36:37], v[38:39]
	v_fma_f64 v[46:47], -v[40:41], v[42:43], 1.0
	v_fmac_f64_e32 v[42:43], v[42:43], v[46:47]
	v_fma_f64 v[46:47], -v[40:41], v[42:43], 1.0
	v_fmac_f64_e32 v[42:43], v[42:43], v[46:47]
	v_mul_f64 v[46:47], v[44:45], v[42:43]
	v_fma_f64 v[40:41], -v[40:41], v[46:47], v[44:45]
	v_div_fmas_f64 v[40:41], v[40:41], v[42:43], v[46:47]
	v_div_fixup_f64 v[42:43], v[40:41], v[36:37], v[38:39]
	v_fmac_f64_e32 v[36:37], v[38:39], v[42:43]
	v_div_scale_f64 v[38:39], s[12:13], v[36:37], v[36:37], 1.0
	v_rcp_f64_e32 v[40:41], v[38:39]
	v_fma_f64 v[44:45], -v[38:39], v[40:41], 1.0
	v_fmac_f64_e32 v[40:41], v[40:41], v[44:45]
	v_fma_f64 v[44:45], -v[38:39], v[40:41], 1.0
	v_fmac_f64_e32 v[40:41], v[40:41], v[44:45]
	v_div_scale_f64 v[44:45], vcc, 1.0, v[36:37], 1.0
	v_mul_f64 v[46:47], v[44:45], v[40:41]
	v_fma_f64 v[38:39], -v[38:39], v[46:47], v[44:45]
                                        ; implicit-def: $vgpr44_vgpr45
	s_nop 1
	v_div_fmas_f64 v[38:39], v[38:39], v[40:41], v[46:47]
	v_div_fixup_f64 v[36:37], v[38:39], v[36:37], 1.0
	v_fma_f64 v[38:39], v[34:35], v[42:43], v[32:33]
	v_fma_f64 v[32:33], -v[32:33], v[42:43], v[34:35]
	v_mul_f64 v[40:41], v[38:39], v[36:37]
	v_mul_f64 v[42:43], v[32:33], v[36:37]
                                        ; implicit-def: $vgpr46_vgpr47
                                        ; implicit-def: $vgpr32_vgpr33
.LBB51_148:                             ;   in Loop: Header=BB51_114 Depth=1
	s_andn2_saveexec_b64 s[2:3], s[2:3]
	s_cbranch_execz .LBB51_150
; %bb.149:                              ;   in Loop: Header=BB51_114 Depth=1
	v_div_scale_f64 v[36:37], s[12:13], v[46:47], v[46:47], v[32:33]
	v_rcp_f64_e32 v[38:39], v[36:37]
	v_div_scale_f64 v[56:57], s[12:13], v[44:45], v[44:45], v[34:35]
	v_div_scale_f64 v[40:41], vcc, v[32:33], v[46:47], v[32:33]
	v_fma_f64 v[42:43], -v[36:37], v[38:39], 1.0
	v_fmac_f64_e32 v[38:39], v[38:39], v[42:43]
	v_fma_f64 v[42:43], -v[36:37], v[38:39], 1.0
	v_fmac_f64_e32 v[38:39], v[38:39], v[42:43]
	v_rcp_f64_e32 v[58:59], v[56:57]
	v_mul_f64 v[42:43], v[40:41], v[38:39]
	v_fma_f64 v[36:37], -v[36:37], v[42:43], v[40:41]
	v_div_fmas_f64 v[36:37], v[36:37], v[38:39], v[42:43]
	v_div_fixup_f64 v[40:41], v[36:37], v[46:47], v[32:33]
	v_fma_f64 v[32:33], -v[56:57], v[58:59], 1.0
	v_fmac_f64_e32 v[58:59], v[58:59], v[32:33]
	v_fma_f64 v[32:33], -v[56:57], v[58:59], 1.0
	v_fmac_f64_e32 v[58:59], v[58:59], v[32:33]
	v_div_scale_f64 v[32:33], vcc, v[34:35], v[44:45], v[34:35]
	v_mul_f64 v[36:37], v[32:33], v[58:59]
	v_fma_f64 v[32:33], -v[56:57], v[36:37], v[32:33]
	s_nop 1
	v_div_fmas_f64 v[32:33], v[32:33], v[58:59], v[36:37]
	v_div_fixup_f64 v[42:43], v[32:33], v[44:45], v[34:35]
.LBB51_150:                             ;   in Loop: Header=BB51_114 Depth=1
	s_or_b64 exec, exec, s[2:3]
                                        ; implicit-def: $vgpr38_vgpr39
                                        ; implicit-def: $vgpr32_vgpr33
.LBB51_151:                             ;   in Loop: Header=BB51_114 Depth=1
	s_andn2_saveexec_b64 s[2:3], s[4:5]
	s_cbranch_execz .LBB51_153
; %bb.152:                              ;   in Loop: Header=BB51_114 Depth=1
	v_div_scale_f64 v[40:41], s[4:5], v[38:39], v[38:39], v[36:37]
	v_rcp_f64_e32 v[42:43], v[40:41]
	v_div_scale_f64 v[44:45], vcc, v[36:37], v[38:39], v[36:37]
	v_fma_f64 v[46:47], -v[40:41], v[42:43], 1.0
	v_fmac_f64_e32 v[42:43], v[42:43], v[46:47]
	v_fma_f64 v[46:47], -v[40:41], v[42:43], 1.0
	v_fmac_f64_e32 v[42:43], v[42:43], v[46:47]
	v_mul_f64 v[46:47], v[44:45], v[42:43]
	v_fma_f64 v[40:41], -v[40:41], v[46:47], v[44:45]
	v_div_fmas_f64 v[40:41], v[40:41], v[42:43], v[46:47]
	v_div_fixup_f64 v[42:43], v[40:41], v[38:39], v[36:37]
	v_fmac_f64_e32 v[38:39], v[36:37], v[42:43]
	v_div_scale_f64 v[36:37], s[4:5], v[38:39], v[38:39], 1.0
	v_rcp_f64_e32 v[40:41], v[36:37]
	v_fma_f64 v[44:45], -v[36:37], v[40:41], 1.0
	v_fmac_f64_e32 v[40:41], v[40:41], v[44:45]
	v_fma_f64 v[44:45], -v[36:37], v[40:41], 1.0
	v_fmac_f64_e32 v[40:41], v[40:41], v[44:45]
	v_div_scale_f64 v[44:45], vcc, 1.0, v[38:39], 1.0
	v_mul_f64 v[46:47], v[44:45], v[40:41]
	v_fma_f64 v[36:37], -v[36:37], v[46:47], v[44:45]
	s_nop 1
	v_div_fmas_f64 v[36:37], v[36:37], v[40:41], v[46:47]
	v_div_fixup_f64 v[36:37], v[36:37], v[38:39], 1.0
	v_fma_f64 v[38:39], v[32:33], v[42:43], v[34:35]
	v_fma_f64 v[32:33], v[34:35], v[42:43], -v[32:33]
	v_mul_f64 v[40:41], v[38:39], v[36:37]
	v_mul_f64 v[42:43], v[32:33], v[36:37]
.LBB51_153:                             ;   in Loop: Header=BB51_114 Depth=1
	s_or_b64 exec, exec, s[2:3]
.LBB51_154:                             ;   in Loop: Header=BB51_114 Depth=1
	s_waitcnt vmcnt(0)
	v_xor_b32_e32 v32, 0x80000000, v29
	v_cmp_gt_f64_e32 vcc, 0, v[28:29]
	v_cndmask_b32_e32 v39, v29, v32, vcc
	v_xor_b32_e32 v32, 0x80000000, v31
	v_cmp_gt_f64_e32 vcc, 0, v[30:31]
	v_mov_b32_e32 v38, v28
	v_cndmask_b32_e32 v37, v31, v32, vcc
	v_mov_b32_e32 v36, v30
	s_and_b64 vcc, exec, s[0:1]
	v_cmp_ge_f64_e64 s[2:3], v[38:39], v[36:37]
	s_cbranch_vccnz .LBB51_164
; %bb.155:                              ;   in Loop: Header=BB51_114 Depth=1
                                        ; implicit-def: $vgpr34_vgpr35
                                        ; implicit-def: $vgpr44_vgpr45
	s_and_saveexec_b64 s[4:5], s[2:3]
	s_xor_b64 s[12:13], exec, s[4:5]
	s_cbranch_execz .LBB51_161
; %bb.156:                              ;   in Loop: Header=BB51_114 Depth=1
	v_cmp_neq_f64_e32 vcc, 0, v[28:29]
	v_cmp_neq_f64_e64 s[4:5], 0, v[30:31]
	s_or_b64 s[4:5], vcc, s[4:5]
                                        ; implicit-def: $vgpr34_vgpr35
                                        ; implicit-def: $vgpr44_vgpr45
	s_and_saveexec_b64 s[24:25], s[4:5]
	s_xor_b64 s[4:5], exec, s[24:25]
	s_cbranch_execz .LBB51_158
; %bb.157:                              ;   in Loop: Header=BB51_114 Depth=1
	v_div_scale_f64 v[32:33], s[24:25], v[28:29], v[28:29], v[30:31]
	v_rcp_f64_e32 v[34:35], v[32:33]
	v_div_scale_f64 v[44:45], vcc, v[30:31], v[28:29], v[30:31]
	v_fma_f64 v[46:47], -v[32:33], v[34:35], 1.0
	v_fmac_f64_e32 v[34:35], v[34:35], v[46:47]
	v_fma_f64 v[46:47], -v[32:33], v[34:35], 1.0
	v_fmac_f64_e32 v[34:35], v[34:35], v[46:47]
	v_mul_f64 v[46:47], v[44:45], v[34:35]
	v_fma_f64 v[32:33], -v[32:33], v[46:47], v[44:45]
	v_div_fmas_f64 v[32:33], v[32:33], v[34:35], v[46:47]
	v_div_fixup_f64 v[32:33], v[32:33], v[28:29], v[30:31]
	v_fma_f64 v[34:35], v[30:31], v[32:33], v[28:29]
	v_div_scale_f64 v[44:45], s[24:25], v[34:35], v[34:35], 1.0
	v_rcp_f64_e32 v[46:47], v[44:45]
	v_fma_f64 v[56:57], -v[44:45], v[46:47], 1.0
	v_fmac_f64_e32 v[46:47], v[46:47], v[56:57]
	v_fma_f64 v[56:57], -v[44:45], v[46:47], 1.0
	v_fmac_f64_e32 v[46:47], v[46:47], v[56:57]
	v_div_scale_f64 v[56:57], vcc, 1.0, v[34:35], 1.0
	v_mul_f64 v[58:59], v[56:57], v[46:47]
	v_fma_f64 v[44:45], -v[44:45], v[58:59], v[56:57]
	s_nop 1
	v_div_fmas_f64 v[44:45], v[44:45], v[46:47], v[58:59]
	v_div_fixup_f64 v[34:35], v[44:45], v[34:35], 1.0
	v_fma_f64 v[44:45], v[26:27], v[32:33], v[24:25]
	v_fma_f64 v[32:33], -v[24:25], v[32:33], v[26:27]
	v_mul_f64 v[44:45], v[44:45], v[34:35]
	v_mul_f64 v[34:35], v[32:33], v[34:35]
.LBB51_158:                             ;   in Loop: Header=BB51_114 Depth=1
	s_andn2_saveexec_b64 s[4:5], s[4:5]
	s_cbranch_execz .LBB51_160
; %bb.159:                              ;   in Loop: Header=BB51_114 Depth=1
	v_div_scale_f64 v[32:33], s[24:25], v[38:39], v[38:39], v[24:25]
	v_rcp_f64_e32 v[34:35], v[32:33]
	v_div_scale_f64 v[56:57], s[24:25], v[36:37], v[36:37], v[26:27]
	v_div_scale_f64 v[44:45], vcc, v[24:25], v[38:39], v[24:25]
	v_fma_f64 v[46:47], -v[32:33], v[34:35], 1.0
	v_fmac_f64_e32 v[34:35], v[34:35], v[46:47]
	v_fma_f64 v[46:47], -v[32:33], v[34:35], 1.0
	v_fmac_f64_e32 v[34:35], v[34:35], v[46:47]
	v_rcp_f64_e32 v[58:59], v[56:57]
	v_mul_f64 v[46:47], v[44:45], v[34:35]
	v_fma_f64 v[32:33], -v[32:33], v[46:47], v[44:45]
	v_div_fmas_f64 v[32:33], v[32:33], v[34:35], v[46:47]
	v_div_fixup_f64 v[44:45], v[32:33], v[38:39], v[24:25]
	v_fma_f64 v[32:33], -v[56:57], v[58:59], 1.0
	v_fmac_f64_e32 v[58:59], v[58:59], v[32:33]
	v_fma_f64 v[32:33], -v[56:57], v[58:59], 1.0
	v_fmac_f64_e32 v[58:59], v[58:59], v[32:33]
	v_div_scale_f64 v[32:33], vcc, v[26:27], v[36:37], v[26:27]
	v_mul_f64 v[34:35], v[32:33], v[58:59]
	v_fma_f64 v[32:33], -v[56:57], v[34:35], v[32:33]
	s_nop 1
	v_div_fmas_f64 v[32:33], v[32:33], v[58:59], v[34:35]
	v_div_fixup_f64 v[34:35], v[32:33], v[36:37], v[26:27]
.LBB51_160:                             ;   in Loop: Header=BB51_114 Depth=1
	s_or_b64 exec, exec, s[4:5]
.LBB51_161:                             ;   in Loop: Header=BB51_114 Depth=1
	s_andn2_saveexec_b64 s[4:5], s[12:13]
	s_cbranch_execz .LBB51_163
; %bb.162:                              ;   in Loop: Header=BB51_114 Depth=1
	v_div_scale_f64 v[32:33], s[12:13], v[30:31], v[30:31], v[28:29]
	v_rcp_f64_e32 v[34:35], v[32:33]
	v_div_scale_f64 v[44:45], vcc, v[28:29], v[30:31], v[28:29]
	v_fma_f64 v[46:47], -v[32:33], v[34:35], 1.0
	v_fmac_f64_e32 v[34:35], v[34:35], v[46:47]
	v_fma_f64 v[46:47], -v[32:33], v[34:35], 1.0
	v_fmac_f64_e32 v[34:35], v[34:35], v[46:47]
	v_mul_f64 v[46:47], v[44:45], v[34:35]
	v_fma_f64 v[32:33], -v[32:33], v[46:47], v[44:45]
	v_div_fmas_f64 v[32:33], v[32:33], v[34:35], v[46:47]
	v_div_fixup_f64 v[32:33], v[32:33], v[30:31], v[28:29]
	v_fma_f64 v[34:35], v[28:29], v[32:33], v[30:31]
	v_div_scale_f64 v[44:45], s[12:13], v[34:35], v[34:35], 1.0
	v_rcp_f64_e32 v[46:47], v[44:45]
	v_fma_f64 v[56:57], -v[44:45], v[46:47], 1.0
	v_fmac_f64_e32 v[46:47], v[46:47], v[56:57]
	v_fma_f64 v[56:57], -v[44:45], v[46:47], 1.0
	v_fmac_f64_e32 v[46:47], v[46:47], v[56:57]
	v_div_scale_f64 v[56:57], vcc, 1.0, v[34:35], 1.0
	v_mul_f64 v[58:59], v[56:57], v[46:47]
	v_fma_f64 v[44:45], -v[44:45], v[58:59], v[56:57]
	s_nop 1
	v_div_fmas_f64 v[44:45], v[44:45], v[46:47], v[58:59]
	v_div_fixup_f64 v[34:35], v[44:45], v[34:35], 1.0
	v_fma_f64 v[44:45], v[24:25], v[32:33], v[26:27]
	v_fma_f64 v[32:33], v[26:27], v[32:33], -v[24:25]
	v_mul_f64 v[44:45], v[44:45], v[34:35]
	v_mul_f64 v[34:35], v[32:33], v[34:35]
.LBB51_163:                             ;   in Loop: Header=BB51_114 Depth=1
	s_or_b64 exec, exec, s[4:5]
	v_mul_f64 v[32:33], s[18:19], v[34:35]
	v_mul_f64 v[34:35], s[16:17], v[34:35]
	v_fma_f64 v[32:33], s[16:17], v[44:45], -v[32:33]
	v_fmac_f64_e32 v[34:35], s[18:19], v[44:45]
	s_branch .LBB51_174
.LBB51_164:                             ;   in Loop: Header=BB51_114 Depth=1
                                        ; implicit-def: $vgpr34_vgpr35
                                        ; implicit-def: $vgpr32_vgpr33
	s_cbranch_execz .LBB51_174
; %bb.165:                              ;   in Loop: Header=BB51_114 Depth=1
                                        ; implicit-def: $vgpr34_vgpr35
                                        ; implicit-def: $vgpr32_vgpr33
	s_and_saveexec_b64 s[4:5], s[2:3]
	s_xor_b64 s[4:5], exec, s[4:5]
	s_cbranch_execz .LBB51_171
; %bb.166:                              ;   in Loop: Header=BB51_114 Depth=1
	v_cmp_neq_f64_e32 vcc, 0, v[28:29]
	v_cmp_neq_f64_e64 s[2:3], 0, v[30:31]
	s_or_b64 s[2:3], vcc, s[2:3]
                                        ; implicit-def: $vgpr34_vgpr35
                                        ; implicit-def: $vgpr32_vgpr33
	s_and_saveexec_b64 s[12:13], s[2:3]
	s_xor_b64 s[2:3], exec, s[12:13]
	s_cbranch_execz .LBB51_168
; %bb.167:                              ;   in Loop: Header=BB51_114 Depth=1
	v_div_scale_f64 v[32:33], s[12:13], v[28:29], v[28:29], v[30:31]
	v_rcp_f64_e32 v[34:35], v[32:33]
	v_div_scale_f64 v[36:37], vcc, v[30:31], v[28:29], v[30:31]
	v_fma_f64 v[38:39], -v[32:33], v[34:35], 1.0
	v_fmac_f64_e32 v[34:35], v[34:35], v[38:39]
	v_fma_f64 v[38:39], -v[32:33], v[34:35], 1.0
	v_fmac_f64_e32 v[34:35], v[34:35], v[38:39]
	v_mul_f64 v[38:39], v[36:37], v[34:35]
	v_fma_f64 v[32:33], -v[32:33], v[38:39], v[36:37]
	v_div_fmas_f64 v[32:33], v[32:33], v[34:35], v[38:39]
	v_div_fixup_f64 v[34:35], v[32:33], v[28:29], v[30:31]
	v_fmac_f64_e32 v[28:29], v[30:31], v[34:35]
	v_div_scale_f64 v[30:31], s[12:13], v[28:29], v[28:29], 1.0
	v_rcp_f64_e32 v[32:33], v[30:31]
	v_fma_f64 v[36:37], -v[30:31], v[32:33], 1.0
	v_fmac_f64_e32 v[32:33], v[32:33], v[36:37]
	v_fma_f64 v[36:37], -v[30:31], v[32:33], 1.0
	v_fmac_f64_e32 v[32:33], v[32:33], v[36:37]
	v_div_scale_f64 v[36:37], vcc, 1.0, v[28:29], 1.0
	v_mul_f64 v[38:39], v[36:37], v[32:33]
	v_fma_f64 v[30:31], -v[30:31], v[38:39], v[36:37]
                                        ; implicit-def: $vgpr36_vgpr37
	s_nop 1
	v_div_fmas_f64 v[30:31], v[30:31], v[32:33], v[38:39]
	v_div_fixup_f64 v[28:29], v[30:31], v[28:29], 1.0
	v_fma_f64 v[30:31], v[26:27], v[34:35], v[24:25]
	v_fma_f64 v[24:25], -v[24:25], v[34:35], v[26:27]
	v_mul_f64 v[32:33], v[30:31], v[28:29]
	v_mul_f64 v[34:35], v[24:25], v[28:29]
                                        ; implicit-def: $vgpr38_vgpr39
                                        ; implicit-def: $vgpr24_vgpr25
.LBB51_168:                             ;   in Loop: Header=BB51_114 Depth=1
	s_andn2_saveexec_b64 s[2:3], s[2:3]
	s_cbranch_execz .LBB51_170
; %bb.169:                              ;   in Loop: Header=BB51_114 Depth=1
	v_div_scale_f64 v[28:29], s[12:13], v[38:39], v[38:39], v[24:25]
	v_rcp_f64_e32 v[30:31], v[28:29]
	v_div_scale_f64 v[44:45], s[12:13], v[36:37], v[36:37], v[26:27]
	v_div_scale_f64 v[32:33], vcc, v[24:25], v[38:39], v[24:25]
	v_fma_f64 v[34:35], -v[28:29], v[30:31], 1.0
	v_fmac_f64_e32 v[30:31], v[30:31], v[34:35]
	v_fma_f64 v[34:35], -v[28:29], v[30:31], 1.0
	v_fmac_f64_e32 v[30:31], v[30:31], v[34:35]
	v_rcp_f64_e32 v[46:47], v[44:45]
	v_mul_f64 v[34:35], v[32:33], v[30:31]
	v_fma_f64 v[28:29], -v[28:29], v[34:35], v[32:33]
	v_div_fmas_f64 v[28:29], v[28:29], v[30:31], v[34:35]
	v_div_fixup_f64 v[32:33], v[28:29], v[38:39], v[24:25]
	v_fma_f64 v[24:25], -v[44:45], v[46:47], 1.0
	v_fmac_f64_e32 v[46:47], v[46:47], v[24:25]
	v_fma_f64 v[24:25], -v[44:45], v[46:47], 1.0
	v_fmac_f64_e32 v[46:47], v[46:47], v[24:25]
	v_div_scale_f64 v[24:25], vcc, v[26:27], v[36:37], v[26:27]
	v_mul_f64 v[28:29], v[24:25], v[46:47]
	v_fma_f64 v[24:25], -v[44:45], v[28:29], v[24:25]
	s_nop 1
	v_div_fmas_f64 v[24:25], v[24:25], v[46:47], v[28:29]
	v_div_fixup_f64 v[34:35], v[24:25], v[36:37], v[26:27]
.LBB51_170:                             ;   in Loop: Header=BB51_114 Depth=1
	s_or_b64 exec, exec, s[2:3]
                                        ; implicit-def: $vgpr30_vgpr31
                                        ; implicit-def: $vgpr24_vgpr25
.LBB51_171:                             ;   in Loop: Header=BB51_114 Depth=1
	s_andn2_saveexec_b64 s[2:3], s[4:5]
	s_cbranch_execz .LBB51_173
; %bb.172:                              ;   in Loop: Header=BB51_114 Depth=1
	v_div_scale_f64 v[32:33], s[4:5], v[30:31], v[30:31], v[28:29]
	v_rcp_f64_e32 v[34:35], v[32:33]
	v_div_scale_f64 v[36:37], vcc, v[28:29], v[30:31], v[28:29]
	v_fma_f64 v[38:39], -v[32:33], v[34:35], 1.0
	v_fmac_f64_e32 v[34:35], v[34:35], v[38:39]
	v_fma_f64 v[38:39], -v[32:33], v[34:35], 1.0
	v_fmac_f64_e32 v[34:35], v[34:35], v[38:39]
	v_mul_f64 v[38:39], v[36:37], v[34:35]
	v_fma_f64 v[32:33], -v[32:33], v[38:39], v[36:37]
	v_div_fmas_f64 v[32:33], v[32:33], v[34:35], v[38:39]
	v_div_fixup_f64 v[34:35], v[32:33], v[30:31], v[28:29]
	v_fmac_f64_e32 v[30:31], v[28:29], v[34:35]
	v_div_scale_f64 v[28:29], s[4:5], v[30:31], v[30:31], 1.0
	v_rcp_f64_e32 v[32:33], v[28:29]
	v_fma_f64 v[36:37], -v[28:29], v[32:33], 1.0
	v_fmac_f64_e32 v[32:33], v[32:33], v[36:37]
	v_fma_f64 v[36:37], -v[28:29], v[32:33], 1.0
	v_fmac_f64_e32 v[32:33], v[32:33], v[36:37]
	v_div_scale_f64 v[36:37], vcc, 1.0, v[30:31], 1.0
	v_mul_f64 v[38:39], v[36:37], v[32:33]
	v_fma_f64 v[28:29], -v[28:29], v[38:39], v[36:37]
	s_nop 1
	v_div_fmas_f64 v[28:29], v[28:29], v[32:33], v[38:39]
	v_div_fixup_f64 v[28:29], v[28:29], v[30:31], 1.0
	v_fma_f64 v[30:31], v[24:25], v[34:35], v[26:27]
	v_fma_f64 v[24:25], v[26:27], v[34:35], -v[24:25]
	v_mul_f64 v[32:33], v[30:31], v[28:29]
	v_mul_f64 v[34:35], v[24:25], v[28:29]
.LBB51_173:                             ;   in Loop: Header=BB51_114 Depth=1
	s_or_b64 exec, exec, s[2:3]
.LBB51_174:                             ;   in Loop: Header=BB51_114 Depth=1
	v_xor_b32_e32 v24, 0x80000000, v21
	v_cmp_gt_f64_e32 vcc, 0, v[20:21]
	v_cndmask_b32_e32 v27, v21, v24, vcc
	v_xor_b32_e32 v24, 0x80000000, v23
	v_cmp_gt_f64_e32 vcc, 0, v[22:23]
	v_mov_b32_e32 v26, v20
	v_cndmask_b32_e32 v25, v23, v24, vcc
	v_mov_b32_e32 v24, v22
	s_and_b64 vcc, exec, s[0:1]
	v_cmp_ge_f64_e64 s[0:1], v[26:27], v[24:25]
	s_cbranch_vccnz .LBB51_184
; %bb.175:                              ;   in Loop: Header=BB51_114 Depth=1
                                        ; implicit-def: $vgpr30_vgpr31
                                        ; implicit-def: $vgpr36_vgpr37
	s_and_saveexec_b64 s[2:3], s[0:1]
	s_xor_b64 s[4:5], exec, s[2:3]
	s_cbranch_execz .LBB51_181
; %bb.176:                              ;   in Loop: Header=BB51_114 Depth=1
	v_cmp_neq_f64_e32 vcc, 0, v[20:21]
	v_cmp_neq_f64_e64 s[2:3], 0, v[22:23]
	s_or_b64 s[2:3], vcc, s[2:3]
                                        ; implicit-def: $vgpr30_vgpr31
                                        ; implicit-def: $vgpr36_vgpr37
	s_and_saveexec_b64 s[12:13], s[2:3]
	s_xor_b64 s[2:3], exec, s[12:13]
	s_cbranch_execz .LBB51_178
; %bb.177:                              ;   in Loop: Header=BB51_114 Depth=1
	v_div_scale_f64 v[28:29], s[12:13], v[20:21], v[20:21], v[22:23]
	v_rcp_f64_e32 v[30:31], v[28:29]
	v_div_scale_f64 v[36:37], vcc, v[22:23], v[20:21], v[22:23]
	v_fma_f64 v[38:39], -v[28:29], v[30:31], 1.0
	v_fmac_f64_e32 v[30:31], v[30:31], v[38:39]
	v_fma_f64 v[38:39], -v[28:29], v[30:31], 1.0
	v_fmac_f64_e32 v[30:31], v[30:31], v[38:39]
	v_mul_f64 v[38:39], v[36:37], v[30:31]
	v_fma_f64 v[28:29], -v[28:29], v[38:39], v[36:37]
	v_div_fmas_f64 v[28:29], v[28:29], v[30:31], v[38:39]
	v_div_fixup_f64 v[28:29], v[28:29], v[20:21], v[22:23]
	v_fma_f64 v[30:31], v[22:23], v[28:29], v[20:21]
	v_div_scale_f64 v[36:37], s[12:13], v[30:31], v[30:31], 1.0
	v_rcp_f64_e32 v[38:39], v[36:37]
	v_fma_f64 v[44:45], -v[36:37], v[38:39], 1.0
	v_fmac_f64_e32 v[38:39], v[38:39], v[44:45]
	v_fma_f64 v[44:45], -v[36:37], v[38:39], 1.0
	v_fmac_f64_e32 v[38:39], v[38:39], v[44:45]
	v_div_scale_f64 v[44:45], vcc, 1.0, v[30:31], 1.0
	v_mul_f64 v[46:47], v[44:45], v[38:39]
	v_fma_f64 v[36:37], -v[36:37], v[46:47], v[44:45]
	s_nop 1
	v_div_fmas_f64 v[36:37], v[36:37], v[38:39], v[46:47]
	v_div_fixup_f64 v[30:31], v[36:37], v[30:31], 1.0
	v_fma_f64 v[36:37], v[18:19], v[28:29], v[16:17]
	v_fma_f64 v[28:29], -v[16:17], v[28:29], v[18:19]
	v_mul_f64 v[36:37], v[36:37], v[30:31]
	v_mul_f64 v[30:31], v[28:29], v[30:31]
.LBB51_178:                             ;   in Loop: Header=BB51_114 Depth=1
	s_andn2_saveexec_b64 s[2:3], s[2:3]
	s_cbranch_execz .LBB51_180
; %bb.179:                              ;   in Loop: Header=BB51_114 Depth=1
	v_div_scale_f64 v[28:29], s[12:13], v[26:27], v[26:27], v[16:17]
	v_rcp_f64_e32 v[30:31], v[28:29]
	v_div_scale_f64 v[44:45], s[12:13], v[24:25], v[24:25], v[18:19]
	v_div_scale_f64 v[36:37], vcc, v[16:17], v[26:27], v[16:17]
	v_fma_f64 v[38:39], -v[28:29], v[30:31], 1.0
	v_fmac_f64_e32 v[30:31], v[30:31], v[38:39]
	v_fma_f64 v[38:39], -v[28:29], v[30:31], 1.0
	v_fmac_f64_e32 v[30:31], v[30:31], v[38:39]
	v_rcp_f64_e32 v[46:47], v[44:45]
	v_mul_f64 v[38:39], v[36:37], v[30:31]
	v_fma_f64 v[28:29], -v[28:29], v[38:39], v[36:37]
	v_div_fmas_f64 v[28:29], v[28:29], v[30:31], v[38:39]
	v_div_fixup_f64 v[36:37], v[28:29], v[26:27], v[16:17]
	v_fma_f64 v[28:29], -v[44:45], v[46:47], 1.0
	v_fmac_f64_e32 v[46:47], v[46:47], v[28:29]
	v_fma_f64 v[28:29], -v[44:45], v[46:47], 1.0
	v_fmac_f64_e32 v[46:47], v[46:47], v[28:29]
	v_div_scale_f64 v[28:29], vcc, v[18:19], v[24:25], v[18:19]
	v_mul_f64 v[30:31], v[28:29], v[46:47]
	v_fma_f64 v[28:29], -v[44:45], v[30:31], v[28:29]
	s_nop 1
	v_div_fmas_f64 v[28:29], v[28:29], v[46:47], v[30:31]
	v_div_fixup_f64 v[30:31], v[28:29], v[24:25], v[18:19]
.LBB51_180:                             ;   in Loop: Header=BB51_114 Depth=1
	s_or_b64 exec, exec, s[2:3]
.LBB51_181:                             ;   in Loop: Header=BB51_114 Depth=1
	s_andn2_saveexec_b64 s[2:3], s[4:5]
	s_cbranch_execz .LBB51_183
; %bb.182:                              ;   in Loop: Header=BB51_114 Depth=1
	v_div_scale_f64 v[28:29], s[4:5], v[22:23], v[22:23], v[20:21]
	v_rcp_f64_e32 v[30:31], v[28:29]
	v_div_scale_f64 v[36:37], vcc, v[20:21], v[22:23], v[20:21]
	v_fma_f64 v[38:39], -v[28:29], v[30:31], 1.0
	v_fmac_f64_e32 v[30:31], v[30:31], v[38:39]
	v_fma_f64 v[38:39], -v[28:29], v[30:31], 1.0
	v_fmac_f64_e32 v[30:31], v[30:31], v[38:39]
	v_mul_f64 v[38:39], v[36:37], v[30:31]
	v_fma_f64 v[28:29], -v[28:29], v[38:39], v[36:37]
	v_div_fmas_f64 v[28:29], v[28:29], v[30:31], v[38:39]
	v_div_fixup_f64 v[28:29], v[28:29], v[22:23], v[20:21]
	v_fma_f64 v[30:31], v[20:21], v[28:29], v[22:23]
	v_div_scale_f64 v[36:37], s[4:5], v[30:31], v[30:31], 1.0
	v_rcp_f64_e32 v[38:39], v[36:37]
	v_fma_f64 v[44:45], -v[36:37], v[38:39], 1.0
	v_fmac_f64_e32 v[38:39], v[38:39], v[44:45]
	v_fma_f64 v[44:45], -v[36:37], v[38:39], 1.0
	v_fmac_f64_e32 v[38:39], v[38:39], v[44:45]
	v_div_scale_f64 v[44:45], vcc, 1.0, v[30:31], 1.0
	v_mul_f64 v[46:47], v[44:45], v[38:39]
	v_fma_f64 v[36:37], -v[36:37], v[46:47], v[44:45]
	s_nop 1
	v_div_fmas_f64 v[36:37], v[36:37], v[38:39], v[46:47]
	v_div_fixup_f64 v[30:31], v[36:37], v[30:31], 1.0
	v_fma_f64 v[36:37], v[16:17], v[28:29], v[18:19]
	v_fma_f64 v[28:29], v[18:19], v[28:29], -v[16:17]
	v_mul_f64 v[36:37], v[36:37], v[30:31]
	v_mul_f64 v[30:31], v[28:29], v[30:31]
.LBB51_183:                             ;   in Loop: Header=BB51_114 Depth=1
	s_or_b64 exec, exec, s[2:3]
	v_mul_f64 v[28:29], s[18:19], v[30:31]
	v_mul_f64 v[30:31], s[16:17], v[30:31]
	v_fma_f64 v[28:29], s[16:17], v[36:37], -v[28:29]
	v_fmac_f64_e32 v[30:31], s[18:19], v[36:37]
	s_branch .LBB51_113
.LBB51_184:                             ;   in Loop: Header=BB51_114 Depth=1
                                        ; implicit-def: $vgpr30_vgpr31
                                        ; implicit-def: $vgpr28_vgpr29
	s_cbranch_execz .LBB51_113
; %bb.185:                              ;   in Loop: Header=BB51_114 Depth=1
                                        ; implicit-def: $vgpr30_vgpr31
                                        ; implicit-def: $vgpr28_vgpr29
	s_and_saveexec_b64 s[2:3], s[0:1]
	s_xor_b64 s[2:3], exec, s[2:3]
	s_cbranch_execz .LBB51_191
; %bb.186:                              ;   in Loop: Header=BB51_114 Depth=1
	v_cmp_neq_f64_e32 vcc, 0, v[20:21]
	v_cmp_neq_f64_e64 s[0:1], 0, v[22:23]
	s_or_b64 s[0:1], vcc, s[0:1]
                                        ; implicit-def: $vgpr30_vgpr31
                                        ; implicit-def: $vgpr28_vgpr29
	s_and_saveexec_b64 s[4:5], s[0:1]
	s_xor_b64 s[0:1], exec, s[4:5]
	s_cbranch_execz .LBB51_188
; %bb.187:                              ;   in Loop: Header=BB51_114 Depth=1
	v_div_scale_f64 v[24:25], s[4:5], v[20:21], v[20:21], v[22:23]
	v_rcp_f64_e32 v[26:27], v[24:25]
	v_div_scale_f64 v[28:29], vcc, v[22:23], v[20:21], v[22:23]
	v_fma_f64 v[30:31], -v[24:25], v[26:27], 1.0
	v_fmac_f64_e32 v[26:27], v[26:27], v[30:31]
	v_fma_f64 v[30:31], -v[24:25], v[26:27], 1.0
	v_fmac_f64_e32 v[26:27], v[26:27], v[30:31]
	v_mul_f64 v[30:31], v[28:29], v[26:27]
	v_fma_f64 v[24:25], -v[24:25], v[30:31], v[28:29]
	v_div_fmas_f64 v[24:25], v[24:25], v[26:27], v[30:31]
	v_div_fixup_f64 v[24:25], v[24:25], v[20:21], v[22:23]
	v_fmac_f64_e32 v[20:21], v[22:23], v[24:25]
	v_div_scale_f64 v[22:23], s[4:5], v[20:21], v[20:21], 1.0
	v_rcp_f64_e32 v[26:27], v[22:23]
	v_fma_f64 v[28:29], -v[22:23], v[26:27], 1.0
	v_fmac_f64_e32 v[26:27], v[26:27], v[28:29]
	v_fma_f64 v[28:29], -v[22:23], v[26:27], 1.0
	v_fmac_f64_e32 v[26:27], v[26:27], v[28:29]
	v_div_scale_f64 v[28:29], vcc, 1.0, v[20:21], 1.0
	v_mul_f64 v[30:31], v[28:29], v[26:27]
	v_fma_f64 v[22:23], -v[22:23], v[30:31], v[28:29]
	s_nop 1
	v_div_fmas_f64 v[22:23], v[22:23], v[26:27], v[30:31]
	v_div_fixup_f64 v[20:21], v[22:23], v[20:21], 1.0
	v_fma_f64 v[22:23], v[18:19], v[24:25], v[16:17]
	v_fma_f64 v[16:17], -v[16:17], v[24:25], v[18:19]
	v_mul_f64 v[28:29], v[22:23], v[20:21]
	v_mul_f64 v[30:31], v[16:17], v[20:21]
                                        ; implicit-def: $vgpr26_vgpr27
                                        ; implicit-def: $vgpr16_vgpr17
                                        ; implicit-def: $vgpr24_vgpr25
.LBB51_188:                             ;   in Loop: Header=BB51_114 Depth=1
	s_andn2_saveexec_b64 s[0:1], s[0:1]
	s_cbranch_execz .LBB51_190
; %bb.189:                              ;   in Loop: Header=BB51_114 Depth=1
	v_div_scale_f64 v[20:21], s[4:5], v[26:27], v[26:27], v[16:17]
	v_rcp_f64_e32 v[22:23], v[20:21]
	v_div_scale_f64 v[36:37], s[4:5], v[24:25], v[24:25], v[18:19]
	v_div_scale_f64 v[28:29], vcc, v[16:17], v[26:27], v[16:17]
	v_fma_f64 v[30:31], -v[20:21], v[22:23], 1.0
	v_fmac_f64_e32 v[22:23], v[22:23], v[30:31]
	v_fma_f64 v[30:31], -v[20:21], v[22:23], 1.0
	v_fmac_f64_e32 v[22:23], v[22:23], v[30:31]
	v_rcp_f64_e32 v[38:39], v[36:37]
	v_mul_f64 v[30:31], v[28:29], v[22:23]
	v_fma_f64 v[20:21], -v[20:21], v[30:31], v[28:29]
	v_div_fmas_f64 v[20:21], v[20:21], v[22:23], v[30:31]
	v_div_fixup_f64 v[28:29], v[20:21], v[26:27], v[16:17]
	v_fma_f64 v[16:17], -v[36:37], v[38:39], 1.0
	v_fmac_f64_e32 v[38:39], v[38:39], v[16:17]
	v_fma_f64 v[16:17], -v[36:37], v[38:39], 1.0
	v_fmac_f64_e32 v[38:39], v[38:39], v[16:17]
	v_div_scale_f64 v[16:17], vcc, v[18:19], v[24:25], v[18:19]
	v_mul_f64 v[20:21], v[16:17], v[38:39]
	v_fma_f64 v[16:17], -v[36:37], v[20:21], v[16:17]
	s_nop 1
	v_div_fmas_f64 v[16:17], v[16:17], v[38:39], v[20:21]
	v_div_fixup_f64 v[30:31], v[16:17], v[24:25], v[18:19]
.LBB51_190:                             ;   in Loop: Header=BB51_114 Depth=1
	s_or_b64 exec, exec, s[0:1]
                                        ; implicit-def: $vgpr22_vgpr23
                                        ; implicit-def: $vgpr16_vgpr17
.LBB51_191:                             ;   in Loop: Header=BB51_114 Depth=1
	s_andn2_saveexec_b64 s[0:1], s[2:3]
	s_cbranch_execz .LBB51_112
; %bb.192:                              ;   in Loop: Header=BB51_114 Depth=1
	v_div_scale_f64 v[24:25], s[2:3], v[22:23], v[22:23], v[20:21]
	v_rcp_f64_e32 v[26:27], v[24:25]
	v_div_scale_f64 v[28:29], vcc, v[20:21], v[22:23], v[20:21]
	v_fma_f64 v[30:31], -v[24:25], v[26:27], 1.0
	v_fmac_f64_e32 v[26:27], v[26:27], v[30:31]
	v_fma_f64 v[30:31], -v[24:25], v[26:27], 1.0
	v_fmac_f64_e32 v[26:27], v[26:27], v[30:31]
	v_mul_f64 v[30:31], v[28:29], v[26:27]
	v_fma_f64 v[24:25], -v[24:25], v[30:31], v[28:29]
	v_div_fmas_f64 v[24:25], v[24:25], v[26:27], v[30:31]
	v_div_fixup_f64 v[24:25], v[24:25], v[22:23], v[20:21]
	v_fmac_f64_e32 v[22:23], v[20:21], v[24:25]
	v_div_scale_f64 v[20:21], s[2:3], v[22:23], v[22:23], 1.0
	v_rcp_f64_e32 v[26:27], v[20:21]
	v_fma_f64 v[28:29], -v[20:21], v[26:27], 1.0
	v_fmac_f64_e32 v[26:27], v[26:27], v[28:29]
	v_fma_f64 v[28:29], -v[20:21], v[26:27], 1.0
	v_fmac_f64_e32 v[26:27], v[26:27], v[28:29]
	v_div_scale_f64 v[28:29], vcc, 1.0, v[22:23], 1.0
	v_mul_f64 v[30:31], v[28:29], v[26:27]
	v_fma_f64 v[20:21], -v[20:21], v[30:31], v[28:29]
	s_nop 1
	v_div_fmas_f64 v[20:21], v[20:21], v[26:27], v[30:31]
	v_div_fixup_f64 v[20:21], v[20:21], v[22:23], 1.0
	v_fma_f64 v[22:23], v[16:17], v[24:25], v[18:19]
	v_fma_f64 v[16:17], v[18:19], v[24:25], -v[16:17]
	v_mul_f64 v[28:29], v[22:23], v[20:21]
	v_mul_f64 v[30:31], v[16:17], v[20:21]
	s_branch .LBB51_112
.LBB51_193:
	s_endpgm
	.section	.rodata,"a",@progbits
	.p2align	6, 0x0
	.amdhsa_kernel _ZN2at6native12_GLOBAL__N_125multi_tensor_apply_kernelINS1_18TensorListMetadataILi4EEENS1_24PointwiseOpScalarFunctorIN3c107complexIdEELi4ELi3ELi3EEEJSt7dividesIS8_ES8_EEEvT_T0_DpT1_
		.amdhsa_group_segment_fixed_size 0
		.amdhsa_private_segment_fixed_size 0
		.amdhsa_kernarg_size 3328
		.amdhsa_user_sgpr_count 6
		.amdhsa_user_sgpr_private_segment_buffer 1
		.amdhsa_user_sgpr_dispatch_ptr 0
		.amdhsa_user_sgpr_queue_ptr 0
		.amdhsa_user_sgpr_kernarg_segment_ptr 1
		.amdhsa_user_sgpr_dispatch_id 0
		.amdhsa_user_sgpr_flat_scratch_init 0
		.amdhsa_user_sgpr_kernarg_preload_length 0
		.amdhsa_user_sgpr_kernarg_preload_offset 0
		.amdhsa_user_sgpr_private_segment_size 0
		.amdhsa_uses_dynamic_stack 0
		.amdhsa_system_sgpr_private_segment_wavefront_offset 0
		.amdhsa_system_sgpr_workgroup_id_x 1
		.amdhsa_system_sgpr_workgroup_id_y 0
		.amdhsa_system_sgpr_workgroup_id_z 0
		.amdhsa_system_sgpr_workgroup_info 0
		.amdhsa_system_vgpr_workitem_id 0
		.amdhsa_next_free_vgpr 100
		.amdhsa_next_free_sgpr 54
		.amdhsa_accum_offset 100
		.amdhsa_reserve_vcc 1
		.amdhsa_reserve_flat_scratch 0
		.amdhsa_float_round_mode_32 0
		.amdhsa_float_round_mode_16_64 0
		.amdhsa_float_denorm_mode_32 3
		.amdhsa_float_denorm_mode_16_64 3
		.amdhsa_dx10_clamp 1
		.amdhsa_ieee_mode 1
		.amdhsa_fp16_overflow 0
		.amdhsa_tg_split 0
		.amdhsa_exception_fp_ieee_invalid_op 0
		.amdhsa_exception_fp_denorm_src 0
		.amdhsa_exception_fp_ieee_div_zero 0
		.amdhsa_exception_fp_ieee_overflow 0
		.amdhsa_exception_fp_ieee_underflow 0
		.amdhsa_exception_fp_ieee_inexact 0
		.amdhsa_exception_int_div_zero 0
	.end_amdhsa_kernel
	.section	.text._ZN2at6native12_GLOBAL__N_125multi_tensor_apply_kernelINS1_18TensorListMetadataILi4EEENS1_24PointwiseOpScalarFunctorIN3c107complexIdEELi4ELi3ELi3EEEJSt7dividesIS8_ES8_EEEvT_T0_DpT1_,"axG",@progbits,_ZN2at6native12_GLOBAL__N_125multi_tensor_apply_kernelINS1_18TensorListMetadataILi4EEENS1_24PointwiseOpScalarFunctorIN3c107complexIdEELi4ELi3ELi3EEEJSt7dividesIS8_ES8_EEEvT_T0_DpT1_,comdat
.Lfunc_end51:
	.size	_ZN2at6native12_GLOBAL__N_125multi_tensor_apply_kernelINS1_18TensorListMetadataILi4EEENS1_24PointwiseOpScalarFunctorIN3c107complexIdEELi4ELi3ELi3EEEJSt7dividesIS8_ES8_EEEvT_T0_DpT1_, .Lfunc_end51-_ZN2at6native12_GLOBAL__N_125multi_tensor_apply_kernelINS1_18TensorListMetadataILi4EEENS1_24PointwiseOpScalarFunctorIN3c107complexIdEELi4ELi3ELi3EEEJSt7dividesIS8_ES8_EEEvT_T0_DpT1_
                                        ; -- End function
	.section	.AMDGPU.csdata,"",@progbits
; Kernel info:
; codeLenInByte = 12580
; NumSgprs: 58
; NumVgprs: 100
; NumAgprs: 0
; TotalNumVgprs: 100
; ScratchSize: 0
; MemoryBound: 1
; FloatMode: 240
; IeeeMode: 1
; LDSByteSize: 0 bytes/workgroup (compile time only)
; SGPRBlocks: 7
; VGPRBlocks: 12
; NumSGPRsForWavesPerEU: 58
; NumVGPRsForWavesPerEU: 100
; AccumOffset: 100
; Occupancy: 4
; WaveLimiterHint : 0
; COMPUTE_PGM_RSRC2:SCRATCH_EN: 0
; COMPUTE_PGM_RSRC2:USER_SGPR: 6
; COMPUTE_PGM_RSRC2:TRAP_HANDLER: 0
; COMPUTE_PGM_RSRC2:TGID_X_EN: 1
; COMPUTE_PGM_RSRC2:TGID_Y_EN: 0
; COMPUTE_PGM_RSRC2:TGID_Z_EN: 0
; COMPUTE_PGM_RSRC2:TIDIG_COMP_CNT: 0
; COMPUTE_PGM_RSRC3_GFX90A:ACCUM_OFFSET: 24
; COMPUTE_PGM_RSRC3_GFX90A:TG_SPLIT: 0
	.section	.text._ZN2at6native12_GLOBAL__N_125multi_tensor_apply_kernelINS1_18TensorListMetadataILi4EEENS1_24PointwiseOpScalarFunctorIN3c107complexIfEELi4ELi3ELi3EEEJSt7dividesIS8_ES8_EEEvT_T0_DpT1_,"axG",@progbits,_ZN2at6native12_GLOBAL__N_125multi_tensor_apply_kernelINS1_18TensorListMetadataILi4EEENS1_24PointwiseOpScalarFunctorIN3c107complexIfEELi4ELi3ELi3EEEJSt7dividesIS8_ES8_EEEvT_T0_DpT1_,comdat
	.globl	_ZN2at6native12_GLOBAL__N_125multi_tensor_apply_kernelINS1_18TensorListMetadataILi4EEENS1_24PointwiseOpScalarFunctorIN3c107complexIfEELi4ELi3ELi3EEEJSt7dividesIS8_ES8_EEEvT_T0_DpT1_ ; -- Begin function _ZN2at6native12_GLOBAL__N_125multi_tensor_apply_kernelINS1_18TensorListMetadataILi4EEENS1_24PointwiseOpScalarFunctorIN3c107complexIfEELi4ELi3ELi3EEEJSt7dividesIS8_ES8_EEEvT_T0_DpT1_
	.p2align	8
	.type	_ZN2at6native12_GLOBAL__N_125multi_tensor_apply_kernelINS1_18TensorListMetadataILi4EEENS1_24PointwiseOpScalarFunctorIN3c107complexIfEELi4ELi3ELi3EEEJSt7dividesIS8_ES8_EEEvT_T0_DpT1_,@function
_ZN2at6native12_GLOBAL__N_125multi_tensor_apply_kernelINS1_18TensorListMetadataILi4EEENS1_24PointwiseOpScalarFunctorIN3c107complexIfEELi4ELi3ELi3EEEJSt7dividesIS8_ES8_EEEvT_T0_DpT1_: ; @_ZN2at6native12_GLOBAL__N_125multi_tensor_apply_kernelINS1_18TensorListMetadataILi4EEENS1_24PointwiseOpScalarFunctorIN3c107complexIfEELi4ELi3ELi3EEEJSt7dividesIS8_ES8_EEEvT_T0_DpT1_
; %bb.0:
	v_mov_b32_e32 v1, s6
	global_load_ubyte v1, v1, s[4:5] offset:1440
	s_add_u32 s0, s4, s6
	s_mul_hi_u32 s1, s6, 3
	s_mul_i32 s6, s6, 3
	s_addc_u32 s2, s5, 0
	s_add_u32 s0, s0, s6
	s_addc_u32 s1, s2, s1
	s_load_dword s10, s[0:1], 0x6e0
	s_mov_b32 s13, 0
	s_mov_b32 s15, s13
	s_waitcnt lgkmcnt(0)
	s_ashr_i32 s11, s10, 31
	s_lshl_b64 s[20:21], s[10:11], 19
	s_waitcnt vmcnt(0)
	v_readfirstlane_b32 s0, v1
	s_lshl_b32 s12, s0, 3
	s_load_dwordx2 s[6:7], s[4:5], s12 offset:0x0
	s_load_dwordx2 s[16:17], s[4:5], 0xbf0
	s_load_dwordx2 s[22:23], s[4:5], s12 offset:0x480
	s_load_dwordx2 s[2:3], s[4:5], s12 offset:0x120
	;; [unrolled: 1-line block ×4, first 2 shown]
	s_waitcnt lgkmcnt(0)
	s_add_u32 s33, s6, s20
	s_addc_u32 s36, s7, s21
	s_add_u32 s37, s2, s20
	s_addc_u32 s38, s3, s21
	s_and_b32 s12, s37, 31
	s_add_u32 s39, s0, s20
	s_addc_u32 s40, s1, s21
	s_add_u32 s41, s8, s20
	s_addc_u32 s42, s9, s21
	s_or_b32 s14, s41, s39
	s_and_b32 s14, s14, 31
	s_cmp_eq_u32 s14, 0
	s_cselect_b64 s[18:19], -1, 0
	s_and_b32 s14, s33, 31
	s_cmp_eq_u64 s[12:13], 0
	s_cselect_b64 s[24:25], -1, 0
	s_lshl_b64 s[10:11], s[10:11], 16
	s_and_b64 s[24:25], s[18:19], s[24:25]
	s_sub_u32 s18, s22, s10
	s_subb_u32 s19, s23, s11
	s_and_b32 s12, s22, 3
	s_or_b64 s[10:11], s[14:15], s[12:13]
	s_cmp_eq_u64 s[10:11], 0
	s_cselect_b64 s[10:11], -1, 0
	s_and_b64 s[12:13], s[24:25], s[10:11]
	s_mov_b64 s[10:11], -1
	s_and_b64 vcc, exec, s[12:13]
	s_cbranch_vccnz .LBB52_109
; %bb.1:
	v_cmp_lt_i64_e64 s[10:11], s[18:19], 1
	s_and_b64 vcc, exec, s[10:11]
	s_cbranch_vccnz .LBB52_108
; %bb.2:
	s_load_dword s10, s[4:5], 0xc04
	v_mov_b32_e32 v2, 0x10000
	v_mov_b32_e32 v3, 0
	v_cmp_lt_u64_e32 vcc, s[18:19], v[2:3]
	v_lshlrev_b32_e32 v30, 3, v0
	s_waitcnt lgkmcnt(0)
	s_and_b32 s44, s10, 0xffff
	s_and_b64 s[10:11], vcc, exec
	v_mov_b32_e32 v27, s7
	v_add_co_u32_e32 v2, vcc, s6, v30
	v_addc_co_u32_e32 v3, vcc, 0, v27, vcc
	v_mov_b32_e32 v29, s3
	v_add_co_u32_e32 v4, vcc, s2, v30
	v_addc_co_u32_e32 v5, vcc, 0, v29, vcc
	s_cselect_b32 s23, s19, 0
	s_cselect_b32 s22, s18, 0x10000
	s_lshl_b32 s45, s44, 1
	s_and_b32 s10, s17, 0x7fffffff
	v_mov_b32_e32 v24, s9
	v_add_co_u32_e32 v6, vcc, s8, v30
	v_mov_b32_e32 v1, 0
	s_cmp_lg_u32 s10, 0
	v_addc_co_u32_e32 v7, vcc, 0, v24, vcc
	s_cselect_b64 s[10:11], -1, 0
	v_cmp_neq_f32_e64 s[12:13], s16, 1.0
	v_mov_b32_e32 v31, v1
	v_add_co_u32_e32 v6, vcc, 4, v6
	s_or_b64 s[24:25], s[12:13], s[10:11]
	v_addc_co_u32_e32 v7, vcc, 0, v7, vcc
	v_mad_u64_u32 v[14:15], s[10:11], s44, 24, v[30:31]
	v_add_co_u32_e32 v8, vcc, s6, v14
	v_addc_co_u32_e32 v9, vcc, v27, v15, vcc
	v_add_co_u32_e32 v10, vcc, s2, v14
	v_addc_co_u32_e32 v11, vcc, v29, v15, vcc
	v_mov_b32_e32 v33, s1
	v_add_co_u32_e32 v12, vcc, s0, v14
	v_addc_co_u32_e32 v13, vcc, v33, v15, vcc
	v_add_co_u32_e32 v14, vcc, s8, v14
	v_addc_co_u32_e32 v15, vcc, v15, v24, vcc
	;; [unrolled: 2-line block ×3, first 2 shown]
	s_lshl_b32 s1, s44, 4
	v_add_co_u32_e32 v25, vcc, s1, v30
	v_addc_co_u32_e64 v26, s[10:11], 0, 0, vcc
	v_add_co_u32_e32 v16, vcc, s6, v25
	v_addc_co_u32_e32 v17, vcc, v27, v26, vcc
	v_add_co_u32_e32 v18, vcc, s2, v25
	v_addc_co_u32_e32 v19, vcc, v29, v26, vcc
	v_add_co_u32_e32 v20, vcc, s0, v25
	v_addc_co_u32_e32 v21, vcc, v33, v26, vcc
	v_add_lshl_u32 v32, v0, s44, 3
	v_mov_b32_e32 v23, s9
	v_add_co_u32_e32 v22, vcc, s8, v32
	v_addc_co_u32_e32 v23, vcc, 0, v23, vcc
	v_add_co_u32_e32 v25, vcc, s8, v25
	v_addc_co_u32_e32 v26, vcc, v26, v24, vcc
	;; [unrolled: 2-line block ×5, first 2 shown]
	v_add_co_u32_e32 v30, vcc, s0, v30
	s_mov_b32 s43, 0
	v_addc_co_u32_e32 v31, vcc, 0, v33, vcc
	s_lshl_b32 s26, s44, 2
	s_mov_b32 s27, s43
	v_add_co_u32_e32 v32, vcc, s0, v32
	s_mov_b32 s46, s43
	s_mul_i32 s47, s44, 3
	s_mov_b32 s48, s43
	s_mov_b32 s28, s17
	s_mov_b32 s29, s16
	s_lshl_b32 s49, s44, 5
	s_mov_b32 s50, s43
	s_mov_b64 s[30:31], s[26:27]
	v_addc_co_u32_e32 v33, vcc, 0, v33, vcc
	v_pk_mov_b32 v[34:35], v[0:1], v[0:1] op_sel:[0,1]
	s_branch .LBB52_4
.LBB52_3:                               ;   in Loop: Header=BB52_4 Depth=1
	s_or_b64 exec, exec, s[0:1]
	v_mov_b32_e32 v1, s27
	v_add_co_u32_e64 v34, s[2:3], s26, v34
	v_addc_co_u32_e64 v35, s[2:3], v35, v1, s[2:3]
	v_mov_b32_e32 v1, s50
	v_add_co_u32_e64 v2, s[2:3], s49, v2
	v_addc_co_u32_e64 v3, s[2:3], v3, v1, s[2:3]
	v_add_co_u32_e64 v4, s[2:3], s49, v4
	v_addc_co_u32_e64 v5, s[2:3], v5, v1, s[2:3]
	;; [unrolled: 2-line block ×12, first 2 shown]
	v_add_co_u32_e64 v24, s[2:3], s49, v24
	v_pk_mov_b32 v[36:37], s[18:19], s[18:19] op_sel:[0,1]
	v_addc_co_u32_e64 v25, s[2:3], v25, v1, s[2:3]
	v_cmp_ge_i64_e32 vcc, s[30:31], v[36:37]
	v_mov_b32_e32 v36, 0xffff
	v_add_co_u32_e64 v26, s[2:3], s49, v26
	v_mov_b32_e32 v37, 0
	v_addc_co_u32_e64 v27, s[2:3], v27, v1, s[2:3]
	v_cmp_gt_u64_e64 s[0:1], s[30:31], v[36:37]
	v_add_co_u32_e64 v28, s[2:3], s49, v28
	v_addc_co_u32_e64 v29, s[2:3], v29, v1, s[2:3]
	s_or_b64 s[0:1], vcc, s[0:1]
	v_add_co_u32_e64 v32, s[2:3], s49, v32
	s_add_u32 s30, s30, s26
	v_addc_co_u32_e64 v33, s[2:3], v33, v1, s[2:3]
	s_addc_u32 s31, s31, 0
	s_and_b64 vcc, exec, s[0:1]
	s_cbranch_vccnz .LBB52_108
.LBB52_4:                               ; =>This Inner Loop Header: Depth=1
	v_cmp_gt_u64_e64 s[0:1], s[22:23], v[34:35]
	v_mov_b32_e32 v37, 0
	v_mov_b32_e32 v36, 0
	;; [unrolled: 1-line block ×4, first 2 shown]
	s_and_saveexec_b64 s[2:3], s[0:1]
	s_cbranch_execz .LBB52_6
; %bb.5:                                ;   in Loop: Header=BB52_4 Depth=1
	v_mov_b32_e32 v1, s21
	v_add_co_u32_e32 v36, vcc, s20, v4
	v_addc_co_u32_e32 v37, vcc, v5, v1, vcc
	global_load_dwordx2 v[38:39], v[36:37], off
	v_add_co_u32_e32 v36, vcc, s20, v2
	v_addc_co_u32_e32 v37, vcc, v3, v1, vcc
	global_load_dwordx2 v[36:37], v[36:37], off
	s_waitcnt vmcnt(1)
	v_mov_b32_e32 v54, v39
	v_mov_b32_e32 v55, v38
.LBB52_6:                               ;   in Loop: Header=BB52_4 Depth=1
	s_or_b64 exec, exec, s[2:3]
	v_mov_b32_e32 v39, 0
	v_mov_b32_e32 v61, 0
	;; [unrolled: 1-line block ×3, first 2 shown]
	s_and_saveexec_b64 s[2:3], s[0:1]
	s_cbranch_execz .LBB52_8
; %bb.7:                                ;   in Loop: Header=BB52_4 Depth=1
	v_mov_b32_e32 v1, s21
	v_add_co_u32_e32 v40, vcc, s20, v30
	v_addc_co_u32_e32 v41, vcc, v31, v1, vcc
	global_load_dwordx2 v[60:61], v[40:41], off
.LBB52_8:                               ;   in Loop: Header=BB52_4 Depth=1
	s_or_b64 exec, exec, s[2:3]
	v_mov_b32_e32 v1, s43
	v_add_co_u32_e32 v40, vcc, s44, v34
	v_addc_co_u32_e32 v41, vcc, v1, v35, vcc
	v_cmp_gt_u64_e64 s[2:3], s[22:23], v[40:41]
	v_mov_b32_e32 v38, 0
	v_mov_b32_e32 v56, 0
	;; [unrolled: 1-line block ×3, first 2 shown]
	s_and_saveexec_b64 s[6:7], s[2:3]
	s_cbranch_execz .LBB52_10
; %bb.9:                                ;   in Loop: Header=BB52_4 Depth=1
	v_mov_b32_e32 v1, s21
	v_add_co_u32_e32 v38, vcc, s20, v28
	v_addc_co_u32_e32 v39, vcc, v29, v1, vcc
	global_load_dwordx2 v[40:41], v[38:39], off
	v_add_co_u32_e32 v38, vcc, s20, v26
	v_addc_co_u32_e32 v39, vcc, v27, v1, vcc
	global_load_dwordx2 v[38:39], v[38:39], off
	s_waitcnt vmcnt(1)
	v_mov_b32_e32 v56, v41
	v_mov_b32_e32 v57, v40
.LBB52_10:                              ;   in Loop: Header=BB52_4 Depth=1
	s_or_b64 exec, exec, s[6:7]
	v_mov_b32_e32 v41, 0
	v_mov_b32_e32 v59, 0
	v_mov_b32_e32 v58, 0
	s_and_saveexec_b64 s[6:7], s[2:3]
	s_cbranch_execz .LBB52_12
; %bb.11:                               ;   in Loop: Header=BB52_4 Depth=1
	v_mov_b32_e32 v1, s21
	v_add_co_u32_e32 v42, vcc, s20, v32
	v_addc_co_u32_e32 v43, vcc, v33, v1, vcc
	global_load_dwordx2 v[58:59], v[42:43], off
.LBB52_12:                              ;   in Loop: Header=BB52_4 Depth=1
	s_or_b64 exec, exec, s[6:7]
	v_mov_b32_e32 v1, s46
	v_add_co_u32_e32 v42, vcc, s45, v34
	v_addc_co_u32_e32 v43, vcc, v1, v35, vcc
	v_cmp_gt_u64_e64 s[6:7], s[22:23], v[42:43]
	v_mov_b32_e32 v40, 0
	v_mov_b32_e32 v50, 0
	;; [unrolled: 1-line block ×3, first 2 shown]
	s_and_saveexec_b64 s[8:9], s[6:7]
	s_cbranch_execz .LBB52_14
; %bb.13:                               ;   in Loop: Header=BB52_4 Depth=1
	v_mov_b32_e32 v1, s21
	v_add_co_u32_e32 v40, vcc, s20, v18
	v_addc_co_u32_e32 v41, vcc, v19, v1, vcc
	global_load_dwordx2 v[42:43], v[40:41], off
	v_add_co_u32_e32 v40, vcc, s20, v16
	v_addc_co_u32_e32 v41, vcc, v17, v1, vcc
	global_load_dwordx2 v[40:41], v[40:41], off
	s_waitcnt vmcnt(1)
	v_mov_b32_e32 v50, v43
	v_mov_b32_e32 v51, v42
.LBB52_14:                              ;   in Loop: Header=BB52_4 Depth=1
	s_or_b64 exec, exec, s[8:9]
	v_mov_b32_e32 v43, 0
	v_mov_b32_e32 v53, 0
	;; [unrolled: 1-line block ×3, first 2 shown]
	s_and_saveexec_b64 s[8:9], s[6:7]
	s_cbranch_execz .LBB52_16
; %bb.15:                               ;   in Loop: Header=BB52_4 Depth=1
	v_mov_b32_e32 v1, s21
	v_add_co_u32_e32 v44, vcc, s20, v20
	v_addc_co_u32_e32 v45, vcc, v21, v1, vcc
	global_load_dwordx2 v[52:53], v[44:45], off
.LBB52_16:                              ;   in Loop: Header=BB52_4 Depth=1
	s_or_b64 exec, exec, s[8:9]
	v_mov_b32_e32 v1, s48
	v_add_co_u32_e32 v44, vcc, s47, v34
	v_addc_co_u32_e32 v45, vcc, v1, v35, vcc
	v_cmp_gt_u64_e64 s[8:9], s[22:23], v[44:45]
	v_mov_b32_e32 v42, 0
	v_mov_b32_e32 v44, 0
	;; [unrolled: 1-line block ×3, first 2 shown]
	s_and_saveexec_b64 s[10:11], s[8:9]
	s_cbranch_execz .LBB52_18
; %bb.17:                               ;   in Loop: Header=BB52_4 Depth=1
	v_mov_b32_e32 v1, s21
	v_add_co_u32_e32 v42, vcc, s20, v10
	v_addc_co_u32_e32 v43, vcc, v11, v1, vcc
	global_load_dwordx2 v[46:47], v[42:43], off
	v_add_co_u32_e32 v42, vcc, s20, v8
	v_addc_co_u32_e32 v43, vcc, v9, v1, vcc
	global_load_dwordx2 v[42:43], v[42:43], off
	s_waitcnt vmcnt(1)
	v_mov_b32_e32 v44, v47
	v_mov_b32_e32 v45, v46
.LBB52_18:                              ;   in Loop: Header=BB52_4 Depth=1
	s_or_b64 exec, exec, s[10:11]
	v_mov_b32_e32 v47, 0
	v_mov_b32_e32 v46, 0
	s_and_saveexec_b64 s[10:11], s[8:9]
	s_cbranch_execz .LBB52_20
; %bb.19:                               ;   in Loop: Header=BB52_4 Depth=1
	v_mov_b32_e32 v1, s21
	v_add_co_u32_e32 v46, vcc, s20, v12
	v_addc_co_u32_e32 v47, vcc, v13, v1, vcc
	global_load_dwordx2 v[46:47], v[46:47], off
.LBB52_20:                              ;   in Loop: Header=BB52_4 Depth=1
	s_or_b64 exec, exec, s[10:11]
	s_waitcnt vmcnt(0)
	v_cmp_gt_f32_e32 vcc, 0, v60
	v_cndmask_b32_e64 v1, v60, -v60, vcc
	v_cmp_gt_f32_e32 vcc, 0, v61
	v_cndmask_b32_e64 v63, v61, -v61, vcc
	v_cmp_ge_f32_e64 s[10:11], v1, v63
	s_and_b64 vcc, exec, s[24:25]
	s_cbranch_vccz .LBB52_30
; %bb.21:                               ;   in Loop: Header=BB52_4 Depth=1
                                        ; implicit-def: $vgpr62
                                        ; implicit-def: $vgpr48
	s_and_saveexec_b64 s[12:13], s[10:11]
	s_xor_b64 s[14:15], exec, s[12:13]
	s_cbranch_execz .LBB52_27
; %bb.22:                               ;   in Loop: Header=BB52_4 Depth=1
	v_cmp_neq_f32_e32 vcc, 0, v60
	v_cmp_neq_f32_e64 s[12:13], 0, v61
	s_or_b64 s[12:13], s[12:13], vcc
                                        ; implicit-def: $vgpr62
                                        ; implicit-def: $vgpr48
	s_and_saveexec_b64 s[34:35], s[12:13]
	s_xor_b64 s[12:13], exec, s[34:35]
	s_cbranch_execz .LBB52_24
; %bb.23:                               ;   in Loop: Header=BB52_4 Depth=1
	v_div_scale_f32 v48, s[34:35], v60, v60, v61
	v_rcp_f32_e32 v49, v48
	v_div_scale_f32 v62, vcc, v61, v60, v61
	v_fma_f32 v64, -v48, v49, 1.0
	v_fmac_f32_e32 v49, v64, v49
	v_mul_f32_e32 v64, v62, v49
	v_fma_f32 v65, -v48, v64, v62
	v_fmac_f32_e32 v64, v65, v49
	v_fma_f32 v48, -v48, v64, v62
	v_div_fmas_f32 v48, v48, v49, v64
	v_div_fixup_f32 v49, v48, v60, v61
	v_fma_f32 v48, v61, v49, v60
	v_div_scale_f32 v62, s[34:35], v48, v48, 1.0
	v_rcp_f32_e32 v64, v62
	v_fma_f32 v65, -v62, v64, 1.0
	v_fmac_f32_e32 v64, v65, v64
	v_div_scale_f32 v65, vcc, 1.0, v48, 1.0
	v_mul_f32_e32 v66, v65, v64
	v_fma_f32 v67, -v62, v66, v65
	v_fmac_f32_e32 v66, v67, v64
	v_fma_f32 v62, -v62, v66, v65
	v_div_fmas_f32 v62, v62, v64, v66
	v_div_fixup_f32 v62, v62, v48, 1.0
	v_fma_f32 v48, v54, v49, v55
	v_fma_f32 v49, -v55, v49, v54
	v_mul_f32_e32 v48, v48, v62
	v_mul_f32_e32 v62, v49, v62
.LBB52_24:                              ;   in Loop: Header=BB52_4 Depth=1
	s_andn2_saveexec_b64 s[12:13], s[12:13]
	s_cbranch_execz .LBB52_26
; %bb.25:                               ;   in Loop: Header=BB52_4 Depth=1
	v_div_scale_f32 v48, s[34:35], v1, v1, v55
	v_rcp_f32_e32 v49, v48
	v_div_scale_f32 v62, vcc, v55, v1, v55
	v_fma_f32 v64, -v48, v49, 1.0
	v_fmac_f32_e32 v49, v64, v49
	v_mul_f32_e32 v64, v62, v49
	v_fma_f32 v65, -v48, v64, v62
	v_fmac_f32_e32 v64, v65, v49
	v_fma_f32 v48, -v48, v64, v62
	v_div_scale_f32 v62, s[34:35], v63, v63, v54
	v_rcp_f32_e32 v65, v62
	v_div_fmas_f32 v48, v48, v49, v64
	v_div_fixup_f32 v48, v48, v1, v55
	v_fma_f32 v49, -v62, v65, 1.0
	v_fmac_f32_e32 v65, v49, v65
	v_div_scale_f32 v49, vcc, v54, v63, v54
	v_mul_f32_e32 v64, v49, v65
	v_fma_f32 v66, -v62, v64, v49
	v_fmac_f32_e32 v64, v66, v65
	v_fma_f32 v49, -v62, v64, v49
	v_div_fmas_f32 v49, v49, v65, v64
	v_div_fixup_f32 v62, v49, v63, v54
.LBB52_26:                              ;   in Loop: Header=BB52_4 Depth=1
	s_or_b64 exec, exec, s[12:13]
.LBB52_27:                              ;   in Loop: Header=BB52_4 Depth=1
	s_andn2_saveexec_b64 s[12:13], s[14:15]
	s_cbranch_execz .LBB52_29
; %bb.28:                               ;   in Loop: Header=BB52_4 Depth=1
	v_div_scale_f32 v48, s[14:15], v61, v61, v60
	v_rcp_f32_e32 v49, v48
	v_div_scale_f32 v62, vcc, v60, v61, v60
	v_fma_f32 v64, -v48, v49, 1.0
	v_fmac_f32_e32 v49, v64, v49
	v_mul_f32_e32 v64, v62, v49
	v_fma_f32 v65, -v48, v64, v62
	v_fmac_f32_e32 v64, v65, v49
	v_fma_f32 v48, -v48, v64, v62
	v_div_fmas_f32 v48, v48, v49, v64
	v_div_fixup_f32 v49, v48, v61, v60
	v_fma_f32 v48, v60, v49, v61
	v_div_scale_f32 v62, s[14:15], v48, v48, 1.0
	v_rcp_f32_e32 v64, v62
	v_fma_f32 v65, -v62, v64, 1.0
	v_fmac_f32_e32 v64, v65, v64
	v_div_scale_f32 v65, vcc, 1.0, v48, 1.0
	v_mul_f32_e32 v66, v65, v64
	v_fma_f32 v67, -v62, v66, v65
	v_fmac_f32_e32 v66, v67, v64
	v_fma_f32 v62, -v62, v66, v65
	v_div_fmas_f32 v62, v62, v64, v66
	v_div_fixup_f32 v62, v62, v48, 1.0
	v_fma_f32 v48, v55, v49, v54
	v_fma_f32 v49, v54, v49, -v55
	v_mul_f32_e32 v48, v48, v62
	v_mul_f32_e32 v62, v49, v62
.LBB52_29:                              ;   in Loop: Header=BB52_4 Depth=1
	s_or_b64 exec, exec, s[12:13]
	v_pk_mul_f32 v[66:67], v[48:49], s[16:17] op_sel_hi:[0,1]
	v_pk_mul_f32 v[64:65], v[62:63], s[16:17] op_sel_hi:[0,1]
	v_pk_fma_f32 v[48:49], v[62:63], s[16:17], v[66:67] op_sel:[0,0,1] op_sel_hi:[0,1,0] neg_lo:[1,0,0] neg_hi:[1,0,0]
	v_add_f32_e32 v48, v67, v64
	s_branch .LBB52_40
.LBB52_30:                              ;   in Loop: Header=BB52_4 Depth=1
                                        ; implicit-def: $vgpr49
	s_cbranch_execz .LBB52_40
; %bb.31:                               ;   in Loop: Header=BB52_4 Depth=1
                                        ; implicit-def: $vgpr49
	s_and_saveexec_b64 s[12:13], s[10:11]
	s_xor_b64 s[12:13], exec, s[12:13]
	s_cbranch_execz .LBB52_37
; %bb.32:                               ;   in Loop: Header=BB52_4 Depth=1
	v_cmp_neq_f32_e32 vcc, 0, v60
	v_cmp_neq_f32_e64 s[10:11], 0, v61
	s_or_b64 s[10:11], s[10:11], vcc
                                        ; implicit-def: $vgpr49
	s_and_saveexec_b64 s[14:15], s[10:11]
	s_xor_b64 s[10:11], exec, s[14:15]
	s_cbranch_execz .LBB52_34
; %bb.33:                               ;   in Loop: Header=BB52_4 Depth=1
	v_div_scale_f32 v1, s[14:15], v60, v60, v61
	v_rcp_f32_e32 v48, v1
	v_div_scale_f32 v49, vcc, v61, v60, v61
	v_fma_f32 v62, -v1, v48, 1.0
	v_fmac_f32_e32 v48, v62, v48
	v_mul_f32_e32 v62, v49, v48
	v_fma_f32 v63, -v1, v62, v49
	v_fmac_f32_e32 v62, v63, v48
	v_fma_f32 v1, -v1, v62, v49
	v_div_fmas_f32 v1, v1, v48, v62
	v_div_fixup_f32 v48, v1, v60, v61
	v_fmac_f32_e32 v60, v61, v48
	v_div_scale_f32 v1, s[14:15], v60, v60, 1.0
	v_rcp_f32_e32 v49, v1
	v_fma_f32 v61, -v1, v49, 1.0
	v_fmac_f32_e32 v49, v61, v49
	v_div_scale_f32 v61, vcc, 1.0, v60, 1.0
	v_mul_f32_e32 v62, v61, v49
	v_fma_f32 v63, -v1, v62, v61
	v_fmac_f32_e32 v62, v63, v49
	v_fma_f32 v1, -v1, v62, v61
	v_div_fmas_f32 v1, v1, v49, v62
	v_pk_mul_f32 v[48:49], v[54:55], v[48:49] op_sel_hi:[1,0]
	v_pk_add_f32 v[62:63], v[54:55], v[48:49] op_sel:[0,1] op_sel_hi:[1,0] neg_lo:[0,1] neg_hi:[0,1]
	v_pk_add_f32 v[48:49], v[54:55], v[48:49] op_sel:[0,1] op_sel_hi:[1,0]
	v_div_fixup_f32 v60, v1, v60, 1.0
	v_mov_b32_e32 v63, v49
	v_pk_mul_f32 v[48:49], v[62:63], v[60:61] op_sel_hi:[1,0]
                                        ; implicit-def: $vgpr63
                                        ; implicit-def: $vgpr54_vgpr55
                                        ; implicit-def: $vgpr1
.LBB52_34:                              ;   in Loop: Header=BB52_4 Depth=1
	s_andn2_saveexec_b64 s[10:11], s[10:11]
	s_cbranch_execz .LBB52_36
; %bb.35:                               ;   in Loop: Header=BB52_4 Depth=1
	v_div_scale_f32 v48, s[14:15], v63, v63, v54
	v_rcp_f32_e32 v49, v48
	v_div_scale_f32 v60, vcc, v54, v63, v54
	v_fma_f32 v61, -v48, v49, 1.0
	v_fmac_f32_e32 v49, v61, v49
	v_mul_f32_e32 v61, v60, v49
	v_fma_f32 v62, -v48, v61, v60
	v_fmac_f32_e32 v61, v62, v49
	v_fma_f32 v48, -v48, v61, v60
	v_div_scale_f32 v60, s[14:15], v1, v1, v55
	v_rcp_f32_e32 v62, v60
	v_div_fmas_f32 v48, v48, v49, v61
	v_div_fixup_f32 v48, v48, v63, v54
	v_fma_f32 v49, -v60, v62, 1.0
	v_fmac_f32_e32 v62, v49, v62
	v_div_scale_f32 v49, vcc, v55, v1, v55
	v_mul_f32_e32 v54, v49, v62
	v_fma_f32 v61, -v60, v54, v49
	v_fmac_f32_e32 v54, v61, v62
	v_fma_f32 v49, -v60, v54, v49
	v_div_fmas_f32 v49, v49, v62, v54
	v_div_fixup_f32 v49, v49, v1, v55
.LBB52_36:                              ;   in Loop: Header=BB52_4 Depth=1
	s_or_b64 exec, exec, s[10:11]
                                        ; implicit-def: $vgpr61
                                        ; implicit-def: $vgpr54_vgpr55
.LBB52_37:                              ;   in Loop: Header=BB52_4 Depth=1
	s_andn2_saveexec_b64 s[10:11], s[12:13]
	s_cbranch_execz .LBB52_39
; %bb.38:                               ;   in Loop: Header=BB52_4 Depth=1
	v_div_scale_f32 v1, s[12:13], v61, v61, v60
	v_rcp_f32_e32 v48, v1
	v_div_scale_f32 v49, vcc, v60, v61, v60
	v_fma_f32 v62, -v1, v48, 1.0
	v_fmac_f32_e32 v48, v62, v48
	v_mul_f32_e32 v62, v49, v48
	v_fma_f32 v63, -v1, v62, v49
	v_fmac_f32_e32 v62, v63, v48
	v_fma_f32 v1, -v1, v62, v49
	v_div_fmas_f32 v1, v1, v48, v62
	v_div_fixup_f32 v48, v1, v61, v60
	v_fmac_f32_e32 v61, v60, v48
	v_div_scale_f32 v1, s[12:13], v61, v61, 1.0
	v_rcp_f32_e32 v49, v1
	v_fma_f32 v60, -v1, v49, 1.0
	v_fmac_f32_e32 v49, v60, v49
	v_div_scale_f32 v60, vcc, 1.0, v61, 1.0
	v_mul_f32_e32 v62, v60, v49
	v_fma_f32 v63, -v1, v62, v60
	v_fmac_f32_e32 v62, v63, v49
	v_fma_f32 v1, -v1, v62, v60
	v_div_fmas_f32 v1, v1, v49, v62
	v_pk_fma_f32 v[62:63], v[54:55], v[48:49], v[54:55] op_sel:[0,0,1] op_sel_hi:[1,1,0] neg_lo:[0,0,1] neg_hi:[0,0,1]
	v_pk_fma_f32 v[48:49], v[54:55], v[48:49], v[54:55] op_sel:[0,0,1] op_sel_hi:[1,0,0]
	v_div_fixup_f32 v60, v1, v61, 1.0
	v_mov_b32_e32 v63, v49
	v_pk_mul_f32 v[48:49], v[62:63], v[60:61] op_sel_hi:[1,0]
.LBB52_39:                              ;   in Loop: Header=BB52_4 Depth=1
	s_or_b64 exec, exec, s[10:11]
.LBB52_40:                              ;   in Loop: Header=BB52_4 Depth=1
	v_cmp_gt_f32_e32 vcc, 0, v58
	v_cndmask_b32_e64 v1, v58, -v58, vcc
	v_cmp_gt_f32_e32 vcc, 0, v59
	v_cndmask_b32_e64 v61, v59, -v59, vcc
	v_cndmask_b32_e64 v54, 0, 1, s[24:25]
	v_cmp_ne_u32_e64 s[10:11], 1, v54
	s_andn2_b64 vcc, exec, s[24:25]
	v_cmp_ge_f32_e64 s[12:13], v1, v61
	s_cbranch_vccnz .LBB52_50
; %bb.41:                               ;   in Loop: Header=BB52_4 Depth=1
                                        ; implicit-def: $vgpr60
                                        ; implicit-def: $vgpr54
	s_and_saveexec_b64 s[14:15], s[12:13]
	s_xor_b64 s[34:35], exec, s[14:15]
	s_cbranch_execz .LBB52_47
; %bb.42:                               ;   in Loop: Header=BB52_4 Depth=1
	v_cmp_neq_f32_e32 vcc, 0, v58
	v_cmp_neq_f32_e64 s[14:15], 0, v59
	s_or_b64 s[14:15], s[14:15], vcc
                                        ; implicit-def: $vgpr60
                                        ; implicit-def: $vgpr54
	s_and_saveexec_b64 s[52:53], s[14:15]
	s_xor_b64 s[14:15], exec, s[52:53]
	s_cbranch_execz .LBB52_44
; %bb.43:                               ;   in Loop: Header=BB52_4 Depth=1
	v_div_scale_f32 v54, s[52:53], v58, v58, v59
	v_rcp_f32_e32 v55, v54
	v_div_scale_f32 v60, vcc, v59, v58, v59
	v_fma_f32 v62, -v54, v55, 1.0
	v_fmac_f32_e32 v55, v62, v55
	v_mul_f32_e32 v62, v60, v55
	v_fma_f32 v63, -v54, v62, v60
	v_fmac_f32_e32 v62, v63, v55
	v_fma_f32 v54, -v54, v62, v60
	v_div_fmas_f32 v54, v54, v55, v62
	v_div_fixup_f32 v55, v54, v58, v59
	v_fma_f32 v54, v59, v55, v58
	v_div_scale_f32 v60, s[52:53], v54, v54, 1.0
	v_rcp_f32_e32 v62, v60
	v_fma_f32 v63, -v60, v62, 1.0
	v_fmac_f32_e32 v62, v63, v62
	v_div_scale_f32 v63, vcc, 1.0, v54, 1.0
	v_mul_f32_e32 v64, v63, v62
	v_fma_f32 v65, -v60, v64, v63
	v_fmac_f32_e32 v64, v65, v62
	v_fma_f32 v60, -v60, v64, v63
	v_div_fmas_f32 v60, v60, v62, v64
	v_div_fixup_f32 v60, v60, v54, 1.0
	v_fma_f32 v54, v56, v55, v57
	v_fma_f32 v55, -v57, v55, v56
	v_mul_f32_e32 v54, v54, v60
	v_mul_f32_e32 v60, v55, v60
.LBB52_44:                              ;   in Loop: Header=BB52_4 Depth=1
	s_andn2_saveexec_b64 s[14:15], s[14:15]
	s_cbranch_execz .LBB52_46
; %bb.45:                               ;   in Loop: Header=BB52_4 Depth=1
	v_div_scale_f32 v54, s[52:53], v1, v1, v57
	v_rcp_f32_e32 v55, v54
	v_div_scale_f32 v60, vcc, v57, v1, v57
	v_fma_f32 v62, -v54, v55, 1.0
	v_fmac_f32_e32 v55, v62, v55
	v_mul_f32_e32 v62, v60, v55
	v_fma_f32 v63, -v54, v62, v60
	v_fmac_f32_e32 v62, v63, v55
	v_fma_f32 v54, -v54, v62, v60
	v_div_scale_f32 v60, s[52:53], v61, v61, v56
	v_rcp_f32_e32 v63, v60
	v_div_fmas_f32 v54, v54, v55, v62
	v_div_fixup_f32 v54, v54, v1, v57
	v_fma_f32 v55, -v60, v63, 1.0
	v_fmac_f32_e32 v63, v55, v63
	v_div_scale_f32 v55, vcc, v56, v61, v56
	v_mul_f32_e32 v62, v55, v63
	v_fma_f32 v64, -v60, v62, v55
	v_fmac_f32_e32 v62, v64, v63
	v_fma_f32 v55, -v60, v62, v55
	v_div_fmas_f32 v55, v55, v63, v62
	v_div_fixup_f32 v60, v55, v61, v56
.LBB52_46:                              ;   in Loop: Header=BB52_4 Depth=1
	s_or_b64 exec, exec, s[14:15]
.LBB52_47:                              ;   in Loop: Header=BB52_4 Depth=1
	s_andn2_saveexec_b64 s[14:15], s[34:35]
	s_cbranch_execz .LBB52_49
; %bb.48:                               ;   in Loop: Header=BB52_4 Depth=1
	v_div_scale_f32 v54, s[34:35], v59, v59, v58
	v_rcp_f32_e32 v55, v54
	v_div_scale_f32 v60, vcc, v58, v59, v58
	v_fma_f32 v62, -v54, v55, 1.0
	v_fmac_f32_e32 v55, v62, v55
	v_mul_f32_e32 v62, v60, v55
	v_fma_f32 v63, -v54, v62, v60
	v_fmac_f32_e32 v62, v63, v55
	v_fma_f32 v54, -v54, v62, v60
	v_div_fmas_f32 v54, v54, v55, v62
	v_div_fixup_f32 v55, v54, v59, v58
	v_fma_f32 v54, v58, v55, v59
	v_div_scale_f32 v60, s[34:35], v54, v54, 1.0
	v_rcp_f32_e32 v62, v60
	v_fma_f32 v63, -v60, v62, 1.0
	v_fmac_f32_e32 v62, v63, v62
	v_div_scale_f32 v63, vcc, 1.0, v54, 1.0
	v_mul_f32_e32 v64, v63, v62
	v_fma_f32 v65, -v60, v64, v63
	v_fmac_f32_e32 v64, v65, v62
	v_fma_f32 v60, -v60, v64, v63
	v_div_fmas_f32 v60, v60, v62, v64
	v_div_fixup_f32 v60, v60, v54, 1.0
	v_fma_f32 v54, v57, v55, v56
	v_fma_f32 v55, v56, v55, -v57
	v_mul_f32_e32 v54, v54, v60
	v_mul_f32_e32 v60, v55, v60
.LBB52_49:                              ;   in Loop: Header=BB52_4 Depth=1
	s_or_b64 exec, exec, s[14:15]
	v_pk_mul_f32 v[64:65], v[54:55], s[16:17] op_sel_hi:[0,1]
	v_pk_mul_f32 v[62:63], v[60:61], s[16:17] op_sel_hi:[0,1]
	v_pk_fma_f32 v[54:55], v[60:61], s[16:17], v[64:65] op_sel:[0,0,1] op_sel_hi:[0,1,0] neg_lo:[1,0,0] neg_hi:[1,0,0]
	v_add_f32_e32 v54, v65, v62
	s_branch .LBB52_60
.LBB52_50:                              ;   in Loop: Header=BB52_4 Depth=1
                                        ; implicit-def: $vgpr55
	s_cbranch_execz .LBB52_60
; %bb.51:                               ;   in Loop: Header=BB52_4 Depth=1
                                        ; implicit-def: $vgpr55
	s_and_saveexec_b64 s[14:15], s[12:13]
	s_xor_b64 s[14:15], exec, s[14:15]
	s_cbranch_execz .LBB52_57
; %bb.52:                               ;   in Loop: Header=BB52_4 Depth=1
	v_cmp_neq_f32_e32 vcc, 0, v58
	v_cmp_neq_f32_e64 s[12:13], 0, v59
	s_or_b64 s[12:13], s[12:13], vcc
                                        ; implicit-def: $vgpr55
	s_and_saveexec_b64 s[34:35], s[12:13]
	s_xor_b64 s[12:13], exec, s[34:35]
	s_cbranch_execz .LBB52_54
; %bb.53:                               ;   in Loop: Header=BB52_4 Depth=1
	v_div_scale_f32 v1, s[34:35], v58, v58, v59
	v_rcp_f32_e32 v54, v1
	v_div_scale_f32 v55, vcc, v59, v58, v59
	v_fma_f32 v60, -v1, v54, 1.0
	v_fmac_f32_e32 v54, v60, v54
	v_mul_f32_e32 v60, v55, v54
	v_fma_f32 v61, -v1, v60, v55
	v_fmac_f32_e32 v60, v61, v54
	v_fma_f32 v1, -v1, v60, v55
	v_div_fmas_f32 v1, v1, v54, v60
	v_div_fixup_f32 v54, v1, v58, v59
	v_fmac_f32_e32 v58, v59, v54
	v_div_scale_f32 v1, s[34:35], v58, v58, 1.0
	v_rcp_f32_e32 v55, v1
	v_fma_f32 v59, -v1, v55, 1.0
	v_fmac_f32_e32 v55, v59, v55
	v_div_scale_f32 v59, vcc, 1.0, v58, 1.0
	v_mul_f32_e32 v60, v59, v55
	v_fma_f32 v61, -v1, v60, v59
	v_fmac_f32_e32 v60, v61, v55
	v_fma_f32 v1, -v1, v60, v59
	v_div_fmas_f32 v1, v1, v55, v60
	v_pk_mul_f32 v[54:55], v[56:57], v[54:55] op_sel_hi:[1,0]
	v_pk_add_f32 v[60:61], v[56:57], v[54:55] op_sel:[0,1] op_sel_hi:[1,0] neg_lo:[0,1] neg_hi:[0,1]
	v_pk_add_f32 v[54:55], v[56:57], v[54:55] op_sel:[0,1] op_sel_hi:[1,0]
	v_div_fixup_f32 v58, v1, v58, 1.0
	v_mov_b32_e32 v61, v55
	v_pk_mul_f32 v[54:55], v[60:61], v[58:59] op_sel_hi:[1,0]
                                        ; implicit-def: $vgpr61
                                        ; implicit-def: $vgpr56_vgpr57
                                        ; implicit-def: $vgpr1
.LBB52_54:                              ;   in Loop: Header=BB52_4 Depth=1
	s_andn2_saveexec_b64 s[12:13], s[12:13]
	s_cbranch_execz .LBB52_56
; %bb.55:                               ;   in Loop: Header=BB52_4 Depth=1
	v_div_scale_f32 v54, s[34:35], v61, v61, v56
	v_rcp_f32_e32 v55, v54
	v_div_scale_f32 v58, vcc, v56, v61, v56
	v_fma_f32 v59, -v54, v55, 1.0
	v_fmac_f32_e32 v55, v59, v55
	v_mul_f32_e32 v59, v58, v55
	v_fma_f32 v60, -v54, v59, v58
	v_fmac_f32_e32 v59, v60, v55
	v_fma_f32 v54, -v54, v59, v58
	v_div_scale_f32 v58, s[34:35], v1, v1, v57
	v_rcp_f32_e32 v60, v58
	v_div_fmas_f32 v54, v54, v55, v59
	v_div_fixup_f32 v54, v54, v61, v56
	v_fma_f32 v55, -v58, v60, 1.0
	v_fmac_f32_e32 v60, v55, v60
	v_div_scale_f32 v55, vcc, v57, v1, v57
	v_mul_f32_e32 v56, v55, v60
	v_fma_f32 v59, -v58, v56, v55
	v_fmac_f32_e32 v56, v59, v60
	v_fma_f32 v55, -v58, v56, v55
	v_div_fmas_f32 v55, v55, v60, v56
	v_div_fixup_f32 v55, v55, v1, v57
.LBB52_56:                              ;   in Loop: Header=BB52_4 Depth=1
	s_or_b64 exec, exec, s[12:13]
                                        ; implicit-def: $vgpr59
                                        ; implicit-def: $vgpr56_vgpr57
.LBB52_57:                              ;   in Loop: Header=BB52_4 Depth=1
	s_andn2_saveexec_b64 s[12:13], s[14:15]
	s_cbranch_execz .LBB52_59
; %bb.58:                               ;   in Loop: Header=BB52_4 Depth=1
	v_div_scale_f32 v1, s[14:15], v59, v59, v58
	v_rcp_f32_e32 v54, v1
	v_div_scale_f32 v55, vcc, v58, v59, v58
	v_fma_f32 v60, -v1, v54, 1.0
	v_fmac_f32_e32 v54, v60, v54
	v_mul_f32_e32 v60, v55, v54
	v_fma_f32 v61, -v1, v60, v55
	v_fmac_f32_e32 v60, v61, v54
	v_fma_f32 v1, -v1, v60, v55
	v_div_fmas_f32 v1, v1, v54, v60
	v_div_fixup_f32 v54, v1, v59, v58
	v_fmac_f32_e32 v59, v58, v54
	v_div_scale_f32 v1, s[14:15], v59, v59, 1.0
	v_rcp_f32_e32 v55, v1
	v_fma_f32 v58, -v1, v55, 1.0
	v_fmac_f32_e32 v55, v58, v55
	v_div_scale_f32 v58, vcc, 1.0, v59, 1.0
	v_mul_f32_e32 v60, v58, v55
	v_fma_f32 v61, -v1, v60, v58
	v_fmac_f32_e32 v60, v61, v55
	v_fma_f32 v1, -v1, v60, v58
	v_div_fmas_f32 v1, v1, v55, v60
	v_pk_fma_f32 v[60:61], v[56:57], v[54:55], v[56:57] op_sel:[0,0,1] op_sel_hi:[1,1,0] neg_lo:[0,0,1] neg_hi:[0,0,1]
	v_pk_fma_f32 v[54:55], v[56:57], v[54:55], v[56:57] op_sel:[0,0,1] op_sel_hi:[1,0,0]
	v_div_fixup_f32 v58, v1, v59, 1.0
	v_mov_b32_e32 v61, v55
	v_pk_mul_f32 v[54:55], v[60:61], v[58:59] op_sel_hi:[1,0]
.LBB52_59:                              ;   in Loop: Header=BB52_4 Depth=1
	s_or_b64 exec, exec, s[12:13]
.LBB52_60:                              ;   in Loop: Header=BB52_4 Depth=1
	v_cmp_gt_f32_e32 vcc, 0, v52
	v_cndmask_b32_e64 v1, v52, -v52, vcc
	v_cmp_gt_f32_e32 vcc, 0, v53
	v_cndmask_b32_e64 v59, v53, -v53, vcc
	s_and_b64 vcc, exec, s[10:11]
	v_cmp_ge_f32_e64 s[12:13], v1, v59
	s_cbranch_vccnz .LBB52_70
; %bb.61:                               ;   in Loop: Header=BB52_4 Depth=1
                                        ; implicit-def: $vgpr58
                                        ; implicit-def: $vgpr56
	s_and_saveexec_b64 s[14:15], s[12:13]
	s_xor_b64 s[34:35], exec, s[14:15]
	s_cbranch_execz .LBB52_67
; %bb.62:                               ;   in Loop: Header=BB52_4 Depth=1
	v_cmp_neq_f32_e32 vcc, 0, v52
	v_cmp_neq_f32_e64 s[14:15], 0, v53
	s_or_b64 s[14:15], s[14:15], vcc
                                        ; implicit-def: $vgpr58
                                        ; implicit-def: $vgpr56
	s_and_saveexec_b64 s[52:53], s[14:15]
	s_xor_b64 s[14:15], exec, s[52:53]
	s_cbranch_execz .LBB52_64
; %bb.63:                               ;   in Loop: Header=BB52_4 Depth=1
	v_div_scale_f32 v56, s[52:53], v52, v52, v53
	v_rcp_f32_e32 v57, v56
	v_div_scale_f32 v58, vcc, v53, v52, v53
	v_fma_f32 v60, -v56, v57, 1.0
	v_fmac_f32_e32 v57, v60, v57
	v_mul_f32_e32 v60, v58, v57
	v_fma_f32 v61, -v56, v60, v58
	v_fmac_f32_e32 v60, v61, v57
	v_fma_f32 v56, -v56, v60, v58
	v_div_fmas_f32 v56, v56, v57, v60
	v_div_fixup_f32 v57, v56, v52, v53
	v_fma_f32 v56, v53, v57, v52
	v_div_scale_f32 v58, s[52:53], v56, v56, 1.0
	v_rcp_f32_e32 v60, v58
	v_fma_f32 v61, -v58, v60, 1.0
	v_fmac_f32_e32 v60, v61, v60
	v_div_scale_f32 v61, vcc, 1.0, v56, 1.0
	v_mul_f32_e32 v62, v61, v60
	v_fma_f32 v63, -v58, v62, v61
	v_fmac_f32_e32 v62, v63, v60
	v_fma_f32 v58, -v58, v62, v61
	v_div_fmas_f32 v58, v58, v60, v62
	v_div_fixup_f32 v58, v58, v56, 1.0
	v_fma_f32 v56, v50, v57, v51
	v_fma_f32 v57, -v51, v57, v50
	v_mul_f32_e32 v56, v56, v58
	v_mul_f32_e32 v58, v57, v58
.LBB52_64:                              ;   in Loop: Header=BB52_4 Depth=1
	s_andn2_saveexec_b64 s[14:15], s[14:15]
	s_cbranch_execz .LBB52_66
; %bb.65:                               ;   in Loop: Header=BB52_4 Depth=1
	v_div_scale_f32 v56, s[52:53], v1, v1, v51
	v_rcp_f32_e32 v57, v56
	v_div_scale_f32 v58, vcc, v51, v1, v51
	v_fma_f32 v60, -v56, v57, 1.0
	v_fmac_f32_e32 v57, v60, v57
	v_mul_f32_e32 v60, v58, v57
	v_fma_f32 v61, -v56, v60, v58
	v_fmac_f32_e32 v60, v61, v57
	v_fma_f32 v56, -v56, v60, v58
	v_div_scale_f32 v58, s[52:53], v59, v59, v50
	v_rcp_f32_e32 v61, v58
	v_div_fmas_f32 v56, v56, v57, v60
	v_div_fixup_f32 v56, v56, v1, v51
	v_fma_f32 v57, -v58, v61, 1.0
	v_fmac_f32_e32 v61, v57, v61
	v_div_scale_f32 v57, vcc, v50, v59, v50
	v_mul_f32_e32 v60, v57, v61
	v_fma_f32 v62, -v58, v60, v57
	v_fmac_f32_e32 v60, v62, v61
	v_fma_f32 v57, -v58, v60, v57
	v_div_fmas_f32 v57, v57, v61, v60
	v_div_fixup_f32 v58, v57, v59, v50
.LBB52_66:                              ;   in Loop: Header=BB52_4 Depth=1
	s_or_b64 exec, exec, s[14:15]
.LBB52_67:                              ;   in Loop: Header=BB52_4 Depth=1
	s_andn2_saveexec_b64 s[14:15], s[34:35]
	s_cbranch_execz .LBB52_69
; %bb.68:                               ;   in Loop: Header=BB52_4 Depth=1
	v_div_scale_f32 v56, s[34:35], v53, v53, v52
	v_rcp_f32_e32 v57, v56
	v_div_scale_f32 v58, vcc, v52, v53, v52
	v_fma_f32 v60, -v56, v57, 1.0
	v_fmac_f32_e32 v57, v60, v57
	v_mul_f32_e32 v60, v58, v57
	v_fma_f32 v61, -v56, v60, v58
	v_fmac_f32_e32 v60, v61, v57
	v_fma_f32 v56, -v56, v60, v58
	v_div_fmas_f32 v56, v56, v57, v60
	v_div_fixup_f32 v57, v56, v53, v52
	v_fma_f32 v56, v52, v57, v53
	v_div_scale_f32 v58, s[34:35], v56, v56, 1.0
	v_rcp_f32_e32 v60, v58
	v_fma_f32 v61, -v58, v60, 1.0
	v_fmac_f32_e32 v60, v61, v60
	v_div_scale_f32 v61, vcc, 1.0, v56, 1.0
	v_mul_f32_e32 v62, v61, v60
	v_fma_f32 v63, -v58, v62, v61
	v_fmac_f32_e32 v62, v63, v60
	v_fma_f32 v58, -v58, v62, v61
	v_div_fmas_f32 v58, v58, v60, v62
	v_div_fixup_f32 v58, v58, v56, 1.0
	v_fma_f32 v56, v51, v57, v50
	v_fma_f32 v57, v50, v57, -v51
	v_mul_f32_e32 v56, v56, v58
	v_mul_f32_e32 v58, v57, v58
.LBB52_69:                              ;   in Loop: Header=BB52_4 Depth=1
	s_or_b64 exec, exec, s[14:15]
	v_pk_mul_f32 v[62:63], v[56:57], s[16:17] op_sel_hi:[0,1]
	v_pk_mul_f32 v[60:61], v[58:59], s[16:17] op_sel_hi:[0,1]
	v_pk_fma_f32 v[56:57], v[58:59], s[16:17], v[62:63] op_sel:[0,0,1] op_sel_hi:[0,1,0] neg_lo:[1,0,0] neg_hi:[1,0,0]
	v_add_f32_e32 v56, v63, v60
	s_branch .LBB52_80
.LBB52_70:                              ;   in Loop: Header=BB52_4 Depth=1
                                        ; implicit-def: $vgpr57
	s_cbranch_execz .LBB52_80
; %bb.71:                               ;   in Loop: Header=BB52_4 Depth=1
                                        ; implicit-def: $vgpr57
	s_and_saveexec_b64 s[14:15], s[12:13]
	s_xor_b64 s[14:15], exec, s[14:15]
	s_cbranch_execz .LBB52_77
; %bb.72:                               ;   in Loop: Header=BB52_4 Depth=1
	v_cmp_neq_f32_e32 vcc, 0, v52
	v_cmp_neq_f32_e64 s[12:13], 0, v53
	s_or_b64 s[12:13], s[12:13], vcc
                                        ; implicit-def: $vgpr57
	s_and_saveexec_b64 s[34:35], s[12:13]
	s_xor_b64 s[12:13], exec, s[34:35]
	s_cbranch_execz .LBB52_74
; %bb.73:                               ;   in Loop: Header=BB52_4 Depth=1
	v_div_scale_f32 v1, s[34:35], v52, v52, v53
	v_rcp_f32_e32 v56, v1
	v_div_scale_f32 v57, vcc, v53, v52, v53
	v_fma_f32 v58, -v1, v56, 1.0
	v_fmac_f32_e32 v56, v58, v56
	v_mul_f32_e32 v58, v57, v56
	v_fma_f32 v59, -v1, v58, v57
	v_fmac_f32_e32 v58, v59, v56
	v_fma_f32 v1, -v1, v58, v57
	v_div_fmas_f32 v1, v1, v56, v58
	v_div_fixup_f32 v56, v1, v52, v53
	v_fmac_f32_e32 v52, v53, v56
	v_div_scale_f32 v1, s[34:35], v52, v52, 1.0
	v_rcp_f32_e32 v53, v1
	v_fma_f32 v57, -v1, v53, 1.0
	v_fmac_f32_e32 v53, v57, v53
	v_div_scale_f32 v57, vcc, 1.0, v52, 1.0
	v_mul_f32_e32 v58, v57, v53
	v_fma_f32 v59, -v1, v58, v57
	v_fmac_f32_e32 v58, v59, v53
	v_fma_f32 v1, -v1, v58, v57
	v_pk_mul_f32 v[56:57], v[50:51], v[56:57] op_sel_hi:[1,0]
	v_div_fmas_f32 v1, v1, v53, v58
	v_pk_add_f32 v[58:59], v[50:51], v[56:57] op_sel:[0,1] op_sel_hi:[1,0] neg_lo:[0,1] neg_hi:[0,1]
	v_pk_add_f32 v[50:51], v[50:51], v[56:57] op_sel:[0,1] op_sel_hi:[1,0]
	v_div_fixup_f32 v52, v1, v52, 1.0
	v_mov_b32_e32 v59, v51
	v_pk_mul_f32 v[56:57], v[58:59], v[52:53] op_sel_hi:[1,0]
                                        ; implicit-def: $vgpr59
                                        ; implicit-def: $vgpr50_vgpr51
                                        ; implicit-def: $vgpr1
.LBB52_74:                              ;   in Loop: Header=BB52_4 Depth=1
	s_andn2_saveexec_b64 s[12:13], s[12:13]
	s_cbranch_execz .LBB52_76
; %bb.75:                               ;   in Loop: Header=BB52_4 Depth=1
	v_div_scale_f32 v52, s[34:35], v59, v59, v50
	v_rcp_f32_e32 v53, v52
	v_div_scale_f32 v56, vcc, v50, v59, v50
	v_fma_f32 v57, -v52, v53, 1.0
	v_fmac_f32_e32 v53, v57, v53
	v_mul_f32_e32 v57, v56, v53
	v_fma_f32 v58, -v52, v57, v56
	v_fmac_f32_e32 v57, v58, v53
	v_div_scale_f32 v58, s[34:35], v1, v1, v51
	v_rcp_f32_e32 v60, v58
	v_fma_f32 v52, -v52, v57, v56
	v_div_fmas_f32 v52, v52, v53, v57
	v_div_fixup_f32 v56, v52, v59, v50
	v_fma_f32 v50, -v58, v60, 1.0
	v_fmac_f32_e32 v60, v50, v60
	v_div_scale_f32 v50, vcc, v51, v1, v51
	v_mul_f32_e32 v52, v50, v60
	v_fma_f32 v53, -v58, v52, v50
	v_fmac_f32_e32 v52, v53, v60
	v_fma_f32 v50, -v58, v52, v50
	v_div_fmas_f32 v50, v50, v60, v52
	v_div_fixup_f32 v57, v50, v1, v51
.LBB52_76:                              ;   in Loop: Header=BB52_4 Depth=1
	s_or_b64 exec, exec, s[12:13]
                                        ; implicit-def: $vgpr53
                                        ; implicit-def: $vgpr50_vgpr51
.LBB52_77:                              ;   in Loop: Header=BB52_4 Depth=1
	s_andn2_saveexec_b64 s[12:13], s[14:15]
	s_cbranch_execz .LBB52_79
; %bb.78:                               ;   in Loop: Header=BB52_4 Depth=1
	v_div_scale_f32 v1, s[14:15], v53, v53, v52
	v_rcp_f32_e32 v56, v1
	v_div_scale_f32 v57, vcc, v52, v53, v52
	v_fma_f32 v58, -v1, v56, 1.0
	v_fmac_f32_e32 v56, v58, v56
	v_mul_f32_e32 v58, v57, v56
	v_fma_f32 v59, -v1, v58, v57
	v_fmac_f32_e32 v58, v59, v56
	v_fma_f32 v1, -v1, v58, v57
	v_div_fmas_f32 v1, v1, v56, v58
	v_div_fixup_f32 v56, v1, v53, v52
	v_fmac_f32_e32 v53, v52, v56
	v_div_scale_f32 v1, s[14:15], v53, v53, 1.0
	v_rcp_f32_e32 v52, v1
	v_fma_f32 v57, -v1, v52, 1.0
	v_fmac_f32_e32 v52, v57, v52
	v_div_scale_f32 v57, vcc, 1.0, v53, 1.0
	v_mul_f32_e32 v58, v57, v52
	v_fma_f32 v59, -v1, v58, v57
	v_fmac_f32_e32 v58, v59, v52
	v_fma_f32 v1, -v1, v58, v57
	v_div_fmas_f32 v1, v1, v52, v58
	v_pk_fma_f32 v[58:59], v[50:51], v[56:57], v[50:51] op_sel:[0,0,1] op_sel_hi:[1,1,0] neg_lo:[0,0,1] neg_hi:[0,0,1]
	v_pk_fma_f32 v[50:51], v[50:51], v[56:57], v[50:51] op_sel:[0,0,1] op_sel_hi:[1,0,0]
	v_div_fixup_f32 v52, v1, v53, 1.0
	v_mov_b32_e32 v59, v51
	v_pk_mul_f32 v[56:57], v[58:59], v[52:53] op_sel_hi:[1,0]
.LBB52_79:                              ;   in Loop: Header=BB52_4 Depth=1
	s_or_b64 exec, exec, s[12:13]
.LBB52_80:                              ;   in Loop: Header=BB52_4 Depth=1
	v_cmp_gt_f32_e32 vcc, 0, v46
	v_cndmask_b32_e64 v1, v46, -v46, vcc
	v_cmp_gt_f32_e32 vcc, 0, v47
	v_cndmask_b32_e64 v51, v47, -v47, vcc
	s_and_b64 vcc, exec, s[10:11]
	v_cmp_ge_f32_e64 s[10:11], v1, v51
	s_cbranch_vccnz .LBB52_90
; %bb.81:                               ;   in Loop: Header=BB52_4 Depth=1
                                        ; implicit-def: $vgpr52
                                        ; implicit-def: $vgpr50
	s_and_saveexec_b64 s[12:13], s[10:11]
	s_xor_b64 s[14:15], exec, s[12:13]
	s_cbranch_execz .LBB52_87
; %bb.82:                               ;   in Loop: Header=BB52_4 Depth=1
	v_cmp_neq_f32_e32 vcc, 0, v46
	v_cmp_neq_f32_e64 s[12:13], 0, v47
	s_or_b64 s[12:13], s[12:13], vcc
                                        ; implicit-def: $vgpr52
                                        ; implicit-def: $vgpr50
	s_and_saveexec_b64 s[34:35], s[12:13]
	s_xor_b64 s[12:13], exec, s[34:35]
	s_cbranch_execz .LBB52_84
; %bb.83:                               ;   in Loop: Header=BB52_4 Depth=1
	v_div_scale_f32 v50, s[34:35], v46, v46, v47
	v_rcp_f32_e32 v52, v50
	v_div_scale_f32 v53, vcc, v47, v46, v47
	v_fma_f32 v58, -v50, v52, 1.0
	v_fmac_f32_e32 v52, v58, v52
	v_mul_f32_e32 v58, v53, v52
	v_fma_f32 v59, -v50, v58, v53
	v_fmac_f32_e32 v58, v59, v52
	v_fma_f32 v50, -v50, v58, v53
	v_div_fmas_f32 v50, v50, v52, v58
	v_div_fixup_f32 v52, v50, v46, v47
	v_fma_f32 v50, v47, v52, v46
	v_div_scale_f32 v53, s[34:35], v50, v50, 1.0
	v_rcp_f32_e32 v58, v53
	v_fma_f32 v59, -v53, v58, 1.0
	v_fmac_f32_e32 v58, v59, v58
	v_div_scale_f32 v59, vcc, 1.0, v50, 1.0
	v_mul_f32_e32 v60, v59, v58
	v_fma_f32 v61, -v53, v60, v59
	v_fmac_f32_e32 v60, v61, v58
	v_fma_f32 v53, -v53, v60, v59
	v_div_fmas_f32 v53, v53, v58, v60
	v_div_fixup_f32 v53, v53, v50, 1.0
	v_fma_f32 v50, v44, v52, v45
	v_fma_f32 v52, -v45, v52, v44
	v_mul_f32_e32 v50, v50, v53
	v_mul_f32_e32 v52, v52, v53
.LBB52_84:                              ;   in Loop: Header=BB52_4 Depth=1
	s_andn2_saveexec_b64 s[12:13], s[12:13]
	s_cbranch_execz .LBB52_86
; %bb.85:                               ;   in Loop: Header=BB52_4 Depth=1
	v_div_scale_f32 v50, s[34:35], v1, v1, v45
	v_rcp_f32_e32 v52, v50
	v_div_scale_f32 v53, vcc, v45, v1, v45
	v_fma_f32 v58, -v50, v52, 1.0
	v_fmac_f32_e32 v52, v58, v52
	v_mul_f32_e32 v58, v53, v52
	v_fma_f32 v59, -v50, v58, v53
	v_fmac_f32_e32 v58, v59, v52
	v_fma_f32 v50, -v50, v58, v53
	v_div_scale_f32 v53, s[34:35], v51, v51, v44
	v_rcp_f32_e32 v59, v53
	v_div_fmas_f32 v50, v50, v52, v58
	v_div_fixup_f32 v50, v50, v1, v45
	v_fma_f32 v52, -v53, v59, 1.0
	v_fmac_f32_e32 v59, v52, v59
	v_div_scale_f32 v52, vcc, v44, v51, v44
	v_mul_f32_e32 v58, v52, v59
	v_fma_f32 v60, -v53, v58, v52
	v_fmac_f32_e32 v58, v60, v59
	v_fma_f32 v52, -v53, v58, v52
	v_div_fmas_f32 v52, v52, v59, v58
	v_div_fixup_f32 v52, v52, v51, v44
.LBB52_86:                              ;   in Loop: Header=BB52_4 Depth=1
	s_or_b64 exec, exec, s[12:13]
.LBB52_87:                              ;   in Loop: Header=BB52_4 Depth=1
	s_andn2_saveexec_b64 s[12:13], s[14:15]
	s_cbranch_execz .LBB52_89
; %bb.88:                               ;   in Loop: Header=BB52_4 Depth=1
	v_div_scale_f32 v50, s[14:15], v47, v47, v46
	v_rcp_f32_e32 v52, v50
	v_div_scale_f32 v53, vcc, v46, v47, v46
	v_fma_f32 v58, -v50, v52, 1.0
	v_fmac_f32_e32 v52, v58, v52
	v_mul_f32_e32 v58, v53, v52
	v_fma_f32 v59, -v50, v58, v53
	v_fmac_f32_e32 v58, v59, v52
	v_fma_f32 v50, -v50, v58, v53
	v_div_fmas_f32 v50, v50, v52, v58
	v_div_fixup_f32 v52, v50, v47, v46
	v_fma_f32 v50, v46, v52, v47
	v_div_scale_f32 v53, s[14:15], v50, v50, 1.0
	v_rcp_f32_e32 v58, v53
	v_fma_f32 v59, -v53, v58, 1.0
	v_fmac_f32_e32 v58, v59, v58
	v_div_scale_f32 v59, vcc, 1.0, v50, 1.0
	v_mul_f32_e32 v60, v59, v58
	v_fma_f32 v61, -v53, v60, v59
	v_fmac_f32_e32 v60, v61, v58
	v_fma_f32 v53, -v53, v60, v59
	v_div_fmas_f32 v53, v53, v58, v60
	v_div_fixup_f32 v53, v53, v50, 1.0
	v_fma_f32 v50, v45, v52, v44
	v_fma_f32 v52, v44, v52, -v45
	v_mul_f32_e32 v50, v50, v53
	v_mul_f32_e32 v52, v52, v53
.LBB52_89:                              ;   in Loop: Header=BB52_4 Depth=1
	s_or_b64 exec, exec, s[12:13]
	v_pk_mul_f32 v[58:59], v[50:51], s[16:17] op_sel_hi:[0,1]
	v_pk_mul_f32 v[60:61], v[52:53], s[28:29] op_sel_hi:[0,1]
	v_pk_fma_f32 v[52:53], v[50:51], s[16:17], v[60:61] op_sel_hi:[0,1,1] neg_lo:[0,0,1] neg_hi:[0,0,1]
	v_add_f32_e32 v50, v59, v61
	s_branch .LBB52_100
.LBB52_90:                              ;   in Loop: Header=BB52_4 Depth=1
                                        ; implicit-def: $vgpr52
                                        ; implicit-def: $vgpr50
	s_cbranch_execz .LBB52_100
; %bb.91:                               ;   in Loop: Header=BB52_4 Depth=1
                                        ; implicit-def: $vgpr52
                                        ; implicit-def: $vgpr50
	s_and_saveexec_b64 s[12:13], s[10:11]
	s_xor_b64 s[12:13], exec, s[12:13]
	s_cbranch_execz .LBB52_97
; %bb.92:                               ;   in Loop: Header=BB52_4 Depth=1
	v_cmp_neq_f32_e32 vcc, 0, v46
	v_cmp_neq_f32_e64 s[10:11], 0, v47
	s_or_b64 s[10:11], s[10:11], vcc
                                        ; implicit-def: $vgpr52
                                        ; implicit-def: $vgpr50
	s_and_saveexec_b64 s[14:15], s[10:11]
	s_xor_b64 s[10:11], exec, s[14:15]
	s_cbranch_execz .LBB52_94
; %bb.93:                               ;   in Loop: Header=BB52_4 Depth=1
	v_div_scale_f32 v1, s[14:15], v46, v46, v47
	v_rcp_f32_e32 v50, v1
	v_div_scale_f32 v51, vcc, v47, v46, v47
	v_fma_f32 v52, -v1, v50, 1.0
	v_fmac_f32_e32 v50, v52, v50
	v_mul_f32_e32 v52, v51, v50
	v_fma_f32 v53, -v1, v52, v51
	v_fmac_f32_e32 v52, v53, v50
	v_fma_f32 v1, -v1, v52, v51
	v_div_fmas_f32 v1, v1, v50, v52
	v_div_fixup_f32 v50, v1, v46, v47
	v_fmac_f32_e32 v46, v47, v50
	v_div_scale_f32 v1, s[14:15], v46, v46, 1.0
	v_rcp_f32_e32 v47, v1
	v_fma_f32 v51, -v1, v47, 1.0
	v_fmac_f32_e32 v47, v51, v47
	v_div_scale_f32 v51, vcc, 1.0, v46, 1.0
	v_mul_f32_e32 v52, v51, v47
	v_fma_f32 v53, -v1, v52, v51
	v_fmac_f32_e32 v52, v53, v47
	v_fma_f32 v1, -v1, v52, v51
	v_pk_mul_f32 v[50:51], v[44:45], v[50:51] op_sel_hi:[1,0]
	v_div_fmas_f32 v1, v1, v47, v52
	v_pk_add_f32 v[52:53], v[44:45], v[50:51] op_sel:[0,1] op_sel_hi:[1,0] neg_lo:[0,1] neg_hi:[0,1]
	v_pk_add_f32 v[44:45], v[44:45], v[50:51] op_sel:[0,1] op_sel_hi:[1,0]
	v_div_fixup_f32 v46, v1, v46, 1.0
	v_mov_b32_e32 v53, v45
	v_pk_mul_f32 v[50:51], v[52:53], v[46:47] op_sel_hi:[1,0]
	v_mov_b32_e32 v52, v51
                                        ; implicit-def: $vgpr51
                                        ; implicit-def: $vgpr44_vgpr45
                                        ; implicit-def: $vgpr1
.LBB52_94:                              ;   in Loop: Header=BB52_4 Depth=1
	s_andn2_saveexec_b64 s[10:11], s[10:11]
	s_cbranch_execz .LBB52_96
; %bb.95:                               ;   in Loop: Header=BB52_4 Depth=1
	v_div_scale_f32 v46, s[14:15], v51, v51, v44
	v_rcp_f32_e32 v47, v46
	v_div_scale_f32 v50, vcc, v44, v51, v44
	v_fma_f32 v52, -v46, v47, 1.0
	v_fmac_f32_e32 v47, v52, v47
	v_mul_f32_e32 v52, v50, v47
	v_fma_f32 v53, -v46, v52, v50
	v_fmac_f32_e32 v52, v53, v47
	v_div_scale_f32 v53, s[14:15], v1, v1, v45
	v_rcp_f32_e32 v58, v53
	v_fma_f32 v46, -v46, v52, v50
	v_div_fmas_f32 v46, v46, v47, v52
	v_div_fixup_f32 v50, v46, v51, v44
	v_fma_f32 v44, -v53, v58, 1.0
	v_fmac_f32_e32 v58, v44, v58
	v_div_scale_f32 v44, vcc, v45, v1, v45
	v_mul_f32_e32 v46, v44, v58
	v_fma_f32 v47, -v53, v46, v44
	v_fmac_f32_e32 v46, v47, v58
	v_fma_f32 v44, -v53, v46, v44
	v_div_fmas_f32 v44, v44, v58, v46
	v_div_fixup_f32 v52, v44, v1, v45
.LBB52_96:                              ;   in Loop: Header=BB52_4 Depth=1
	s_or_b64 exec, exec, s[10:11]
                                        ; implicit-def: $vgpr47
                                        ; implicit-def: $vgpr44_vgpr45
.LBB52_97:                              ;   in Loop: Header=BB52_4 Depth=1
	s_andn2_saveexec_b64 s[10:11], s[12:13]
	s_cbranch_execz .LBB52_99
; %bb.98:                               ;   in Loop: Header=BB52_4 Depth=1
	v_div_scale_f32 v1, s[12:13], v47, v47, v46
	v_rcp_f32_e32 v50, v1
	v_div_scale_f32 v51, vcc, v46, v47, v46
	v_fma_f32 v52, -v1, v50, 1.0
	v_fmac_f32_e32 v50, v52, v50
	v_mul_f32_e32 v52, v51, v50
	v_fma_f32 v53, -v1, v52, v51
	v_fmac_f32_e32 v52, v53, v50
	v_fma_f32 v1, -v1, v52, v51
	v_div_fmas_f32 v1, v1, v50, v52
	v_div_fixup_f32 v50, v1, v47, v46
	v_fmac_f32_e32 v47, v46, v50
	v_div_scale_f32 v1, s[12:13], v47, v47, 1.0
	v_rcp_f32_e32 v46, v1
	v_fma_f32 v51, -v1, v46, 1.0
	v_fmac_f32_e32 v46, v51, v46
	v_div_scale_f32 v51, vcc, 1.0, v47, 1.0
	v_mul_f32_e32 v52, v51, v46
	v_fma_f32 v53, -v1, v52, v51
	v_fmac_f32_e32 v52, v53, v46
	v_fma_f32 v1, -v1, v52, v51
	v_div_fmas_f32 v1, v1, v46, v52
	v_pk_fma_f32 v[52:53], v[44:45], v[50:51], v[44:45] op_sel:[0,0,1] op_sel_hi:[1,1,0] neg_lo:[0,0,1] neg_hi:[0,0,1]
	v_pk_fma_f32 v[44:45], v[44:45], v[50:51], v[44:45] op_sel:[0,0,1] op_sel_hi:[1,0,0]
	v_div_fixup_f32 v46, v1, v47, 1.0
	v_mov_b32_e32 v53, v45
	v_pk_mul_f32 v[50:51], v[52:53], v[46:47] op_sel_hi:[1,0]
	v_mov_b32_e32 v52, v51
.LBB52_99:                              ;   in Loop: Header=BB52_4 Depth=1
	s_or_b64 exec, exec, s[10:11]
.LBB52_100:                             ;   in Loop: Header=BB52_4 Depth=1
	s_and_saveexec_b64 s[10:11], s[0:1]
	s_xor_b64 s[0:1], exec, s[10:11]
	s_cbranch_execnz .LBB52_104
; %bb.101:                              ;   in Loop: Header=BB52_4 Depth=1
	s_or_b64 exec, exec, s[0:1]
	s_and_saveexec_b64 s[0:1], s[2:3]
	s_cbranch_execnz .LBB52_105
.LBB52_102:                             ;   in Loop: Header=BB52_4 Depth=1
	s_or_b64 exec, exec, s[0:1]
	s_and_saveexec_b64 s[0:1], s[6:7]
	s_cbranch_execnz .LBB52_106
.LBB52_103:                             ;   in Loop: Header=BB52_4 Depth=1
	s_or_b64 exec, exec, s[0:1]
	s_and_saveexec_b64 s[0:1], s[8:9]
	s_cbranch_execz .LBB52_3
	s_branch .LBB52_107
.LBB52_104:                             ;   in Loop: Header=BB52_4 Depth=1
	v_mov_b32_e32 v1, s21
	v_add_co_u32_e32 v44, vcc, s20, v6
	v_add_f32_e32 v36, v36, v49
	v_add_f32_e32 v37, v37, v48
	v_addc_co_u32_e32 v45, vcc, v7, v1, vcc
	global_store_dwordx2 v[44:45], v[36:37], off offset:-4
	s_or_b64 exec, exec, s[0:1]
	s_and_saveexec_b64 s[0:1], s[2:3]
	s_cbranch_execz .LBB52_102
.LBB52_105:                             ;   in Loop: Header=BB52_4 Depth=1
	v_add_f32_e32 v36, v38, v55
	v_mov_b32_e32 v1, s21
	v_add_co_u32_e32 v38, vcc, s20, v22
	v_add_f32_e32 v37, v39, v54
	v_addc_co_u32_e32 v39, vcc, v23, v1, vcc
	global_store_dwordx2 v[38:39], v[36:37], off
	s_or_b64 exec, exec, s[0:1]
	s_and_saveexec_b64 s[0:1], s[6:7]
	s_cbranch_execz .LBB52_103
.LBB52_106:                             ;   in Loop: Header=BB52_4 Depth=1
	v_mov_b32_e32 v1, s21
	v_add_co_u32_e32 v38, vcc, s20, v24
	v_add_f32_e32 v36, v40, v57
	v_add_f32_e32 v37, v41, v56
	v_addc_co_u32_e32 v39, vcc, v25, v1, vcc
	global_store_dwordx2 v[38:39], v[36:37], off offset:-4
	s_or_b64 exec, exec, s[0:1]
	s_and_saveexec_b64 s[0:1], s[8:9]
	s_cbranch_execz .LBB52_3
.LBB52_107:                             ;   in Loop: Header=BB52_4 Depth=1
	v_mov_b32_e32 v1, s21
	v_add_co_u32_e32 v38, vcc, s20, v14
	v_add_f32_e32 v36, v42, v52
	v_add_f32_e32 v37, v43, v50
	v_addc_co_u32_e32 v39, vcc, v15, v1, vcc
	global_store_dwordx2 v[38:39], v[36:37], off offset:-4
	s_branch .LBB52_3
.LBB52_108:
	s_mov_b64 s[10:11], 0
.LBB52_109:
	s_andn2_b64 vcc, exec, s[10:11]
	s_cbranch_vccnz .LBB52_193
; %bb.110:
	v_mov_b32_e32 v25, 0
	v_lshlrev_b32_e32 v24, 2, v0
	s_mov_b32 s14, 0
	v_cmp_gt_i64_e32 vcc, s[18:19], v[24:25]
	s_and_saveexec_b64 s[0:1], vcc
	s_cbranch_execz .LBB52_193
; %bb.111:
	s_load_dword s4, s[4:5], 0xc04
	s_and_b32 s2, s17, 0x7fffffff
	s_cmp_lg_u32 s2, 0
	v_cmp_neq_f32_e64 s[0:1], s16, 1.0
	s_cselect_b64 s[2:3], -1, 0
	s_or_b64 s[6:7], s[0:1], s[2:3]
	s_waitcnt lgkmcnt(0)
	s_and_b32 s0, s4, 0xffff
	v_add_lshl_u32 v24, v0, s0, 2
	s_lshl_b32 s15, s0, 2
	v_lshlrev_b32_e32 v26, 5, v0
	s_lshl_b32 s20, s0, 5
	s_mov_b64 s[8:9], 0
	s_mov_b64 s[10:11], 0xffff
	s_branch .LBB52_114
.LBB52_112:                             ;   in Loop: Header=BB52_114 Depth=1
	s_or_b64 exec, exec, s[0:1]
.LBB52_113:                             ;   in Loop: Header=BB52_114 Depth=1
	v_add_f32_e32 v2, v2, v8
	v_add_f32_e32 v3, v3, v9
	v_mov_b32_e32 v9, s42
	v_add_co_u32_e32 v8, vcc, s41, v26
	v_addc_co_u32_e32 v9, vcc, 0, v9, vcc
	v_cmp_le_i64_e32 vcc, s[18:19], v[24:25]
	v_cmp_lt_u64_e64 s[0:1], s[10:11], v[24:25]
	s_or_b64 s[0:1], vcc, s[0:1]
	s_add_u32 s33, s33, s20
	s_addc_u32 s36, s36, 0
	s_add_u32 s41, s41, s20
	s_addc_u32 s42, s42, 0
	s_add_u32 s37, s37, s20
	s_addc_u32 s38, s38, 0
	s_add_u32 s39, s39, s20
	v_add_f32_e32 v0, v0, v16
	v_add_f32_e32 v6, v6, v29
	;; [unrolled: 1-line block ×5, first 2 shown]
	s_addc_u32 s40, s40, 0
	v_add_f32_e32 v1, v1, v17
	global_store_dwordx4 v[8:9], v[4:7], off
	global_store_dwordx4 v[8:9], v[0:3], off offset:16
	s_and_b64 s[0:1], exec, s[0:1]
	v_mov_b32_e32 v0, s14
	v_add_co_u32_e32 v24, vcc, s15, v24
	s_or_b64 s[8:9], s[0:1], s[8:9]
	v_addc_co_u32_e32 v25, vcc, v25, v0, vcc
	s_andn2_b64 exec, exec, s[8:9]
	s_cbranch_execz .LBB52_193
.LBB52_114:                             ; =>This Inner Loop Header: Depth=1
	v_mov_b32_e32 v0, s36
	v_add_co_u32_e32 v8, vcc, s33, v26
	v_addc_co_u32_e32 v9, vcc, 0, v0, vcc
	global_load_dwordx4 v[0:3], v[8:9], off offset:16
	global_load_dwordx4 v[4:7], v[8:9], off
	v_mov_b32_e32 v9, s40
	v_add_co_u32_e32 v8, vcc, s39, v26
	v_addc_co_u32_e32 v9, vcc, 0, v9, vcc
	global_load_dwordx4 v[12:15], v[8:9], off offset:16
	global_load_dwordx4 v[20:23], v[8:9], off
	;; [unrolled: 5-line block ×3, first 2 shown]
	s_and_b64 vcc, exec, s[6:7]
	s_waitcnt vmcnt(2)
	v_cmp_gt_f32_e64 s[0:1], 0, v20
	v_cndmask_b32_e64 v30, v20, -v20, s[0:1]
	v_cmp_gt_f32_e64 s[0:1], 0, v21
	v_cndmask_b32_e64 v29, v21, -v21, s[0:1]
	v_cmp_ge_f32_e64 s[0:1], v30, v29
	s_cbranch_vccz .LBB52_124
; %bb.115:                              ;   in Loop: Header=BB52_114 Depth=1
                                        ; implicit-def: $vgpr28
                                        ; implicit-def: $vgpr31
	s_and_saveexec_b64 s[2:3], s[0:1]
	s_xor_b64 s[4:5], exec, s[2:3]
	s_cbranch_execz .LBB52_121
; %bb.116:                              ;   in Loop: Header=BB52_114 Depth=1
	v_cmp_neq_f32_e32 vcc, 0, v20
	v_cmp_neq_f32_e64 s[2:3], 0, v21
	s_or_b64 s[2:3], vcc, s[2:3]
                                        ; implicit-def: $vgpr28
                                        ; implicit-def: $vgpr31
	s_and_saveexec_b64 s[12:13], s[2:3]
	s_xor_b64 s[2:3], exec, s[12:13]
	s_cbranch_execz .LBB52_118
; %bb.117:                              ;   in Loop: Header=BB52_114 Depth=1
	v_div_scale_f32 v27, s[12:13], v20, v20, v21
	v_rcp_f32_e32 v28, v27
	v_div_scale_f32 v31, vcc, v21, v20, v21
	v_fma_f32 v32, -v27, v28, 1.0
	v_fmac_f32_e32 v28, v32, v28
	v_mul_f32_e32 v32, v31, v28
	v_fma_f32 v33, -v27, v32, v31
	v_fmac_f32_e32 v32, v33, v28
	v_fma_f32 v27, -v27, v32, v31
	v_div_fmas_f32 v27, v27, v28, v32
	v_div_fixup_f32 v27, v27, v20, v21
	v_fma_f32 v28, v21, v27, v20
	v_div_scale_f32 v31, s[12:13], v28, v28, 1.0
	v_rcp_f32_e32 v32, v31
	v_fma_f32 v33, -v31, v32, 1.0
	v_fmac_f32_e32 v32, v33, v32
	v_div_scale_f32 v33, vcc, 1.0, v28, 1.0
	v_mul_f32_e32 v34, v33, v32
	v_fma_f32 v35, -v31, v34, v33
	v_fmac_f32_e32 v34, v35, v32
	v_fma_f32 v31, -v31, v34, v33
	v_div_fmas_f32 v31, v31, v32, v34
	v_div_fixup_f32 v28, v31, v28, 1.0
	s_waitcnt vmcnt(0)
	v_fma_f32 v31, v17, v27, v16
	v_fma_f32 v27, -v16, v27, v17
	v_mul_f32_e32 v31, v31, v28
	v_mul_f32_e32 v28, v27, v28
.LBB52_118:                             ;   in Loop: Header=BB52_114 Depth=1
	s_andn2_saveexec_b64 s[2:3], s[2:3]
	s_cbranch_execz .LBB52_120
; %bb.119:                              ;   in Loop: Header=BB52_114 Depth=1
	s_waitcnt vmcnt(0)
	v_div_scale_f32 v27, s[12:13], v30, v30, v16
	v_rcp_f32_e32 v28, v27
	v_div_scale_f32 v31, vcc, v16, v30, v16
	v_fma_f32 v32, -v27, v28, 1.0
	v_fmac_f32_e32 v28, v32, v28
	v_mul_f32_e32 v32, v31, v28
	v_fma_f32 v33, -v27, v32, v31
	v_fmac_f32_e32 v32, v33, v28
	v_div_scale_f32 v33, s[12:13], v29, v29, v17
	v_rcp_f32_e32 v34, v33
	v_fma_f32 v27, -v27, v32, v31
	v_div_fmas_f32 v27, v27, v28, v32
	v_div_fixup_f32 v31, v27, v30, v16
	v_fma_f32 v27, -v33, v34, 1.0
	v_fmac_f32_e32 v34, v27, v34
	v_div_scale_f32 v27, vcc, v17, v29, v17
	v_mul_f32_e32 v28, v27, v34
	v_fma_f32 v32, -v33, v28, v27
	v_fmac_f32_e32 v28, v32, v34
	v_fma_f32 v27, -v33, v28, v27
	v_div_fmas_f32 v27, v27, v34, v28
	v_div_fixup_f32 v28, v27, v29, v17
.LBB52_120:                             ;   in Loop: Header=BB52_114 Depth=1
	s_or_b64 exec, exec, s[2:3]
.LBB52_121:                             ;   in Loop: Header=BB52_114 Depth=1
	s_andn2_saveexec_b64 s[2:3], s[4:5]
	s_cbranch_execz .LBB52_123
; %bb.122:                              ;   in Loop: Header=BB52_114 Depth=1
	v_div_scale_f32 v27, s[4:5], v21, v21, v20
	v_rcp_f32_e32 v28, v27
	v_div_scale_f32 v31, vcc, v20, v21, v20
	v_fma_f32 v32, -v27, v28, 1.0
	v_fmac_f32_e32 v28, v32, v28
	v_mul_f32_e32 v32, v31, v28
	v_fma_f32 v33, -v27, v32, v31
	v_fmac_f32_e32 v32, v33, v28
	v_fma_f32 v27, -v27, v32, v31
	v_div_fmas_f32 v27, v27, v28, v32
	v_div_fixup_f32 v27, v27, v21, v20
	v_fma_f32 v28, v20, v27, v21
	v_div_scale_f32 v31, s[4:5], v28, v28, 1.0
	v_rcp_f32_e32 v32, v31
	v_fma_f32 v33, -v31, v32, 1.0
	v_fmac_f32_e32 v32, v33, v32
	v_div_scale_f32 v33, vcc, 1.0, v28, 1.0
	v_mul_f32_e32 v34, v33, v32
	v_fma_f32 v35, -v31, v34, v33
	v_fmac_f32_e32 v34, v35, v32
	v_fma_f32 v31, -v31, v34, v33
	v_div_fmas_f32 v31, v31, v32, v34
	v_div_fixup_f32 v28, v31, v28, 1.0
	s_waitcnt vmcnt(0)
	v_fma_f32 v31, v16, v27, v17
	v_fma_f32 v27, v17, v27, -v16
	v_mul_f32_e32 v31, v31, v28
	v_mul_f32_e32 v28, v27, v28
.LBB52_123:                             ;   in Loop: Header=BB52_114 Depth=1
	s_or_b64 exec, exec, s[2:3]
	v_mul_f32_e32 v27, s17, v28
	v_mul_f32_e32 v28, s16, v28
	v_fma_f32 v27, v31, s16, -v27
	v_fmac_f32_e32 v28, s17, v31
	s_branch .LBB52_134
.LBB52_124:                             ;   in Loop: Header=BB52_114 Depth=1
                                        ; implicit-def: $vgpr28
                                        ; implicit-def: $vgpr27
	s_cbranch_execz .LBB52_134
; %bb.125:                              ;   in Loop: Header=BB52_114 Depth=1
                                        ; implicit-def: $vgpr28
                                        ; implicit-def: $vgpr27
	s_and_saveexec_b64 s[2:3], s[0:1]
	s_xor_b64 s[2:3], exec, s[2:3]
	s_cbranch_execz .LBB52_131
; %bb.126:                              ;   in Loop: Header=BB52_114 Depth=1
	v_cmp_neq_f32_e32 vcc, 0, v20
	v_cmp_neq_f32_e64 s[0:1], 0, v21
	s_or_b64 s[0:1], vcc, s[0:1]
                                        ; implicit-def: $vgpr28
                                        ; implicit-def: $vgpr27
	s_and_saveexec_b64 s[4:5], s[0:1]
	s_xor_b64 s[0:1], exec, s[4:5]
	s_cbranch_execz .LBB52_128
; %bb.127:                              ;   in Loop: Header=BB52_114 Depth=1
	v_div_scale_f32 v27, s[4:5], v20, v20, v21
	v_rcp_f32_e32 v28, v27
	v_div_scale_f32 v29, vcc, v21, v20, v21
	v_fma_f32 v30, -v27, v28, 1.0
	v_fmac_f32_e32 v28, v30, v28
	v_mul_f32_e32 v30, v29, v28
	v_fma_f32 v31, -v27, v30, v29
	v_fmac_f32_e32 v30, v31, v28
	v_fma_f32 v27, -v27, v30, v29
	v_div_fmas_f32 v27, v27, v28, v30
	v_div_fixup_f32 v28, v27, v20, v21
	v_fma_f32 v27, v21, v28, v20
	v_div_scale_f32 v29, s[4:5], v27, v27, 1.0
	v_rcp_f32_e32 v30, v29
	v_fma_f32 v31, -v29, v30, 1.0
	v_fmac_f32_e32 v30, v31, v30
	v_div_scale_f32 v31, vcc, 1.0, v27, 1.0
	v_mul_f32_e32 v32, v31, v30
	v_fma_f32 v33, -v29, v32, v31
	v_fmac_f32_e32 v32, v33, v30
	v_fma_f32 v29, -v29, v32, v31
	v_div_fmas_f32 v29, v29, v30, v32
	v_div_fixup_f32 v29, v29, v27, 1.0
	s_waitcnt vmcnt(0)
	v_fma_f32 v27, v17, v28, v16
	v_fma_f32 v28, -v16, v28, v17
	v_mul_f32_e32 v27, v27, v29
	v_mul_f32_e32 v28, v28, v29
                                        ; implicit-def: $vgpr30
                                        ; implicit-def: $vgpr29
.LBB52_128:                             ;   in Loop: Header=BB52_114 Depth=1
	s_andn2_saveexec_b64 s[0:1], s[0:1]
	s_cbranch_execz .LBB52_130
; %bb.129:                              ;   in Loop: Header=BB52_114 Depth=1
	s_waitcnt vmcnt(0)
	v_div_scale_f32 v27, s[4:5], v30, v30, v16
	v_rcp_f32_e32 v28, v27
	v_div_scale_f32 v31, vcc, v16, v30, v16
	v_fma_f32 v32, -v27, v28, 1.0
	v_fmac_f32_e32 v28, v32, v28
	v_mul_f32_e32 v32, v31, v28
	v_fma_f32 v33, -v27, v32, v31
	v_fmac_f32_e32 v32, v33, v28
	v_fma_f32 v27, -v27, v32, v31
	v_div_scale_f32 v31, s[4:5], v29, v29, v17
	v_rcp_f32_e32 v33, v31
	v_div_fmas_f32 v27, v27, v28, v32
	v_div_fixup_f32 v27, v27, v30, v16
	v_fma_f32 v28, -v31, v33, 1.0
	v_fmac_f32_e32 v33, v28, v33
	v_div_scale_f32 v28, vcc, v17, v29, v17
	v_mul_f32_e32 v30, v28, v33
	v_fma_f32 v32, -v31, v30, v28
	v_fmac_f32_e32 v30, v32, v33
	v_fma_f32 v28, -v31, v30, v28
	v_div_fmas_f32 v28, v28, v33, v30
	v_div_fixup_f32 v28, v28, v29, v17
.LBB52_130:                             ;   in Loop: Header=BB52_114 Depth=1
	s_or_b64 exec, exec, s[0:1]
.LBB52_131:                             ;   in Loop: Header=BB52_114 Depth=1
	s_andn2_saveexec_b64 s[0:1], s[2:3]
	s_cbranch_execz .LBB52_133
; %bb.132:                              ;   in Loop: Header=BB52_114 Depth=1
	v_div_scale_f32 v27, s[2:3], v21, v21, v20
	v_rcp_f32_e32 v28, v27
	v_div_scale_f32 v29, vcc, v20, v21, v20
	v_fma_f32 v30, -v27, v28, 1.0
	v_fmac_f32_e32 v28, v30, v28
	v_mul_f32_e32 v30, v29, v28
	v_fma_f32 v31, -v27, v30, v29
	v_fmac_f32_e32 v30, v31, v28
	v_fma_f32 v27, -v27, v30, v29
	v_div_fmas_f32 v27, v27, v28, v30
	v_div_fixup_f32 v28, v27, v21, v20
	v_fma_f32 v20, v20, v28, v21
	v_div_scale_f32 v21, s[2:3], v20, v20, 1.0
	v_rcp_f32_e32 v27, v21
	v_fma_f32 v29, -v21, v27, 1.0
	v_fmac_f32_e32 v27, v29, v27
	v_div_scale_f32 v29, vcc, 1.0, v20, 1.0
	v_mul_f32_e32 v30, v29, v27
	v_fma_f32 v31, -v21, v30, v29
	v_fmac_f32_e32 v30, v31, v27
	v_fma_f32 v21, -v21, v30, v29
	v_div_fmas_f32 v21, v21, v27, v30
	v_div_fixup_f32 v20, v21, v20, 1.0
	s_waitcnt vmcnt(0)
	v_fma_f32 v21, v16, v28, v17
	v_fma_f32 v16, v17, v28, -v16
	v_mul_f32_e32 v27, v21, v20
	v_mul_f32_e32 v28, v16, v20
.LBB52_133:                             ;   in Loop: Header=BB52_114 Depth=1
	s_or_b64 exec, exec, s[0:1]
.LBB52_134:                             ;   in Loop: Header=BB52_114 Depth=1
	v_cmp_gt_f32_e32 vcc, 0, v22
	v_cndmask_b32_e64 v20, v22, -v22, vcc
	v_cmp_gt_f32_e32 vcc, 0, v23
	s_waitcnt vmcnt(0)
	v_cndmask_b32_e64 v16, v23, -v23, vcc
	v_cndmask_b32_e64 v17, 0, 1, s[6:7]
	v_cmp_ne_u32_e64 s[0:1], 1, v17
	s_andn2_b64 vcc, exec, s[6:7]
	v_cmp_ge_f32_e64 s[2:3], v20, v16
	s_cbranch_vccnz .LBB52_144
; %bb.135:                              ;   in Loop: Header=BB52_114 Depth=1
                                        ; implicit-def: $vgpr21
                                        ; implicit-def: $vgpr17
	s_and_saveexec_b64 s[4:5], s[2:3]
	s_xor_b64 s[12:13], exec, s[4:5]
	s_cbranch_execz .LBB52_141
; %bb.136:                              ;   in Loop: Header=BB52_114 Depth=1
	v_cmp_neq_f32_e32 vcc, 0, v22
	v_cmp_neq_f32_e64 s[4:5], 0, v23
	s_or_b64 s[4:5], vcc, s[4:5]
                                        ; implicit-def: $vgpr21
                                        ; implicit-def: $vgpr17
	s_and_saveexec_b64 s[22:23], s[4:5]
	s_xor_b64 s[4:5], exec, s[22:23]
	s_cbranch_execz .LBB52_138
; %bb.137:                              ;   in Loop: Header=BB52_114 Depth=1
	v_div_scale_f32 v17, s[22:23], v22, v22, v23
	v_rcp_f32_e32 v21, v17
	v_div_scale_f32 v29, vcc, v23, v22, v23
	v_fma_f32 v30, -v17, v21, 1.0
	v_fmac_f32_e32 v21, v30, v21
	v_mul_f32_e32 v30, v29, v21
	v_fma_f32 v31, -v17, v30, v29
	v_fmac_f32_e32 v30, v31, v21
	v_fma_f32 v17, -v17, v30, v29
	v_div_fmas_f32 v17, v17, v21, v30
	v_div_fixup_f32 v21, v17, v22, v23
	v_fma_f32 v17, v23, v21, v22
	v_div_scale_f32 v29, s[22:23], v17, v17, 1.0
	v_rcp_f32_e32 v30, v29
	v_fma_f32 v31, -v29, v30, 1.0
	v_fmac_f32_e32 v30, v31, v30
	v_div_scale_f32 v31, vcc, 1.0, v17, 1.0
	v_mul_f32_e32 v32, v31, v30
	v_fma_f32 v33, -v29, v32, v31
	v_fmac_f32_e32 v32, v33, v30
	v_fma_f32 v29, -v29, v32, v31
	v_div_fmas_f32 v29, v29, v30, v32
	v_div_fixup_f32 v29, v29, v17, 1.0
	v_fma_f32 v17, v19, v21, v18
	v_fma_f32 v21, -v18, v21, v19
	v_mul_f32_e32 v17, v17, v29
	v_mul_f32_e32 v21, v21, v29
.LBB52_138:                             ;   in Loop: Header=BB52_114 Depth=1
	s_andn2_saveexec_b64 s[4:5], s[4:5]
	s_cbranch_execz .LBB52_140
; %bb.139:                              ;   in Loop: Header=BB52_114 Depth=1
	v_div_scale_f32 v17, s[22:23], v20, v20, v18
	v_rcp_f32_e32 v21, v17
	v_div_scale_f32 v29, vcc, v18, v20, v18
	v_fma_f32 v30, -v17, v21, 1.0
	v_fmac_f32_e32 v21, v30, v21
	v_mul_f32_e32 v30, v29, v21
	v_fma_f32 v31, -v17, v30, v29
	v_fmac_f32_e32 v30, v31, v21
	v_fma_f32 v17, -v17, v30, v29
	v_div_scale_f32 v29, s[22:23], v16, v16, v19
	v_rcp_f32_e32 v31, v29
	v_div_fmas_f32 v17, v17, v21, v30
	v_div_fixup_f32 v17, v17, v20, v18
	v_fma_f32 v21, -v29, v31, 1.0
	v_fmac_f32_e32 v31, v21, v31
	v_div_scale_f32 v21, vcc, v19, v16, v19
	v_mul_f32_e32 v30, v21, v31
	v_fma_f32 v32, -v29, v30, v21
	v_fmac_f32_e32 v30, v32, v31
	v_fma_f32 v21, -v29, v30, v21
	v_div_fmas_f32 v21, v21, v31, v30
	v_div_fixup_f32 v21, v21, v16, v19
.LBB52_140:                             ;   in Loop: Header=BB52_114 Depth=1
	s_or_b64 exec, exec, s[4:5]
.LBB52_141:                             ;   in Loop: Header=BB52_114 Depth=1
	s_andn2_saveexec_b64 s[4:5], s[12:13]
	s_cbranch_execz .LBB52_143
; %bb.142:                              ;   in Loop: Header=BB52_114 Depth=1
	v_div_scale_f32 v17, s[12:13], v23, v23, v22
	v_rcp_f32_e32 v21, v17
	v_div_scale_f32 v29, vcc, v22, v23, v22
	v_fma_f32 v30, -v17, v21, 1.0
	v_fmac_f32_e32 v21, v30, v21
	v_mul_f32_e32 v30, v29, v21
	v_fma_f32 v31, -v17, v30, v29
	v_fmac_f32_e32 v30, v31, v21
	v_fma_f32 v17, -v17, v30, v29
	v_div_fmas_f32 v17, v17, v21, v30
	v_div_fixup_f32 v21, v17, v23, v22
	v_fma_f32 v17, v22, v21, v23
	v_div_scale_f32 v29, s[12:13], v17, v17, 1.0
	v_rcp_f32_e32 v30, v29
	v_fma_f32 v31, -v29, v30, 1.0
	v_fmac_f32_e32 v30, v31, v30
	v_div_scale_f32 v31, vcc, 1.0, v17, 1.0
	v_mul_f32_e32 v32, v31, v30
	v_fma_f32 v33, -v29, v32, v31
	v_fmac_f32_e32 v32, v33, v30
	v_fma_f32 v29, -v29, v32, v31
	v_div_fmas_f32 v29, v29, v30, v32
	v_div_fixup_f32 v29, v29, v17, 1.0
	v_fma_f32 v17, v18, v21, v19
	v_fma_f32 v21, v19, v21, -v18
	v_mul_f32_e32 v17, v17, v29
	v_mul_f32_e32 v21, v21, v29
.LBB52_143:                             ;   in Loop: Header=BB52_114 Depth=1
	s_or_b64 exec, exec, s[4:5]
	v_mul_f32_e32 v29, s17, v21
	v_mul_f32_e32 v30, s16, v21
	v_fma_f32 v29, v17, s16, -v29
	v_fmac_f32_e32 v30, s17, v17
	s_branch .LBB52_154
.LBB52_144:                             ;   in Loop: Header=BB52_114 Depth=1
                                        ; implicit-def: $vgpr30
                                        ; implicit-def: $vgpr29
	s_cbranch_execz .LBB52_154
; %bb.145:                              ;   in Loop: Header=BB52_114 Depth=1
                                        ; implicit-def: $vgpr30
                                        ; implicit-def: $vgpr29
	s_and_saveexec_b64 s[4:5], s[2:3]
	s_xor_b64 s[4:5], exec, s[4:5]
	s_cbranch_execz .LBB52_151
; %bb.146:                              ;   in Loop: Header=BB52_114 Depth=1
	v_cmp_neq_f32_e32 vcc, 0, v22
	v_cmp_neq_f32_e64 s[2:3], 0, v23
	s_or_b64 s[2:3], vcc, s[2:3]
                                        ; implicit-def: $vgpr30
                                        ; implicit-def: $vgpr29
	s_and_saveexec_b64 s[12:13], s[2:3]
	s_xor_b64 s[2:3], exec, s[12:13]
	s_cbranch_execz .LBB52_148
; %bb.147:                              ;   in Loop: Header=BB52_114 Depth=1
	v_div_scale_f32 v16, s[12:13], v22, v22, v23
	v_rcp_f32_e32 v17, v16
	v_div_scale_f32 v20, vcc, v23, v22, v23
	v_fma_f32 v21, -v16, v17, 1.0
	v_fmac_f32_e32 v17, v21, v17
	v_mul_f32_e32 v21, v20, v17
	v_fma_f32 v29, -v16, v21, v20
	v_fmac_f32_e32 v21, v29, v17
	v_fma_f32 v16, -v16, v21, v20
	v_div_fmas_f32 v16, v16, v17, v21
	v_div_fixup_f32 v16, v16, v22, v23
	v_fmac_f32_e32 v22, v23, v16
	v_div_scale_f32 v17, s[12:13], v22, v22, 1.0
	v_rcp_f32_e32 v20, v17
	v_fma_f32 v21, -v17, v20, 1.0
	v_fmac_f32_e32 v20, v21, v20
	v_div_scale_f32 v21, vcc, 1.0, v22, 1.0
	v_mul_f32_e32 v23, v21, v20
	v_fma_f32 v29, -v17, v23, v21
	v_fmac_f32_e32 v23, v29, v20
	v_fma_f32 v17, -v17, v23, v21
	v_div_fmas_f32 v17, v17, v20, v23
	v_div_fixup_f32 v17, v17, v22, 1.0
	v_fma_f32 v20, v19, v16, v18
	v_fma_f32 v16, -v18, v16, v19
	v_mul_f32_e32 v29, v20, v17
	v_mul_f32_e32 v30, v16, v17
                                        ; implicit-def: $vgpr16_vgpr17_vgpr18_vgpr19
                                        ; implicit-def: $vgpr20
                                        ; implicit-def: $vgpr16
.LBB52_148:                             ;   in Loop: Header=BB52_114 Depth=1
	s_andn2_saveexec_b64 s[2:3], s[2:3]
	s_cbranch_execz .LBB52_150
; %bb.149:                              ;   in Loop: Header=BB52_114 Depth=1
	v_div_scale_f32 v17, s[12:13], v20, v20, v18
	v_rcp_f32_e32 v21, v17
	v_div_scale_f32 v22, vcc, v18, v20, v18
	v_fma_f32 v23, -v17, v21, 1.0
	v_fmac_f32_e32 v21, v23, v21
	v_mul_f32_e32 v23, v22, v21
	v_fma_f32 v29, -v17, v23, v22
	v_fmac_f32_e32 v23, v29, v21
	v_fma_f32 v17, -v17, v23, v22
	v_div_scale_f32 v22, s[12:13], v16, v16, v19
	v_rcp_f32_e32 v30, v22
	v_div_fmas_f32 v17, v17, v21, v23
	v_div_fixup_f32 v29, v17, v20, v18
	v_fma_f32 v17, -v22, v30, 1.0
	v_fmac_f32_e32 v30, v17, v30
	v_div_scale_f32 v17, vcc, v19, v16, v19
	v_mul_f32_e32 v18, v17, v30
	v_fma_f32 v20, -v22, v18, v17
	v_fmac_f32_e32 v18, v20, v30
	v_fma_f32 v17, -v22, v18, v17
	v_div_fmas_f32 v17, v17, v30, v18
	v_div_fixup_f32 v30, v17, v16, v19
.LBB52_150:                             ;   in Loop: Header=BB52_114 Depth=1
	s_or_b64 exec, exec, s[2:3]
                                        ; implicit-def: $vgpr20_vgpr21_vgpr22_vgpr23
                                        ; implicit-def: $vgpr16_vgpr17_vgpr18_vgpr19
.LBB52_151:                             ;   in Loop: Header=BB52_114 Depth=1
	s_andn2_saveexec_b64 s[2:3], s[4:5]
	s_cbranch_execz .LBB52_153
; %bb.152:                              ;   in Loop: Header=BB52_114 Depth=1
	v_div_scale_f32 v16, s[4:5], v23, v23, v22
	v_rcp_f32_e32 v17, v16
	v_div_scale_f32 v20, vcc, v22, v23, v22
	v_fma_f32 v21, -v16, v17, 1.0
	v_fmac_f32_e32 v17, v21, v17
	v_mul_f32_e32 v21, v20, v17
	v_fma_f32 v29, -v16, v21, v20
	v_fmac_f32_e32 v21, v29, v17
	v_fma_f32 v16, -v16, v21, v20
	v_div_fmas_f32 v16, v16, v17, v21
	v_div_fixup_f32 v16, v16, v23, v22
	v_fmac_f32_e32 v23, v22, v16
	v_div_scale_f32 v17, s[4:5], v23, v23, 1.0
	v_rcp_f32_e32 v20, v17
	v_fma_f32 v21, -v17, v20, 1.0
	v_fmac_f32_e32 v20, v21, v20
	v_div_scale_f32 v21, vcc, 1.0, v23, 1.0
	v_mul_f32_e32 v22, v21, v20
	v_fma_f32 v29, -v17, v22, v21
	v_fmac_f32_e32 v22, v29, v20
	v_fma_f32 v17, -v17, v22, v21
	v_div_fmas_f32 v17, v17, v20, v22
	v_div_fixup_f32 v17, v17, v23, 1.0
	v_fma_f32 v20, v18, v16, v19
	v_fma_f32 v16, v19, v16, -v18
	v_mul_f32_e32 v29, v20, v17
	v_mul_f32_e32 v30, v16, v17
.LBB52_153:                             ;   in Loop: Header=BB52_114 Depth=1
	s_or_b64 exec, exec, s[2:3]
.LBB52_154:                             ;   in Loop: Header=BB52_114 Depth=1
	v_cmp_gt_f32_e32 vcc, 0, v12
	v_cndmask_b32_e64 v19, v12, -v12, vcc
	v_cmp_gt_f32_e32 vcc, 0, v13
	v_cndmask_b32_e64 v18, v13, -v13, vcc
	s_and_b64 vcc, exec, s[0:1]
	v_cmp_ge_f32_e64 s[2:3], v19, v18
	s_cbranch_vccnz .LBB52_164
; %bb.155:                              ;   in Loop: Header=BB52_114 Depth=1
                                        ; implicit-def: $vgpr17
                                        ; implicit-def: $vgpr20
	s_and_saveexec_b64 s[4:5], s[2:3]
	s_xor_b64 s[12:13], exec, s[4:5]
	s_cbranch_execz .LBB52_161
; %bb.156:                              ;   in Loop: Header=BB52_114 Depth=1
	v_cmp_neq_f32_e32 vcc, 0, v12
	v_cmp_neq_f32_e64 s[4:5], 0, v13
	s_or_b64 s[4:5], vcc, s[4:5]
                                        ; implicit-def: $vgpr17
                                        ; implicit-def: $vgpr20
	s_and_saveexec_b64 s[22:23], s[4:5]
	s_xor_b64 s[4:5], exec, s[22:23]
	s_cbranch_execz .LBB52_158
; %bb.157:                              ;   in Loop: Header=BB52_114 Depth=1
	v_div_scale_f32 v16, s[22:23], v12, v12, v13
	v_rcp_f32_e32 v17, v16
	v_div_scale_f32 v20, vcc, v13, v12, v13
	v_fma_f32 v21, -v16, v17, 1.0
	v_fmac_f32_e32 v17, v21, v17
	v_mul_f32_e32 v21, v20, v17
	v_fma_f32 v22, -v16, v21, v20
	v_fmac_f32_e32 v21, v22, v17
	v_fma_f32 v16, -v16, v21, v20
	v_div_fmas_f32 v16, v16, v17, v21
	v_div_fixup_f32 v16, v16, v12, v13
	v_fma_f32 v17, v13, v16, v12
	v_div_scale_f32 v20, s[22:23], v17, v17, 1.0
	v_rcp_f32_e32 v21, v20
	v_fma_f32 v22, -v20, v21, 1.0
	v_fmac_f32_e32 v21, v22, v21
	v_div_scale_f32 v22, vcc, 1.0, v17, 1.0
	v_mul_f32_e32 v23, v22, v21
	v_fma_f32 v31, -v20, v23, v22
	v_fmac_f32_e32 v23, v31, v21
	v_fma_f32 v20, -v20, v23, v22
	v_div_fmas_f32 v20, v20, v21, v23
	v_div_fixup_f32 v17, v20, v17, 1.0
	v_fma_f32 v20, v9, v16, v8
	v_fma_f32 v16, -v8, v16, v9
	v_mul_f32_e32 v20, v20, v17
	v_mul_f32_e32 v17, v16, v17
.LBB52_158:                             ;   in Loop: Header=BB52_114 Depth=1
	s_andn2_saveexec_b64 s[4:5], s[4:5]
	s_cbranch_execz .LBB52_160
; %bb.159:                              ;   in Loop: Header=BB52_114 Depth=1
	v_div_scale_f32 v16, s[22:23], v19, v19, v8
	v_rcp_f32_e32 v17, v16
	v_div_scale_f32 v20, vcc, v8, v19, v8
	v_fma_f32 v21, -v16, v17, 1.0
	v_fmac_f32_e32 v17, v21, v17
	v_mul_f32_e32 v21, v20, v17
	v_fma_f32 v22, -v16, v21, v20
	v_fmac_f32_e32 v21, v22, v17
	v_div_scale_f32 v22, s[22:23], v18, v18, v9
	v_rcp_f32_e32 v23, v22
	v_fma_f32 v16, -v16, v21, v20
	v_div_fmas_f32 v16, v16, v17, v21
	v_div_fixup_f32 v20, v16, v19, v8
	v_fma_f32 v16, -v22, v23, 1.0
	v_fmac_f32_e32 v23, v16, v23
	v_div_scale_f32 v16, vcc, v9, v18, v9
	v_mul_f32_e32 v17, v16, v23
	v_fma_f32 v21, -v22, v17, v16
	v_fmac_f32_e32 v17, v21, v23
	v_fma_f32 v16, -v22, v17, v16
	v_div_fmas_f32 v16, v16, v23, v17
	v_div_fixup_f32 v17, v16, v18, v9
.LBB52_160:                             ;   in Loop: Header=BB52_114 Depth=1
	s_or_b64 exec, exec, s[4:5]
.LBB52_161:                             ;   in Loop: Header=BB52_114 Depth=1
	s_andn2_saveexec_b64 s[4:5], s[12:13]
	s_cbranch_execz .LBB52_163
; %bb.162:                              ;   in Loop: Header=BB52_114 Depth=1
	v_div_scale_f32 v16, s[12:13], v13, v13, v12
	v_rcp_f32_e32 v17, v16
	v_div_scale_f32 v20, vcc, v12, v13, v12
	v_fma_f32 v21, -v16, v17, 1.0
	v_fmac_f32_e32 v17, v21, v17
	v_mul_f32_e32 v21, v20, v17
	v_fma_f32 v22, -v16, v21, v20
	v_fmac_f32_e32 v21, v22, v17
	v_fma_f32 v16, -v16, v21, v20
	v_div_fmas_f32 v16, v16, v17, v21
	v_div_fixup_f32 v16, v16, v13, v12
	v_fma_f32 v17, v12, v16, v13
	v_div_scale_f32 v20, s[12:13], v17, v17, 1.0
	v_rcp_f32_e32 v21, v20
	v_fma_f32 v22, -v20, v21, 1.0
	v_fmac_f32_e32 v21, v22, v21
	v_div_scale_f32 v22, vcc, 1.0, v17, 1.0
	v_mul_f32_e32 v23, v22, v21
	v_fma_f32 v31, -v20, v23, v22
	v_fmac_f32_e32 v23, v31, v21
	v_fma_f32 v20, -v20, v23, v22
	v_div_fmas_f32 v20, v20, v21, v23
	v_div_fixup_f32 v17, v20, v17, 1.0
	v_fma_f32 v20, v8, v16, v9
	v_fma_f32 v16, v9, v16, -v8
	v_mul_f32_e32 v20, v20, v17
	v_mul_f32_e32 v17, v16, v17
.LBB52_163:                             ;   in Loop: Header=BB52_114 Depth=1
	s_or_b64 exec, exec, s[4:5]
	v_mul_f32_e32 v16, s17, v17
	v_mul_f32_e32 v17, s16, v17
	v_fma_f32 v16, v20, s16, -v16
	v_fmac_f32_e32 v17, s17, v20
	s_branch .LBB52_174
.LBB52_164:                             ;   in Loop: Header=BB52_114 Depth=1
                                        ; implicit-def: $vgpr17
                                        ; implicit-def: $vgpr16
	s_cbranch_execz .LBB52_174
; %bb.165:                              ;   in Loop: Header=BB52_114 Depth=1
                                        ; implicit-def: $vgpr17
                                        ; implicit-def: $vgpr16
	s_and_saveexec_b64 s[4:5], s[2:3]
	s_xor_b64 s[4:5], exec, s[4:5]
	s_cbranch_execz .LBB52_171
; %bb.166:                              ;   in Loop: Header=BB52_114 Depth=1
	v_cmp_neq_f32_e32 vcc, 0, v12
	v_cmp_neq_f32_e64 s[2:3], 0, v13
	s_or_b64 s[2:3], vcc, s[2:3]
                                        ; implicit-def: $vgpr17
                                        ; implicit-def: $vgpr16
	s_and_saveexec_b64 s[12:13], s[2:3]
	s_xor_b64 s[2:3], exec, s[12:13]
	s_cbranch_execz .LBB52_168
; %bb.167:                              ;   in Loop: Header=BB52_114 Depth=1
	v_div_scale_f32 v16, s[12:13], v12, v12, v13
	v_rcp_f32_e32 v17, v16
	v_div_scale_f32 v18, vcc, v13, v12, v13
	v_fma_f32 v19, -v16, v17, 1.0
	v_fmac_f32_e32 v17, v19, v17
	v_mul_f32_e32 v19, v18, v17
	v_fma_f32 v20, -v16, v19, v18
	v_fmac_f32_e32 v19, v20, v17
	v_fma_f32 v16, -v16, v19, v18
	v_div_fmas_f32 v16, v16, v17, v19
	v_div_fixup_f32 v17, v16, v12, v13
	v_fma_f32 v16, v13, v17, v12
	v_div_scale_f32 v18, s[12:13], v16, v16, 1.0
	v_rcp_f32_e32 v19, v18
	v_fma_f32 v20, -v18, v19, 1.0
	v_fmac_f32_e32 v19, v20, v19
	v_div_scale_f32 v20, vcc, 1.0, v16, 1.0
	v_mul_f32_e32 v21, v20, v19
	v_fma_f32 v22, -v18, v21, v20
	v_fmac_f32_e32 v21, v22, v19
	v_fma_f32 v18, -v18, v21, v20
	v_div_fmas_f32 v18, v18, v19, v21
	v_div_fixup_f32 v18, v18, v16, 1.0
	v_fma_f32 v16, v9, v17, v8
	v_fma_f32 v17, -v8, v17, v9
	v_mul_f32_e32 v16, v16, v18
	v_mul_f32_e32 v17, v17, v18
                                        ; implicit-def: $vgpr19
                                        ; implicit-def: $vgpr18
.LBB52_168:                             ;   in Loop: Header=BB52_114 Depth=1
	s_andn2_saveexec_b64 s[2:3], s[2:3]
	s_cbranch_execz .LBB52_170
; %bb.169:                              ;   in Loop: Header=BB52_114 Depth=1
	v_div_scale_f32 v16, s[12:13], v19, v19, v8
	v_rcp_f32_e32 v17, v16
	v_div_scale_f32 v20, vcc, v8, v19, v8
	v_fma_f32 v21, -v16, v17, 1.0
	v_fmac_f32_e32 v17, v21, v17
	v_mul_f32_e32 v21, v20, v17
	v_fma_f32 v22, -v16, v21, v20
	v_fmac_f32_e32 v21, v22, v17
	v_fma_f32 v16, -v16, v21, v20
	v_div_scale_f32 v20, s[12:13], v18, v18, v9
	v_rcp_f32_e32 v22, v20
	v_div_fmas_f32 v16, v16, v17, v21
	v_div_fixup_f32 v16, v16, v19, v8
	v_fma_f32 v17, -v20, v22, 1.0
	v_fmac_f32_e32 v22, v17, v22
	v_div_scale_f32 v17, vcc, v9, v18, v9
	v_mul_f32_e32 v19, v17, v22
	v_fma_f32 v21, -v20, v19, v17
	v_fmac_f32_e32 v19, v21, v22
	v_fma_f32 v17, -v20, v19, v17
	v_div_fmas_f32 v17, v17, v22, v19
	v_div_fixup_f32 v17, v17, v18, v9
.LBB52_170:                             ;   in Loop: Header=BB52_114 Depth=1
	s_or_b64 exec, exec, s[2:3]
.LBB52_171:                             ;   in Loop: Header=BB52_114 Depth=1
	s_andn2_saveexec_b64 s[2:3], s[4:5]
	s_cbranch_execz .LBB52_173
; %bb.172:                              ;   in Loop: Header=BB52_114 Depth=1
	v_div_scale_f32 v16, s[4:5], v13, v13, v12
	v_rcp_f32_e32 v17, v16
	v_div_scale_f32 v18, vcc, v12, v13, v12
	v_fma_f32 v19, -v16, v17, 1.0
	v_fmac_f32_e32 v17, v19, v17
	v_mul_f32_e32 v19, v18, v17
	v_fma_f32 v20, -v16, v19, v18
	v_fmac_f32_e32 v19, v20, v17
	v_fma_f32 v16, -v16, v19, v18
	v_div_fmas_f32 v16, v16, v17, v19
	v_div_fixup_f32 v17, v16, v13, v12
	v_fma_f32 v12, v12, v17, v13
	v_div_scale_f32 v13, s[4:5], v12, v12, 1.0
	v_rcp_f32_e32 v16, v13
	v_fma_f32 v18, -v13, v16, 1.0
	v_fmac_f32_e32 v16, v18, v16
	v_div_scale_f32 v18, vcc, 1.0, v12, 1.0
	v_mul_f32_e32 v19, v18, v16
	v_fma_f32 v20, -v13, v19, v18
	v_fmac_f32_e32 v19, v20, v16
	v_fma_f32 v13, -v13, v19, v18
	v_div_fmas_f32 v13, v13, v16, v19
	v_div_fixup_f32 v12, v13, v12, 1.0
	v_fma_f32 v13, v8, v17, v9
	v_fma_f32 v8, v9, v17, -v8
	v_mul_f32_e32 v16, v13, v12
	v_mul_f32_e32 v17, v8, v12
.LBB52_173:                             ;   in Loop: Header=BB52_114 Depth=1
	s_or_b64 exec, exec, s[2:3]
.LBB52_174:                             ;   in Loop: Header=BB52_114 Depth=1
	v_cmp_gt_f32_e32 vcc, 0, v15
	v_cndmask_b32_e64 v13, v15, -v15, vcc
	v_cmp_gt_f32_e32 vcc, 0, v14
	v_cndmask_b32_e64 v18, v14, -v14, vcc
	s_and_b64 vcc, exec, s[0:1]
	v_cmp_ge_f32_e64 s[0:1], v18, v13
	s_cbranch_vccnz .LBB52_184
; %bb.175:                              ;   in Loop: Header=BB52_114 Depth=1
                                        ; implicit-def: $vgpr12
                                        ; implicit-def: $vgpr8
	s_and_saveexec_b64 s[2:3], s[0:1]
	s_xor_b64 s[4:5], exec, s[2:3]
	s_cbranch_execz .LBB52_181
; %bb.176:                              ;   in Loop: Header=BB52_114 Depth=1
	v_cmp_neq_f32_e32 vcc, 0, v14
	v_cmp_neq_f32_e64 s[2:3], 0, v15
	s_or_b64 s[2:3], vcc, s[2:3]
                                        ; implicit-def: $vgpr12
                                        ; implicit-def: $vgpr8
	s_and_saveexec_b64 s[12:13], s[2:3]
	s_xor_b64 s[2:3], exec, s[12:13]
	s_cbranch_execz .LBB52_178
; %bb.177:                              ;   in Loop: Header=BB52_114 Depth=1
	v_div_scale_f32 v8, s[12:13], v14, v14, v15
	v_rcp_f32_e32 v9, v8
	v_div_scale_f32 v12, vcc, v15, v14, v15
	v_fma_f32 v19, -v8, v9, 1.0
	v_fmac_f32_e32 v9, v19, v9
	v_mul_f32_e32 v19, v12, v9
	v_fma_f32 v20, -v8, v19, v12
	v_fmac_f32_e32 v19, v20, v9
	v_fma_f32 v8, -v8, v19, v12
	v_div_fmas_f32 v8, v8, v9, v19
	v_div_fixup_f32 v9, v8, v14, v15
	v_fma_f32 v8, v15, v9, v14
	v_div_scale_f32 v12, s[12:13], v8, v8, 1.0
	v_rcp_f32_e32 v19, v12
	v_fma_f32 v20, -v12, v19, 1.0
	v_fmac_f32_e32 v19, v20, v19
	v_div_scale_f32 v20, vcc, 1.0, v8, 1.0
	v_mul_f32_e32 v21, v20, v19
	v_fma_f32 v22, -v12, v21, v20
	v_fmac_f32_e32 v21, v22, v19
	v_fma_f32 v12, -v12, v21, v20
	v_div_fmas_f32 v12, v12, v19, v21
	v_div_fixup_f32 v12, v12, v8, 1.0
	v_fma_f32 v8, v11, v9, v10
	v_fma_f32 v9, -v10, v9, v11
	v_mul_f32_e32 v8, v8, v12
	v_mul_f32_e32 v12, v9, v12
.LBB52_178:                             ;   in Loop: Header=BB52_114 Depth=1
	s_andn2_saveexec_b64 s[2:3], s[2:3]
	s_cbranch_execz .LBB52_180
; %bb.179:                              ;   in Loop: Header=BB52_114 Depth=1
	v_div_scale_f32 v8, s[12:13], v18, v18, v10
	v_rcp_f32_e32 v9, v8
	v_div_scale_f32 v12, vcc, v10, v18, v10
	v_fma_f32 v19, -v8, v9, 1.0
	v_fmac_f32_e32 v9, v19, v9
	v_mul_f32_e32 v19, v12, v9
	v_fma_f32 v20, -v8, v19, v12
	v_fmac_f32_e32 v19, v20, v9
	v_fma_f32 v8, -v8, v19, v12
	v_div_scale_f32 v12, s[12:13], v13, v13, v11
	v_rcp_f32_e32 v20, v12
	v_div_fmas_f32 v8, v8, v9, v19
	v_div_fixup_f32 v8, v8, v18, v10
	v_fma_f32 v9, -v12, v20, 1.0
	v_fmac_f32_e32 v20, v9, v20
	v_div_scale_f32 v9, vcc, v11, v13, v11
	v_mul_f32_e32 v19, v9, v20
	v_fma_f32 v21, -v12, v19, v9
	v_fmac_f32_e32 v19, v21, v20
	v_fma_f32 v9, -v12, v19, v9
	v_div_fmas_f32 v9, v9, v20, v19
	v_div_fixup_f32 v12, v9, v13, v11
.LBB52_180:                             ;   in Loop: Header=BB52_114 Depth=1
	s_or_b64 exec, exec, s[2:3]
.LBB52_181:                             ;   in Loop: Header=BB52_114 Depth=1
	s_andn2_saveexec_b64 s[2:3], s[4:5]
	s_cbranch_execz .LBB52_183
; %bb.182:                              ;   in Loop: Header=BB52_114 Depth=1
	v_div_scale_f32 v8, s[4:5], v15, v15, v14
	v_rcp_f32_e32 v9, v8
	v_div_scale_f32 v12, vcc, v14, v15, v14
	v_fma_f32 v19, -v8, v9, 1.0
	v_fmac_f32_e32 v9, v19, v9
	v_mul_f32_e32 v19, v12, v9
	v_fma_f32 v20, -v8, v19, v12
	v_fmac_f32_e32 v19, v20, v9
	v_fma_f32 v8, -v8, v19, v12
	v_div_fmas_f32 v8, v8, v9, v19
	v_div_fixup_f32 v9, v8, v15, v14
	v_fma_f32 v8, v14, v9, v15
	v_div_scale_f32 v12, s[4:5], v8, v8, 1.0
	v_rcp_f32_e32 v19, v12
	v_fma_f32 v20, -v12, v19, 1.0
	v_fmac_f32_e32 v19, v20, v19
	v_div_scale_f32 v20, vcc, 1.0, v8, 1.0
	v_mul_f32_e32 v21, v20, v19
	v_fma_f32 v22, -v12, v21, v20
	v_fmac_f32_e32 v21, v22, v19
	v_fma_f32 v12, -v12, v21, v20
	v_div_fmas_f32 v12, v12, v19, v21
	v_div_fixup_f32 v12, v12, v8, 1.0
	v_fma_f32 v8, v10, v9, v11
	v_fma_f32 v9, v11, v9, -v10
	v_mul_f32_e32 v8, v8, v12
	v_mul_f32_e32 v12, v9, v12
.LBB52_183:                             ;   in Loop: Header=BB52_114 Depth=1
	s_or_b64 exec, exec, s[2:3]
	v_pk_mul_f32 v[22:23], v[12:13], s[16:17] op_sel_hi:[0,1]
	v_pk_mul_f32 v[20:21], v[8:9], s[16:17] op_sel_hi:[0,1]
	v_pk_fma_f32 v[8:9], v[8:9], s[16:17], v[22:23] op_sel:[0,0,1] op_sel_hi:[0,1,0]
	v_sub_f32_e32 v8, v20, v23
	s_branch .LBB52_113
.LBB52_184:                             ;   in Loop: Header=BB52_114 Depth=1
                                        ; implicit-def: $vgpr9
	s_cbranch_execz .LBB52_113
; %bb.185:                              ;   in Loop: Header=BB52_114 Depth=1
                                        ; implicit-def: $vgpr9
	s_and_saveexec_b64 s[2:3], s[0:1]
	s_xor_b64 s[2:3], exec, s[2:3]
	s_cbranch_execz .LBB52_191
; %bb.186:                              ;   in Loop: Header=BB52_114 Depth=1
	v_cmp_neq_f32_e32 vcc, 0, v14
	v_cmp_neq_f32_e64 s[0:1], 0, v15
	s_or_b64 s[0:1], vcc, s[0:1]
                                        ; implicit-def: $vgpr9
	s_and_saveexec_b64 s[4:5], s[0:1]
	s_xor_b64 s[0:1], exec, s[4:5]
	s_cbranch_execz .LBB52_188
; %bb.187:                              ;   in Loop: Header=BB52_114 Depth=1
	v_div_scale_f32 v8, s[4:5], v14, v14, v15
	v_rcp_f32_e32 v9, v8
	v_div_scale_f32 v12, vcc, v15, v14, v15
	v_fma_f32 v13, -v8, v9, 1.0
	v_fmac_f32_e32 v9, v13, v9
	v_mul_f32_e32 v13, v12, v9
	v_fma_f32 v18, -v8, v13, v12
	v_fmac_f32_e32 v13, v18, v9
	v_fma_f32 v8, -v8, v13, v12
	v_div_fmas_f32 v8, v8, v9, v13
	v_div_fixup_f32 v8, v8, v14, v15
	v_fmac_f32_e32 v14, v15, v8
	v_div_scale_f32 v9, s[4:5], v14, v14, 1.0
	v_rcp_f32_e32 v12, v9
	v_fma_f32 v13, -v9, v12, 1.0
	v_fmac_f32_e32 v12, v13, v12
	v_div_scale_f32 v13, vcc, 1.0, v14, 1.0
	v_mul_f32_e32 v15, v13, v12
	v_fma_f32 v18, -v9, v15, v13
	v_fmac_f32_e32 v15, v18, v12
	v_fma_f32 v9, -v9, v15, v13
	v_div_fmas_f32 v9, v9, v12, v15
	v_div_fixup_f32 v12, v9, v14, 1.0
	v_pk_mul_f32 v[8:9], v[10:11], v[8:9] op_sel_hi:[1,0]
	v_pk_add_f32 v[14:15], v[10:11], v[8:9] op_sel:[0,1] op_sel_hi:[1,0] neg_lo:[0,1] neg_hi:[0,1]
	v_pk_add_f32 v[8:9], v[10:11], v[8:9] op_sel:[0,1] op_sel_hi:[1,0]
	v_mov_b32_e32 v9, v15
	v_pk_mul_f32 v[8:9], v[8:9], v[12:13] op_sel_hi:[1,0]
                                        ; implicit-def: $vgpr18
                                        ; implicit-def: $vgpr10_vgpr11
                                        ; implicit-def: $vgpr13
.LBB52_188:                             ;   in Loop: Header=BB52_114 Depth=1
	s_andn2_saveexec_b64 s[0:1], s[0:1]
	s_cbranch_execz .LBB52_190
; %bb.189:                              ;   in Loop: Header=BB52_114 Depth=1
	v_div_scale_f32 v8, s[4:5], v18, v18, v10
	v_rcp_f32_e32 v9, v8
	v_div_scale_f32 v12, vcc, v10, v18, v10
	v_fma_f32 v14, -v8, v9, 1.0
	v_fmac_f32_e32 v9, v14, v9
	v_mul_f32_e32 v14, v12, v9
	v_fma_f32 v15, -v8, v14, v12
	v_fmac_f32_e32 v14, v15, v9
	v_fma_f32 v8, -v8, v14, v12
	v_div_scale_f32 v12, s[4:5], v13, v13, v11
	v_rcp_f32_e32 v15, v12
	v_div_fmas_f32 v8, v8, v9, v14
	v_div_fixup_f32 v8, v8, v18, v10
	v_fma_f32 v9, -v12, v15, 1.0
	v_fmac_f32_e32 v15, v9, v15
	v_div_scale_f32 v9, vcc, v11, v13, v11
	v_mul_f32_e32 v10, v9, v15
	v_fma_f32 v14, -v12, v10, v9
	v_fmac_f32_e32 v10, v14, v15
	v_fma_f32 v9, -v12, v10, v9
	v_div_fmas_f32 v9, v9, v15, v10
	v_div_fixup_f32 v9, v9, v13, v11
.LBB52_190:                             ;   in Loop: Header=BB52_114 Depth=1
	s_or_b64 exec, exec, s[0:1]
                                        ; implicit-def: $vgpr12_vgpr13_vgpr14_vgpr15
                                        ; implicit-def: $vgpr10_vgpr11
.LBB52_191:                             ;   in Loop: Header=BB52_114 Depth=1
	s_andn2_saveexec_b64 s[0:1], s[2:3]
	s_cbranch_execz .LBB52_112
; %bb.192:                              ;   in Loop: Header=BB52_114 Depth=1
	v_div_scale_f32 v8, s[2:3], v15, v15, v14
	v_rcp_f32_e32 v9, v8
	v_div_scale_f32 v12, vcc, v14, v15, v14
	v_fma_f32 v13, -v8, v9, 1.0
	v_fmac_f32_e32 v9, v13, v9
	v_mul_f32_e32 v13, v12, v9
	v_fma_f32 v18, -v8, v13, v12
	v_fmac_f32_e32 v13, v18, v9
	v_fma_f32 v8, -v8, v13, v12
	v_div_fmas_f32 v8, v8, v9, v13
	v_div_fixup_f32 v8, v8, v15, v14
	v_fmac_f32_e32 v15, v14, v8
	v_div_scale_f32 v9, s[2:3], v15, v15, 1.0
	v_rcp_f32_e32 v12, v9
	v_fma_f32 v13, -v9, v12, 1.0
	v_fmac_f32_e32 v12, v13, v12
	v_div_scale_f32 v13, vcc, 1.0, v15, 1.0
	v_mul_f32_e32 v14, v13, v12
	v_fma_f32 v18, -v9, v14, v13
	v_fmac_f32_e32 v14, v18, v12
	v_fma_f32 v9, -v9, v14, v13
	v_div_fmas_f32 v9, v9, v12, v14
	v_div_fixup_f32 v12, v9, v15, 1.0
	v_pk_fma_f32 v[14:15], v[10:11], v[8:9], v[10:11] op_sel:[0,0,1] op_sel_hi:[1,0,0] neg_lo:[0,0,1] neg_hi:[0,0,1]
	v_pk_fma_f32 v[8:9], v[10:11], v[8:9], v[10:11] op_sel:[0,0,1] op_sel_hi:[1,0,0]
	v_mov_b32_e32 v9, v15
	v_pk_mul_f32 v[8:9], v[8:9], v[12:13] op_sel_hi:[1,0]
	s_branch .LBB52_112
.LBB52_193:
	s_endpgm
	.section	.rodata,"a",@progbits
	.p2align	6, 0x0
	.amdhsa_kernel _ZN2at6native12_GLOBAL__N_125multi_tensor_apply_kernelINS1_18TensorListMetadataILi4EEENS1_24PointwiseOpScalarFunctorIN3c107complexIfEELi4ELi3ELi3EEEJSt7dividesIS8_ES8_EEEvT_T0_DpT1_
		.amdhsa_group_segment_fixed_size 0
		.amdhsa_private_segment_fixed_size 0
		.amdhsa_kernarg_size 3320
		.amdhsa_user_sgpr_count 6
		.amdhsa_user_sgpr_private_segment_buffer 1
		.amdhsa_user_sgpr_dispatch_ptr 0
		.amdhsa_user_sgpr_queue_ptr 0
		.amdhsa_user_sgpr_kernarg_segment_ptr 1
		.amdhsa_user_sgpr_dispatch_id 0
		.amdhsa_user_sgpr_flat_scratch_init 0
		.amdhsa_user_sgpr_kernarg_preload_length 0
		.amdhsa_user_sgpr_kernarg_preload_offset 0
		.amdhsa_user_sgpr_private_segment_size 0
		.amdhsa_uses_dynamic_stack 0
		.amdhsa_system_sgpr_private_segment_wavefront_offset 0
		.amdhsa_system_sgpr_workgroup_id_x 1
		.amdhsa_system_sgpr_workgroup_id_y 0
		.amdhsa_system_sgpr_workgroup_id_z 0
		.amdhsa_system_sgpr_workgroup_info 0
		.amdhsa_system_vgpr_workitem_id 0
		.amdhsa_next_free_vgpr 68
		.amdhsa_next_free_sgpr 54
		.amdhsa_accum_offset 68
		.amdhsa_reserve_vcc 1
		.amdhsa_reserve_flat_scratch 0
		.amdhsa_float_round_mode_32 0
		.amdhsa_float_round_mode_16_64 0
		.amdhsa_float_denorm_mode_32 3
		.amdhsa_float_denorm_mode_16_64 3
		.amdhsa_dx10_clamp 1
		.amdhsa_ieee_mode 1
		.amdhsa_fp16_overflow 0
		.amdhsa_tg_split 0
		.amdhsa_exception_fp_ieee_invalid_op 0
		.amdhsa_exception_fp_denorm_src 0
		.amdhsa_exception_fp_ieee_div_zero 0
		.amdhsa_exception_fp_ieee_overflow 0
		.amdhsa_exception_fp_ieee_underflow 0
		.amdhsa_exception_fp_ieee_inexact 0
		.amdhsa_exception_int_div_zero 0
	.end_amdhsa_kernel
	.section	.text._ZN2at6native12_GLOBAL__N_125multi_tensor_apply_kernelINS1_18TensorListMetadataILi4EEENS1_24PointwiseOpScalarFunctorIN3c107complexIfEELi4ELi3ELi3EEEJSt7dividesIS8_ES8_EEEvT_T0_DpT1_,"axG",@progbits,_ZN2at6native12_GLOBAL__N_125multi_tensor_apply_kernelINS1_18TensorListMetadataILi4EEENS1_24PointwiseOpScalarFunctorIN3c107complexIfEELi4ELi3ELi3EEEJSt7dividesIS8_ES8_EEEvT_T0_DpT1_,comdat
.Lfunc_end52:
	.size	_ZN2at6native12_GLOBAL__N_125multi_tensor_apply_kernelINS1_18TensorListMetadataILi4EEENS1_24PointwiseOpScalarFunctorIN3c107complexIfEELi4ELi3ELi3EEEJSt7dividesIS8_ES8_EEEvT_T0_DpT1_, .Lfunc_end52-_ZN2at6native12_GLOBAL__N_125multi_tensor_apply_kernelINS1_18TensorListMetadataILi4EEENS1_24PointwiseOpScalarFunctorIN3c107complexIfEELi4ELi3ELi3EEEJSt7dividesIS8_ES8_EEEvT_T0_DpT1_
                                        ; -- End function
	.section	.AMDGPU.csdata,"",@progbits
; Kernel info:
; codeLenInByte = 11692
; NumSgprs: 58
; NumVgprs: 68
; NumAgprs: 0
; TotalNumVgprs: 68
; ScratchSize: 0
; MemoryBound: 1
; FloatMode: 240
; IeeeMode: 1
; LDSByteSize: 0 bytes/workgroup (compile time only)
; SGPRBlocks: 7
; VGPRBlocks: 8
; NumSGPRsForWavesPerEU: 58
; NumVGPRsForWavesPerEU: 68
; AccumOffset: 68
; Occupancy: 7
; WaveLimiterHint : 0
; COMPUTE_PGM_RSRC2:SCRATCH_EN: 0
; COMPUTE_PGM_RSRC2:USER_SGPR: 6
; COMPUTE_PGM_RSRC2:TRAP_HANDLER: 0
; COMPUTE_PGM_RSRC2:TGID_X_EN: 1
; COMPUTE_PGM_RSRC2:TGID_Y_EN: 0
; COMPUTE_PGM_RSRC2:TGID_Z_EN: 0
; COMPUTE_PGM_RSRC2:TIDIG_COMP_CNT: 0
; COMPUTE_PGM_RSRC3_GFX90A:ACCUM_OFFSET: 16
; COMPUTE_PGM_RSRC3_GFX90A:TG_SPLIT: 0
	.section	.text._ZN2at6native12_GLOBAL__N_125multi_tensor_apply_kernelINS1_18TensorListMetadataILi4EEENS1_24PointwiseOpScalarFunctorIN3c104HalfELi4ELi3ELi3EEEJSt7dividesIfEfEEEvT_T0_DpT1_,"axG",@progbits,_ZN2at6native12_GLOBAL__N_125multi_tensor_apply_kernelINS1_18TensorListMetadataILi4EEENS1_24PointwiseOpScalarFunctorIN3c104HalfELi4ELi3ELi3EEEJSt7dividesIfEfEEEvT_T0_DpT1_,comdat
	.globl	_ZN2at6native12_GLOBAL__N_125multi_tensor_apply_kernelINS1_18TensorListMetadataILi4EEENS1_24PointwiseOpScalarFunctorIN3c104HalfELi4ELi3ELi3EEEJSt7dividesIfEfEEEvT_T0_DpT1_ ; -- Begin function _ZN2at6native12_GLOBAL__N_125multi_tensor_apply_kernelINS1_18TensorListMetadataILi4EEENS1_24PointwiseOpScalarFunctorIN3c104HalfELi4ELi3ELi3EEEJSt7dividesIfEfEEEvT_T0_DpT1_
	.p2align	8
	.type	_ZN2at6native12_GLOBAL__N_125multi_tensor_apply_kernelINS1_18TensorListMetadataILi4EEENS1_24PointwiseOpScalarFunctorIN3c104HalfELi4ELi3ELi3EEEJSt7dividesIfEfEEEvT_T0_DpT1_,@function
_ZN2at6native12_GLOBAL__N_125multi_tensor_apply_kernelINS1_18TensorListMetadataILi4EEENS1_24PointwiseOpScalarFunctorIN3c104HalfELi4ELi3ELi3EEEJSt7dividesIfEfEEEvT_T0_DpT1_: ; @_ZN2at6native12_GLOBAL__N_125multi_tensor_apply_kernelINS1_18TensorListMetadataILi4EEENS1_24PointwiseOpScalarFunctorIN3c104HalfELi4ELi3ELi3EEEJSt7dividesIfEfEEEvT_T0_DpT1_
; %bb.0:
	v_mov_b32_e32 v1, s6
	global_load_ubyte v1, v1, s[4:5] offset:1440
	s_add_u32 s0, s4, s6
	s_mul_hi_u32 s1, s6, 3
	s_mul_i32 s6, s6, 3
	s_addc_u32 s2, s5, 0
	s_add_u32 s0, s0, s6
	s_addc_u32 s1, s2, s1
	s_load_dword s0, s[0:1], 0x6e0
	s_mov_b32 s3, 0
	s_mov_b32 s7, s3
	;; [unrolled: 1-line block ×3, first 2 shown]
	s_waitcnt lgkmcnt(0)
	s_ashr_i32 s1, s0, 31
	s_lshl_b64 s[24:25], s[0:1], 17
	s_waitcnt vmcnt(0)
	v_readfirstlane_b32 s2, v1
	s_lshl_b32 s2, s2, 3
	s_load_dwordx2 s[12:13], s[4:5], s2 offset:0x0
	s_load_dwordx2 s[14:15], s[4:5], s2 offset:0x120
	s_load_dword s16, s[4:5], 0xbec
	s_load_dwordx2 s[10:11], s[4:5], s2 offset:0x480
	s_load_dwordx2 s[18:19], s[4:5], s2 offset:0x240
	;; [unrolled: 1-line block ×3, first 2 shown]
	s_waitcnt lgkmcnt(0)
	s_add_u32 s6, s14, s24
	s_and_b32 s2, s12, 7
	s_and_b32 s6, s6, 7
	s_cmp_eq_u64 s[6:7], 0
	s_cselect_b64 s[6:7], -1, 0
	s_add_u32 s8, s18, s24
	s_or_b32 s8, s20, s8
	s_and_b32 s8, s8, 7
	s_cmp_eq_u32 s8, 0
	s_cselect_b64 s[22:23], -1, 0
	s_lshl_b64 s[0:1], s[0:1], 16
	s_and_b64 s[6:7], s[22:23], s[6:7]
	s_sub_u32 s22, s10, s0
	s_subb_u32 s23, s11, s1
	s_and_b32 s8, s10, 3
	s_or_b64 s[0:1], s[2:3], s[8:9]
	s_cmp_eq_u64 s[0:1], 0
	s_cselect_b64 s[0:1], -1, 0
	s_and_b64 s[2:3], s[6:7], s[0:1]
	s_mov_b64 s[0:1], -1
	s_and_b64 vcc, exec, s[2:3]
	s_cbranch_vccnz .LBB53_29
; %bb.1:
	v_cmp_lt_i64_e64 s[0:1], s[22:23], 1
	s_and_b64 vcc, exec, s[0:1]
	s_cbranch_vccnz .LBB53_28
; %bb.2:
	s_load_dword s0, s[4:5], 0xbfc
	v_mov_b32_e32 v19, 0
	v_lshlrev_b32_e32 v18, 1, v0
	v_mov_b32_e32 v21, s13
	v_mov_b32_e32 v23, s15
	s_waitcnt lgkmcnt(0)
	s_and_b32 s8, s0, 0xffff
	v_mad_u64_u32 v[16:17], s[6:7], s8, 6, v[18:19]
	v_add_co_u32_e64 v10, s[6:7], s12, v16
	v_addc_co_u32_e64 v5, s[6:7], v21, v17, s[6:7]
	v_add_co_u32_e64 v12, s[6:7], s14, v16
	v_addc_co_u32_e64 v7, s[6:7], v23, v17, s[6:7]
	v_mov_b32_e32 v27, s19
	v_add_co_u32_e64 v14, s[6:7], s18, v16
	v_mov_b32_e32 v2, 0x10000
	v_addc_co_u32_e64 v9, s[6:7], v27, v17, s[6:7]
	v_mov_b32_e32 v3, 0
	v_mov_b32_e32 v31, s21
	v_add_co_u32_e64 v16, s[6:7], s20, v16
	v_cmp_lt_u64_e32 vcc, s[22:23], v[2:3]
	s_mul_i32 s10, s8, 3
	v_addc_co_u32_e64 v11, s[6:7], v31, v17, s[6:7]
	s_and_b64 s[0:1], vcc, exec
	v_add_co_u32_e32 v2, vcc, s12, v18
	v_add_co_u32_e64 v33, s[6:7], s10, v0
	s_cselect_b32 s27, s23, 0
	s_cselect_b32 s26, s22, 0x10000
	s_lshl_b32 s33, s8, 2
	v_addc_co_u32_e32 v1, vcc, 0, v21, vcc
	v_addc_co_u32_e64 v34, s[6:7], 0, 0, s[6:7]
	v_add_co_u32_e32 v4, vcc, s14, v18
	v_add_co_u32_e64 v19, s[6:7], s33, v18
	v_addc_co_u32_e32 v3, vcc, 0, v23, vcc
	v_addc_co_u32_e64 v25, s[6:7], 0, 0, s[6:7]
	v_add_co_u32_e32 v6, vcc, s18, v18
	v_add_co_u32_e64 v8, s[2:3], s20, v18
	v_add_co_u32_e64 v18, s[6:7], s12, v19
	v_addc_co_u32_e64 v13, s[6:7], v21, v25, s[6:7]
	v_add_co_u32_e64 v20, s[6:7], s14, v19
	v_addc_co_u32_e64 v15, s[6:7], v23, v25, s[6:7]
	;; [unrolled: 2-line block ×3, first 2 shown]
	v_add_co_u32_e64 v24, s[6:7], s20, v19
	s_lshl_b32 s9, s8, 1
	v_addc_co_u32_e64 v19, s[6:7], v31, v25, s[6:7]
	v_add_co_u32_e64 v35, s[6:7], s9, v0
	v_addc_co_u32_e64 v36, s[6:7], 0, 0, s[6:7]
	v_add_co_u32_e64 v37, s[6:7], s8, v0
	v_addc_co_u32_e64 v38, s[6:7], 0, 0, s[6:7]
	v_lshlrev_b32_e32 v29, 1, v37
	v_addc_co_u32_e32 v25, vcc, 0, v27, vcc
	v_add_co_u32_e64 v26, s[6:7], s12, v29
	v_add_co_u32_e32 v30, vcc, s18, v29
	v_addc_co_u32_e64 v21, s[6:7], 0, v21, s[6:7]
	v_addc_co_u32_e32 v27, vcc, 0, v27, vcc
	v_add_co_u32_e64 v28, s[6:7], s14, v29
	v_add_co_u32_e32 v32, vcc, s20, v29
	s_mov_b32 s17, 0
	v_cmp_eq_f32_e64 s[0:1], s16, 1.0
	s_lshl_b32 s34, s8, 3
	s_mov_b64 s[28:29], 0
	v_addc_co_u32_e64 v23, s[6:7], 0, v23, s[6:7]
	v_addc_co_u32_e64 v29, s[2:3], 0, v31, s[2:3]
	v_addc_co_u32_e32 v31, vcc, 0, v31, vcc
	s_branch .LBB53_4
.LBB53_3:                               ;   in Loop: Header=BB53_4 Depth=1
	s_or_b64 exec, exec, s[2:3]
	s_waitcnt vmcnt(1)
	v_mov_b32_e32 v39, s17
	v_add_co_u32_e64 v2, s[6:7], s34, v2
	v_addc_co_u32_e64 v1, s[6:7], v1, v39, s[6:7]
	v_add_co_u32_e64 v4, s[6:7], s34, v4
	v_addc_co_u32_e64 v3, s[6:7], v3, v39, s[6:7]
	;; [unrolled: 2-line block ×12, first 2 shown]
	v_add_co_u32_e64 v26, s[6:7], s34, v26
	s_add_u32 s28, s28, s33
	v_addc_co_u32_e64 v21, s[6:7], v21, v39, s[6:7]
	s_addc_u32 s29, s29, 0
	v_pk_mov_b32 v[40:41], s[22:23], s[22:23] op_sel:[0,1]
	v_add_co_u32_e64 v28, s[6:7], s34, v28
	v_cmp_lt_i64_e32 vcc, s[28:29], v[40:41]
	v_mov_b32_e32 v40, 0x10000
	v_addc_co_u32_e64 v23, s[6:7], v23, v39, s[6:7]
	v_mov_b32_e32 v41, 0
	v_add_co_u32_e64 v30, s[6:7], s34, v30
	v_cmp_lt_u64_e64 s[2:3], s[28:29], v[40:41]
	v_addc_co_u32_e64 v27, s[6:7], v27, v39, s[6:7]
	v_add_co_u32_e64 v32, s[6:7], s34, v32
	s_and_b64 s[2:3], vcc, s[2:3]
	v_addc_co_u32_e64 v31, s[6:7], v31, v39, s[6:7]
	s_and_b64 vcc, exec, s[2:3]
	s_cbranch_vccz .LBB53_28
.LBB53_4:                               ; =>This Inner Loop Header: Depth=1
	v_mov_b32_e32 v39, s29
	v_add_co_u32_e32 v40, vcc, s28, v0
	v_addc_co_u32_e32 v41, vcc, 0, v39, vcc
	v_cmp_gt_u64_e32 vcc, s[26:27], v[40:41]
	v_mov_b32_e32 v40, 0
	s_waitcnt vmcnt(0)
	v_mov_b32_e32 v43, 0
	s_and_saveexec_b64 s[6:7], vcc
	s_cbranch_execz .LBB53_6
; %bb.5:                                ;   in Loop: Header=BB53_4 Depth=1
	v_mov_b32_e32 v39, s25
	v_add_co_u32_e64 v44, s[2:3], s24, v2
	v_addc_co_u32_e64 v45, s[2:3], v1, v39, s[2:3]
	v_add_co_u32_e64 v46, s[2:3], s24, v4
	v_addc_co_u32_e64 v47, s[2:3], v3, v39, s[2:3]
	global_load_ushort v40, v[44:45], off
	global_load_ushort v43, v[46:47], off
.LBB53_6:                               ;   in Loop: Header=BB53_4 Depth=1
	s_or_b64 exec, exec, s[6:7]
	v_mov_b32_e32 v39, 0
	v_mov_b32_e32 v45, 0
	s_and_saveexec_b64 s[6:7], vcc
	s_cbranch_execz .LBB53_8
; %bb.7:                                ;   in Loop: Header=BB53_4 Depth=1
	v_mov_b32_e32 v41, s25
	v_add_co_u32_e64 v44, s[2:3], s24, v6
	v_addc_co_u32_e64 v45, s[2:3], v25, v41, s[2:3]
	global_load_ushort v45, v[44:45], off
.LBB53_8:                               ;   in Loop: Header=BB53_4 Depth=1
	s_or_b64 exec, exec, s[6:7]
	v_mov_b32_e32 v41, s29
	v_add_co_u32_e64 v46, s[2:3], s28, v37
	v_addc_co_u32_e64 v47, s[2:3], v38, v41, s[2:3]
	v_cmp_gt_u64_e64 s[2:3], s[26:27], v[46:47]
	v_mov_b32_e32 v44, 0
	s_and_saveexec_b64 s[8:9], s[2:3]
	s_cbranch_execz .LBB53_10
; %bb.9:                                ;   in Loop: Header=BB53_4 Depth=1
	v_mov_b32_e32 v39, s25
	v_add_co_u32_e64 v46, s[6:7], s24, v26
	v_addc_co_u32_e64 v47, s[6:7], v21, v39, s[6:7]
	v_add_co_u32_e64 v48, s[6:7], s24, v28
	v_addc_co_u32_e64 v49, s[6:7], v23, v39, s[6:7]
	global_load_ushort v39, v[46:47], off
	global_load_ushort v44, v[48:49], off
.LBB53_10:                              ;   in Loop: Header=BB53_4 Depth=1
	s_or_b64 exec, exec, s[8:9]
	v_mov_b32_e32 v41, 0
	v_mov_b32_e32 v47, 0
	s_and_saveexec_b64 s[8:9], s[2:3]
	s_cbranch_execz .LBB53_12
; %bb.11:                               ;   in Loop: Header=BB53_4 Depth=1
	v_mov_b32_e32 v42, s25
	v_add_co_u32_e64 v46, s[6:7], s24, v30
	v_addc_co_u32_e64 v47, s[6:7], v27, v42, s[6:7]
	global_load_ushort v47, v[46:47], off
.LBB53_12:                              ;   in Loop: Header=BB53_4 Depth=1
	s_or_b64 exec, exec, s[8:9]
	v_mov_b32_e32 v42, s29
	v_add_co_u32_e64 v48, s[6:7], s28, v35
	v_addc_co_u32_e64 v49, s[6:7], v36, v42, s[6:7]
	v_cmp_gt_u64_e64 s[6:7], s[26:27], v[48:49]
	v_mov_b32_e32 v46, 0
	s_and_saveexec_b64 s[10:11], s[6:7]
	s_cbranch_execz .LBB53_14
; %bb.13:                               ;   in Loop: Header=BB53_4 Depth=1
	v_mov_b32_e32 v41, s25
	v_add_co_u32_e64 v48, s[8:9], s24, v18
	v_addc_co_u32_e64 v49, s[8:9], v13, v41, s[8:9]
	v_add_co_u32_e64 v50, s[8:9], s24, v20
	v_addc_co_u32_e64 v51, s[8:9], v15, v41, s[8:9]
	global_load_ushort v41, v[48:49], off
	global_load_ushort v46, v[50:51], off
.LBB53_14:                              ;   in Loop: Header=BB53_4 Depth=1
	s_or_b64 exec, exec, s[10:11]
	v_mov_b32_e32 v42, 0
	v_mov_b32_e32 v49, 0
	s_and_saveexec_b64 s[10:11], s[6:7]
	s_cbranch_execz .LBB53_16
; %bb.15:                               ;   in Loop: Header=BB53_4 Depth=1
	v_mov_b32_e32 v49, s25
	v_add_co_u32_e64 v48, s[8:9], s24, v22
	v_addc_co_u32_e64 v49, s[8:9], v17, v49, s[8:9]
	global_load_ushort v49, v[48:49], off
.LBB53_16:                              ;   in Loop: Header=BB53_4 Depth=1
	s_or_b64 exec, exec, s[10:11]
	v_mov_b32_e32 v48, s29
	v_add_co_u32_e64 v50, s[8:9], s28, v33
	v_addc_co_u32_e64 v51, s[8:9], v34, v48, s[8:9]
	v_cmp_gt_u64_e64 s[8:9], s[26:27], v[50:51]
	v_mov_b32_e32 v48, 0
	s_and_saveexec_b64 s[30:31], s[8:9]
	s_cbranch_execnz .LBB53_22
; %bb.17:                               ;   in Loop: Header=BB53_4 Depth=1
	s_or_b64 exec, exec, s[30:31]
	v_mov_b32_e32 v50, 0
	s_and_saveexec_b64 s[30:31], s[8:9]
	s_cbranch_execnz .LBB53_23
.LBB53_18:                              ;   in Loop: Header=BB53_4 Depth=1
	s_or_b64 exec, exec, s[30:31]
	s_and_saveexec_b64 s[10:11], vcc
	s_cbranch_execnz .LBB53_24
.LBB53_19:                              ;   in Loop: Header=BB53_4 Depth=1
	s_or_b64 exec, exec, s[10:11]
	s_and_saveexec_b64 s[10:11], s[2:3]
	s_cbranch_execnz .LBB53_25
.LBB53_20:                              ;   in Loop: Header=BB53_4 Depth=1
	s_or_b64 exec, exec, s[10:11]
	s_and_saveexec_b64 s[2:3], s[6:7]
	s_cbranch_execnz .LBB53_26
.LBB53_21:                              ;   in Loop: Header=BB53_4 Depth=1
	s_or_b64 exec, exec, s[2:3]
	s_and_saveexec_b64 s[2:3], s[8:9]
	s_cbranch_execz .LBB53_3
	s_branch .LBB53_27
.LBB53_22:                              ;   in Loop: Header=BB53_4 Depth=1
	v_mov_b32_e32 v42, s25
	v_add_co_u32_e64 v50, s[10:11], s24, v10
	v_addc_co_u32_e64 v51, s[10:11], v5, v42, s[10:11]
	v_add_co_u32_e64 v52, s[10:11], s24, v12
	v_addc_co_u32_e64 v53, s[10:11], v7, v42, s[10:11]
	global_load_ushort v42, v[50:51], off
	global_load_ushort v48, v[52:53], off
	s_or_b64 exec, exec, s[30:31]
	v_mov_b32_e32 v50, 0
	s_and_saveexec_b64 s[30:31], s[8:9]
	s_cbranch_execz .LBB53_18
.LBB53_23:                              ;   in Loop: Header=BB53_4 Depth=1
	v_mov_b32_e32 v51, s25
	v_add_co_u32_e64 v50, s[10:11], s24, v14
	v_addc_co_u32_e64 v51, s[10:11], v9, v51, s[10:11]
	global_load_ushort v50, v[50:51], off
	s_or_b64 exec, exec, s[30:31]
	s_and_saveexec_b64 s[10:11], vcc
	s_cbranch_execz .LBB53_19
.LBB53_24:                              ;   in Loop: Header=BB53_4 Depth=1
	s_waitcnt vmcnt(0)
	v_cvt_f32_f16_e32 v43, v43
	v_cvt_f32_f16_e32 v45, v45
	;; [unrolled: 1-line block ×3, first 2 shown]
	v_mov_b32_e32 v51, s25
	v_div_scale_f32 v52, s[30:31], v45, v45, v43
	v_rcp_f32_e32 v53, v52
	v_div_scale_f32 v55, vcc, v43, v45, v43
	v_fma_f32 v56, -v52, v53, 1.0
	v_fmac_f32_e32 v53, v56, v53
	v_mul_f32_e32 v56, v55, v53
	v_fma_f32 v57, -v52, v56, v55
	v_fmac_f32_e32 v56, v57, v53
	v_fma_f32 v52, -v52, v56, v55
	v_div_fmas_f32 v52, v52, v53, v56
	v_div_fixup_f32 v43, v52, v45, v43
	v_add_f32_e32 v45, v43, v54
	v_fma_mix_f32 v40, s16, v43, v40 op_sel_hi:[0,0,1]
	v_cndmask_b32_e64 v40, v40, v45, s[0:1]
	v_cvt_f16_f32_e32 v40, v40
	v_add_co_u32_e32 v52, vcc, s24, v8
	v_addc_co_u32_e32 v53, vcc, v29, v51, vcc
	global_store_short v[52:53], v40, off
	s_or_b64 exec, exec, s[10:11]
	s_and_saveexec_b64 s[10:11], s[2:3]
	s_cbranch_execz .LBB53_20
.LBB53_25:                              ;   in Loop: Header=BB53_4 Depth=1
	s_waitcnt vmcnt(0)
	v_cvt_f32_f16_e32 v40, v44
	v_cvt_f32_f16_e32 v43, v47
	;; [unrolled: 1-line block ×3, first 2 shown]
	v_div_scale_f32 v44, s[2:3], v43, v43, v40
	v_rcp_f32_e32 v45, v44
	v_div_scale_f32 v51, vcc, v40, v43, v40
	v_fma_f32 v52, -v44, v45, 1.0
	v_fmac_f32_e32 v45, v52, v45
	v_mul_f32_e32 v52, v51, v45
	v_fma_f32 v53, -v44, v52, v51
	v_fmac_f32_e32 v52, v53, v45
	v_fma_f32 v44, -v44, v52, v51
	v_div_fmas_f32 v44, v44, v45, v52
	v_div_fixup_f32 v40, v44, v43, v40
	v_add_f32_e32 v43, v40, v47
	v_fma_mix_f32 v39, s16, v40, v39 op_sel_hi:[0,0,1]
	v_cndmask_b32_e64 v39, v39, v43, s[0:1]
	v_cvt_f16_f32_e32 v39, v39
	v_mov_b32_e32 v40, s25
	v_add_co_u32_e32 v44, vcc, s24, v32
	v_addc_co_u32_e32 v45, vcc, v31, v40, vcc
	global_store_short v[44:45], v39, off
	s_or_b64 exec, exec, s[10:11]
	s_and_saveexec_b64 s[2:3], s[6:7]
	s_cbranch_execz .LBB53_21
.LBB53_26:                              ;   in Loop: Header=BB53_4 Depth=1
	s_waitcnt vmcnt(0)
	v_cvt_f32_f16_e32 v39, v46
	v_cvt_f32_f16_e32 v40, v49
	;; [unrolled: 1-line block ×3, first 2 shown]
	v_div_scale_f32 v43, s[6:7], v40, v40, v39
	v_rcp_f32_e32 v44, v43
	v_div_scale_f32 v46, vcc, v39, v40, v39
	v_fma_f32 v47, -v43, v44, 1.0
	v_fmac_f32_e32 v44, v47, v44
	v_mul_f32_e32 v47, v46, v44
	v_fma_f32 v49, -v43, v47, v46
	v_fmac_f32_e32 v47, v49, v44
	v_fma_f32 v43, -v43, v47, v46
	v_div_fmas_f32 v43, v43, v44, v47
	v_div_fixup_f32 v39, v43, v40, v39
	v_add_f32_e32 v40, v39, v45
	v_fma_mix_f32 v39, s16, v39, v41 op_sel_hi:[0,0,1]
	v_cndmask_b32_e64 v39, v39, v40, s[0:1]
	v_cvt_f16_f32_e32 v39, v39
	v_mov_b32_e32 v41, s25
	v_add_co_u32_e32 v40, vcc, s24, v24
	v_addc_co_u32_e32 v41, vcc, v19, v41, vcc
	global_store_short v[40:41], v39, off
	s_or_b64 exec, exec, s[2:3]
	s_and_saveexec_b64 s[2:3], s[8:9]
	s_cbranch_execz .LBB53_3
.LBB53_27:                              ;   in Loop: Header=BB53_4 Depth=1
	s_waitcnt vmcnt(0)
	v_cvt_f32_f16_e32 v39, v48
	v_cvt_f32_f16_e32 v40, v50
	;; [unrolled: 1-line block ×3, first 2 shown]
	v_div_scale_f32 v41, s[6:7], v40, v40, v39
	v_rcp_f32_e32 v43, v41
	v_div_scale_f32 v45, vcc, v39, v40, v39
	v_fma_f32 v46, -v41, v43, 1.0
	v_fmac_f32_e32 v43, v46, v43
	v_mul_f32_e32 v46, v45, v43
	v_fma_f32 v47, -v41, v46, v45
	v_fmac_f32_e32 v46, v47, v43
	v_fma_f32 v41, -v41, v46, v45
	v_div_fmas_f32 v41, v41, v43, v46
	v_div_fixup_f32 v39, v41, v40, v39
	v_add_f32_e32 v40, v39, v44
	v_fma_mix_f32 v39, s16, v39, v42 op_sel_hi:[0,0,1]
	v_cndmask_b32_e64 v39, v39, v40, s[0:1]
	v_cvt_f16_f32_e32 v39, v39
	v_mov_b32_e32 v41, s25
	v_add_co_u32_e32 v40, vcc, s24, v16
	v_addc_co_u32_e32 v41, vcc, v11, v41, vcc
	global_store_short v[40:41], v39, off
	s_branch .LBB53_3
.LBB53_28:
	s_mov_b64 s[0:1], 0
.LBB53_29:
	s_andn2_b64 vcc, exec, s[0:1]
	s_cbranch_vccnz .LBB53_33
; %bb.30:
	v_mov_b32_e32 v3, 0
	v_lshlrev_b32_e32 v2, 2, v0
	s_mov_b32 s2, 0
	v_cmp_gt_i64_e32 vcc, s[22:23], v[2:3]
	s_and_saveexec_b64 s[0:1], vcc
	s_cbranch_execz .LBB53_33
; %bb.31:
	s_load_dword s3, s[4:5], 0xbfc
	v_lshlrev_b32_e32 v1, 3, v0
	v_mov_b32_e32 v2, s25
	v_add_co_u32_e32 v4, vcc, s24, v1
	s_waitcnt lgkmcnt(0)
	s_and_b32 s3, s3, 0xffff
	v_cmp_eq_f32_e64 s[0:1], s16, 1.0
	s_mov_b32 s17, s16
	s_mov_b32 s8, s16
	;; [unrolled: 1-line block ×3, first 2 shown]
	v_addc_co_u32_e32 v1, vcc, 0, v2, vcc
	s_lshl_b32 s26, s3, 3
	v_add_lshl_u32 v2, v0, s3, 2
	s_lshl_b32 s27, s3, 2
	s_mov_b64 s[10:11], 0
	v_mov_b32_e32 v0, s13
	v_mov_b32_e32 v5, s15
	;; [unrolled: 1-line block ×4, first 2 shown]
	s_mov_b64 s[24:25], 0xffff
	v_mov_b32_e32 v8, s2
	v_mov_b32_e32 v9, s2
.LBB53_32:                              ; =>This Inner Loop Header: Depth=1
	v_add_co_u32_e32 v10, vcc, s12, v4
	v_addc_co_u32_e32 v11, vcc, v0, v1, vcc
	v_add_co_u32_e32 v12, vcc, s14, v4
	v_addc_co_u32_e32 v13, vcc, v5, v1, vcc
	;; [unrolled: 2-line block ×3, first 2 shown]
	global_load_dwordx2 v[18:19], v[12:13], off
	global_load_dwordx2 v[20:21], v[14:15], off
	;; [unrolled: 1-line block ×3, first 2 shown]
	v_add_co_u32_e32 v16, vcc, s20, v4
	v_addc_co_u32_e32 v17, vcc, v7, v1, vcc
	v_cmp_le_i64_e32 vcc, s[22:23], v[2:3]
	v_cmp_lt_u64_e64 s[2:3], s[24:25], v[2:3]
	v_add_co_u32_e64 v4, s[4:5], s26, v4
	v_addc_co_u32_e64 v1, s[4:5], v1, v8, s[4:5]
	s_or_b64 s[28:29], vcc, s[2:3]
	v_add_co_u32_e64 v2, s[4:5], s27, v2
	v_addc_co_u32_e64 v3, s[4:5], v3, v9, s[4:5]
	s_waitcnt vmcnt(2)
	v_cvt_f32_f16_sdwa v15, v18 dst_sel:DWORD dst_unused:UNUSED_PAD src0_sel:WORD_1
	v_cvt_f32_f16_e32 v14, v18
	s_waitcnt vmcnt(1)
	v_cvt_f32_f16_e32 v18, v20
	v_cvt_f32_f16_sdwa v20, v20 dst_sel:DWORD dst_unused:UNUSED_PAD src0_sel:WORD_1
	s_waitcnt vmcnt(0)
	v_cvt_f32_f16_e32 v10, v22
	v_cvt_f32_f16_sdwa v11, v22 dst_sel:DWORD dst_unused:UNUSED_PAD src0_sel:WORD_1
	v_cvt_f32_f16_e32 v12, v23
	v_cvt_f32_f16_sdwa v13, v23 dst_sel:DWORD dst_unused:UNUSED_PAD src0_sel:WORD_1
	v_cvt_f32_f16_sdwa v22, v19 dst_sel:DWORD dst_unused:UNUSED_PAD src0_sel:WORD_1
	v_cvt_f32_f16_e32 v19, v19
	v_cvt_f32_f16_sdwa v23, v21 dst_sel:DWORD dst_unused:UNUSED_PAD src0_sel:WORD_1
	v_cvt_f32_f16_e32 v21, v21
	v_div_scale_f32 v24, s[2:3], v18, v18, v14
	v_div_scale_f32 v26, s[2:3], v20, v20, v15
	v_rcp_f32_e32 v32, v24
	v_div_scale_f32 v28, s[4:5], v21, v21, v19
	v_rcp_f32_e32 v33, v26
	;; [unrolled: 2-line block ×3, first 2 shown]
	v_rcp_f32_e32 v35, v30
	v_fma_f32 v36, -v24, v32, 1.0
	v_div_scale_f32 v25, vcc, v14, v18, v14
	v_fma_f32 v37, -v26, v33, 1.0
	v_fmac_f32_e32 v32, v36, v32
	v_div_scale_f32 v27, s[2:3], v15, v20, v15
	v_fma_f32 v38, -v28, v34, 1.0
	v_fmac_f32_e32 v33, v37, v33
	v_mul_f32_e32 v36, v25, v32
	v_div_scale_f32 v29, s[4:5], v19, v21, v19
	v_fma_f32 v39, -v30, v35, 1.0
	v_fmac_f32_e32 v34, v38, v34
	v_mul_f32_e32 v37, v27, v33
	v_fma_f32 v40, -v24, v36, v25
	v_div_scale_f32 v31, s[6:7], v22, v23, v22
	v_fmac_f32_e32 v35, v39, v35
	v_mul_f32_e32 v38, v29, v34
	v_fma_f32 v41, -v26, v37, v27
	v_fmac_f32_e32 v36, v40, v32
	v_mul_f32_e32 v39, v31, v35
	v_fma_f32 v42, -v28, v38, v29
	v_fmac_f32_e32 v37, v41, v33
	v_fma_f32 v24, -v24, v36, v25
	v_fma_f32 v43, -v30, v39, v31
	v_fmac_f32_e32 v38, v42, v34
	v_fma_f32 v25, -v26, v37, v27
	v_div_fmas_f32 v24, v24, v32, v36
	s_mov_b64 vcc, s[2:3]
	v_fmac_f32_e32 v39, v43, v35
	v_fma_f32 v26, -v28, v38, v29
	v_div_fixup_f32 v14, v24, v18, v14
	v_div_fmas_f32 v18, v25, v33, v37
	s_mov_b64 vcc, s[4:5]
	v_fma_f32 v27, -v30, v39, v31
	v_div_fixup_f32 v15, v18, v20, v15
	v_div_fmas_f32 v18, v26, v34, v38
	s_mov_b64 vcc, s[6:7]
	v_div_fixup_f32 v18, v18, v21, v19
	v_div_fmas_f32 v19, v27, v35, v39
	v_pk_add_f32 v[20:21], v[14:15], v[10:11]
	v_pk_fma_f32 v[10:11], s[16:17], v[14:15], v[10:11]
	v_div_fixup_f32 v19, v19, v23, v22
	v_cndmask_b32_e64 v14, v10, v20, s[0:1]
	v_cndmask_b32_e64 v15, v11, v21, s[0:1]
	v_pk_add_f32 v[10:11], v[18:19], v[12:13]
	v_pk_fma_f32 v[12:13], s[8:9], v[18:19], v[12:13]
	v_cndmask_b32_e64 v10, v12, v10, s[0:1]
	v_cndmask_b32_e64 v11, v13, v11, s[0:1]
	v_cvt_f16_f32_e32 v15, v15
	v_cvt_f16_f32_e32 v14, v14
	;; [unrolled: 1-line block ×4, first 2 shown]
	s_and_b64 s[2:3], exec, s[28:29]
	s_or_b64 s[10:11], s[2:3], s[10:11]
	v_pack_b32_f16 v10, v14, v15
	v_pack_b32_f16 v11, v12, v11
	global_store_dwordx2 v[16:17], v[10:11], off
	s_andn2_b64 exec, exec, s[10:11]
	s_cbranch_execnz .LBB53_32
.LBB53_33:
	s_endpgm
	.section	.rodata,"a",@progbits
	.p2align	6, 0x0
	.amdhsa_kernel _ZN2at6native12_GLOBAL__N_125multi_tensor_apply_kernelINS1_18TensorListMetadataILi4EEENS1_24PointwiseOpScalarFunctorIN3c104HalfELi4ELi3ELi3EEEJSt7dividesIfEfEEEvT_T0_DpT1_
		.amdhsa_group_segment_fixed_size 0
		.amdhsa_private_segment_fixed_size 0
		.amdhsa_kernarg_size 3312
		.amdhsa_user_sgpr_count 6
		.amdhsa_user_sgpr_private_segment_buffer 1
		.amdhsa_user_sgpr_dispatch_ptr 0
		.amdhsa_user_sgpr_queue_ptr 0
		.amdhsa_user_sgpr_kernarg_segment_ptr 1
		.amdhsa_user_sgpr_dispatch_id 0
		.amdhsa_user_sgpr_flat_scratch_init 0
		.amdhsa_user_sgpr_kernarg_preload_length 0
		.amdhsa_user_sgpr_kernarg_preload_offset 0
		.amdhsa_user_sgpr_private_segment_size 0
		.amdhsa_uses_dynamic_stack 0
		.amdhsa_system_sgpr_private_segment_wavefront_offset 0
		.amdhsa_system_sgpr_workgroup_id_x 1
		.amdhsa_system_sgpr_workgroup_id_y 0
		.amdhsa_system_sgpr_workgroup_id_z 0
		.amdhsa_system_sgpr_workgroup_info 0
		.amdhsa_system_vgpr_workitem_id 0
		.amdhsa_next_free_vgpr 58
		.amdhsa_next_free_sgpr 35
		.amdhsa_accum_offset 60
		.amdhsa_reserve_vcc 1
		.amdhsa_reserve_flat_scratch 0
		.amdhsa_float_round_mode_32 0
		.amdhsa_float_round_mode_16_64 0
		.amdhsa_float_denorm_mode_32 3
		.amdhsa_float_denorm_mode_16_64 3
		.amdhsa_dx10_clamp 1
		.amdhsa_ieee_mode 1
		.amdhsa_fp16_overflow 0
		.amdhsa_tg_split 0
		.amdhsa_exception_fp_ieee_invalid_op 0
		.amdhsa_exception_fp_denorm_src 0
		.amdhsa_exception_fp_ieee_div_zero 0
		.amdhsa_exception_fp_ieee_overflow 0
		.amdhsa_exception_fp_ieee_underflow 0
		.amdhsa_exception_fp_ieee_inexact 0
		.amdhsa_exception_int_div_zero 0
	.end_amdhsa_kernel
	.section	.text._ZN2at6native12_GLOBAL__N_125multi_tensor_apply_kernelINS1_18TensorListMetadataILi4EEENS1_24PointwiseOpScalarFunctorIN3c104HalfELi4ELi3ELi3EEEJSt7dividesIfEfEEEvT_T0_DpT1_,"axG",@progbits,_ZN2at6native12_GLOBAL__N_125multi_tensor_apply_kernelINS1_18TensorListMetadataILi4EEENS1_24PointwiseOpScalarFunctorIN3c104HalfELi4ELi3ELi3EEEJSt7dividesIfEfEEEvT_T0_DpT1_,comdat
.Lfunc_end53:
	.size	_ZN2at6native12_GLOBAL__N_125multi_tensor_apply_kernelINS1_18TensorListMetadataILi4EEENS1_24PointwiseOpScalarFunctorIN3c104HalfELi4ELi3ELi3EEEJSt7dividesIfEfEEEvT_T0_DpT1_, .Lfunc_end53-_ZN2at6native12_GLOBAL__N_125multi_tensor_apply_kernelINS1_18TensorListMetadataILi4EEENS1_24PointwiseOpScalarFunctorIN3c104HalfELi4ELi3ELi3EEEJSt7dividesIfEfEEEvT_T0_DpT1_
                                        ; -- End function
	.section	.AMDGPU.csdata,"",@progbits
; Kernel info:
; codeLenInByte = 2928
; NumSgprs: 39
; NumVgprs: 58
; NumAgprs: 0
; TotalNumVgprs: 58
; ScratchSize: 0
; MemoryBound: 0
; FloatMode: 240
; IeeeMode: 1
; LDSByteSize: 0 bytes/workgroup (compile time only)
; SGPRBlocks: 4
; VGPRBlocks: 7
; NumSGPRsForWavesPerEU: 39
; NumVGPRsForWavesPerEU: 58
; AccumOffset: 60
; Occupancy: 8
; WaveLimiterHint : 0
; COMPUTE_PGM_RSRC2:SCRATCH_EN: 0
; COMPUTE_PGM_RSRC2:USER_SGPR: 6
; COMPUTE_PGM_RSRC2:TRAP_HANDLER: 0
; COMPUTE_PGM_RSRC2:TGID_X_EN: 1
; COMPUTE_PGM_RSRC2:TGID_Y_EN: 0
; COMPUTE_PGM_RSRC2:TGID_Z_EN: 0
; COMPUTE_PGM_RSRC2:TIDIG_COMP_CNT: 0
; COMPUTE_PGM_RSRC3_GFX90A:ACCUM_OFFSET: 14
; COMPUTE_PGM_RSRC3_GFX90A:TG_SPLIT: 0
	.section	.text._ZN2at6native12_GLOBAL__N_125multi_tensor_apply_kernelINS1_18TensorListMetadataILi4EEENS1_24PointwiseOpScalarFunctorIN3c108BFloat16ELi4ELi3ELi3EEEJSt7dividesIfEfEEEvT_T0_DpT1_,"axG",@progbits,_ZN2at6native12_GLOBAL__N_125multi_tensor_apply_kernelINS1_18TensorListMetadataILi4EEENS1_24PointwiseOpScalarFunctorIN3c108BFloat16ELi4ELi3ELi3EEEJSt7dividesIfEfEEEvT_T0_DpT1_,comdat
	.globl	_ZN2at6native12_GLOBAL__N_125multi_tensor_apply_kernelINS1_18TensorListMetadataILi4EEENS1_24PointwiseOpScalarFunctorIN3c108BFloat16ELi4ELi3ELi3EEEJSt7dividesIfEfEEEvT_T0_DpT1_ ; -- Begin function _ZN2at6native12_GLOBAL__N_125multi_tensor_apply_kernelINS1_18TensorListMetadataILi4EEENS1_24PointwiseOpScalarFunctorIN3c108BFloat16ELi4ELi3ELi3EEEJSt7dividesIfEfEEEvT_T0_DpT1_
	.p2align	8
	.type	_ZN2at6native12_GLOBAL__N_125multi_tensor_apply_kernelINS1_18TensorListMetadataILi4EEENS1_24PointwiseOpScalarFunctorIN3c108BFloat16ELi4ELi3ELi3EEEJSt7dividesIfEfEEEvT_T0_DpT1_,@function
_ZN2at6native12_GLOBAL__N_125multi_tensor_apply_kernelINS1_18TensorListMetadataILi4EEENS1_24PointwiseOpScalarFunctorIN3c108BFloat16ELi4ELi3ELi3EEEJSt7dividesIfEfEEEvT_T0_DpT1_: ; @_ZN2at6native12_GLOBAL__N_125multi_tensor_apply_kernelINS1_18TensorListMetadataILi4EEENS1_24PointwiseOpScalarFunctorIN3c108BFloat16ELi4ELi3ELi3EEEJSt7dividesIfEfEEEvT_T0_DpT1_
; %bb.0:
	v_mov_b32_e32 v1, s6
	global_load_ubyte v1, v1, s[4:5] offset:1440
	s_add_u32 s0, s4, s6
	s_mul_hi_u32 s1, s6, 3
	s_mul_i32 s6, s6, 3
	s_addc_u32 s2, s5, 0
	s_add_u32 s0, s0, s6
	s_addc_u32 s1, s2, s1
	s_load_dword s0, s[0:1], 0x6e0
	s_mov_b32 s3, 0
	s_mov_b32 s7, s3
	;; [unrolled: 1-line block ×3, first 2 shown]
	s_waitcnt lgkmcnt(0)
	s_ashr_i32 s1, s0, 31
	s_lshl_b64 s[22:23], s[0:1], 17
	s_waitcnt vmcnt(0)
	v_readfirstlane_b32 s2, v1
	s_lshl_b32 s2, s2, 3
	s_load_dwordx2 s[12:13], s[4:5], s2 offset:0x0
	s_load_dwordx2 s[14:15], s[4:5], s2 offset:0x120
	s_load_dword s30, s[4:5], 0xbec
	s_load_dwordx2 s[10:11], s[4:5], s2 offset:0x480
	s_load_dwordx2 s[16:17], s[4:5], s2 offset:0x240
	;; [unrolled: 1-line block ×3, first 2 shown]
	s_waitcnt lgkmcnt(0)
	s_add_u32 s6, s14, s22
	s_and_b32 s2, s12, 7
	s_and_b32 s6, s6, 7
	s_cmp_eq_u64 s[6:7], 0
	s_cselect_b64 s[6:7], -1, 0
	s_add_u32 s8, s16, s22
	s_or_b32 s8, s18, s8
	s_and_b32 s8, s8, 7
	s_cmp_eq_u32 s8, 0
	s_cselect_b64 s[20:21], -1, 0
	s_lshl_b64 s[0:1], s[0:1], 16
	s_and_b64 s[6:7], s[20:21], s[6:7]
	s_sub_u32 s20, s10, s0
	s_subb_u32 s21, s11, s1
	s_and_b32 s8, s10, 3
	s_or_b64 s[0:1], s[2:3], s[8:9]
	s_cmp_eq_u64 s[0:1], 0
	s_cselect_b64 s[0:1], -1, 0
	s_and_b64 s[2:3], s[6:7], s[0:1]
	s_mov_b64 s[0:1], -1
	s_and_b64 vcc, exec, s[2:3]
	s_cbranch_vccnz .LBB54_29
; %bb.1:
	v_cmp_lt_i64_e64 s[0:1], s[20:21], 1
	s_and_b64 vcc, exec, s[0:1]
	s_cbranch_vccnz .LBB54_28
; %bb.2:
	s_load_dword s0, s[4:5], 0xbfc
	v_mov_b32_e32 v19, 0
	v_lshlrev_b32_e32 v18, 1, v0
	v_mov_b32_e32 v21, s13
	v_mov_b32_e32 v23, s15
	s_waitcnt lgkmcnt(0)
	s_and_b32 s8, s0, 0xffff
	v_mad_u64_u32 v[16:17], s[6:7], s8, 6, v[18:19]
	v_add_co_u32_e64 v10, s[6:7], s12, v16
	v_addc_co_u32_e64 v5, s[6:7], v21, v17, s[6:7]
	v_add_co_u32_e64 v12, s[6:7], s14, v16
	v_addc_co_u32_e64 v7, s[6:7], v23, v17, s[6:7]
	v_mov_b32_e32 v27, s17
	v_add_co_u32_e64 v14, s[6:7], s16, v16
	v_mov_b32_e32 v2, 0x10000
	v_addc_co_u32_e64 v9, s[6:7], v27, v17, s[6:7]
	v_mov_b32_e32 v3, 0
	v_mov_b32_e32 v31, s19
	v_add_co_u32_e64 v16, s[6:7], s18, v16
	v_cmp_lt_u64_e32 vcc, s[20:21], v[2:3]
	s_mul_i32 s10, s8, 3
	v_addc_co_u32_e64 v11, s[6:7], v31, v17, s[6:7]
	s_and_b64 s[0:1], vcc, exec
	v_add_co_u32_e32 v2, vcc, s12, v18
	v_add_co_u32_e64 v33, s[6:7], s10, v0
	s_cselect_b32 s25, s21, 0
	s_cselect_b32 s24, s20, 0x10000
	s_lshl_b32 s33, s8, 2
	v_addc_co_u32_e32 v1, vcc, 0, v21, vcc
	v_addc_co_u32_e64 v34, s[6:7], 0, 0, s[6:7]
	v_add_co_u32_e32 v4, vcc, s14, v18
	v_add_co_u32_e64 v19, s[6:7], s33, v18
	v_addc_co_u32_e32 v3, vcc, 0, v23, vcc
	v_addc_co_u32_e64 v25, s[6:7], 0, 0, s[6:7]
	v_add_co_u32_e32 v6, vcc, s16, v18
	v_add_co_u32_e64 v8, s[2:3], s18, v18
	v_add_co_u32_e64 v18, s[6:7], s12, v19
	v_addc_co_u32_e64 v13, s[6:7], v21, v25, s[6:7]
	v_add_co_u32_e64 v20, s[6:7], s14, v19
	v_addc_co_u32_e64 v15, s[6:7], v23, v25, s[6:7]
	;; [unrolled: 2-line block ×3, first 2 shown]
	v_add_co_u32_e64 v24, s[6:7], s18, v19
	s_lshl_b32 s9, s8, 1
	v_addc_co_u32_e64 v19, s[6:7], v31, v25, s[6:7]
	v_add_co_u32_e64 v35, s[6:7], s9, v0
	v_addc_co_u32_e64 v36, s[6:7], 0, 0, s[6:7]
	v_add_co_u32_e64 v37, s[6:7], s8, v0
	v_addc_co_u32_e64 v38, s[6:7], 0, 0, s[6:7]
	v_lshlrev_b32_e32 v29, 1, v37
	v_addc_co_u32_e32 v25, vcc, 0, v27, vcc
	v_add_co_u32_e64 v26, s[6:7], s12, v29
	v_add_co_u32_e32 v30, vcc, s16, v29
	v_addc_co_u32_e64 v21, s[6:7], 0, v21, s[6:7]
	v_addc_co_u32_e32 v27, vcc, 0, v27, vcc
	v_add_co_u32_e64 v28, s[6:7], s14, v29
	v_add_co_u32_e32 v32, vcc, s18, v29
	s_mov_b32 s31, 0
	v_cmp_eq_f32_e64 s[0:1], s30, 1.0
	s_lshl_b32 s34, s8, 3
	s_mov_b64 s[26:27], 0
	s_movk_i32 s35, 0x7fff
	v_addc_co_u32_e64 v23, s[6:7], 0, v23, s[6:7]
	v_addc_co_u32_e64 v29, s[2:3], 0, v31, s[2:3]
	v_addc_co_u32_e32 v31, vcc, 0, v31, vcc
	v_mov_b32_e32 v39, 0x7fc0
	s_branch .LBB54_4
.LBB54_3:                               ;   in Loop: Header=BB54_4 Depth=1
	s_or_b64 exec, exec, s[2:3]
	s_add_u32 s26, s26, s33
	s_addc_u32 s27, s27, 0
	s_waitcnt vmcnt(1)
	v_pk_mov_b32 v[40:41], s[20:21], s[20:21] op_sel:[0,1]
	v_cmp_lt_i64_e32 vcc, s[26:27], v[40:41]
	v_mov_b32_e32 v40, 0x10000
	v_mov_b32_e32 v41, 0
	v_cmp_lt_u64_e64 s[2:3], s[26:27], v[40:41]
	v_mov_b32_e32 v40, s31
	v_add_co_u32_e64 v2, s[6:7], s34, v2
	v_addc_co_u32_e64 v1, s[6:7], v1, v40, s[6:7]
	v_add_co_u32_e64 v4, s[6:7], s34, v4
	v_addc_co_u32_e64 v3, s[6:7], v3, v40, s[6:7]
	;; [unrolled: 2-line block ×15, first 2 shown]
	v_add_co_u32_e64 v32, s[6:7], s34, v32
	s_and_b64 s[2:3], vcc, s[2:3]
	v_addc_co_u32_e64 v31, s[6:7], v31, v40, s[6:7]
	s_and_b64 vcc, exec, s[2:3]
	s_cbranch_vccz .LBB54_28
.LBB54_4:                               ; =>This Inner Loop Header: Depth=1
	v_mov_b32_e32 v41, s27
	v_add_co_u32_e32 v40, vcc, s26, v0
	v_addc_co_u32_e32 v41, vcc, 0, v41, vcc
	v_cmp_gt_u64_e32 vcc, s[24:25], v[40:41]
	v_mov_b32_e32 v41, 0
	s_waitcnt vmcnt(0)
	v_mov_b32_e32 v43, 0
	s_and_saveexec_b64 s[6:7], vcc
	s_cbranch_execz .LBB54_6
; %bb.5:                                ;   in Loop: Header=BB54_4 Depth=1
	v_mov_b32_e32 v40, s23
	v_add_co_u32_e64 v44, s[2:3], s22, v2
	v_addc_co_u32_e64 v45, s[2:3], v1, v40, s[2:3]
	v_add_co_u32_e64 v46, s[2:3], s22, v4
	v_addc_co_u32_e64 v47, s[2:3], v3, v40, s[2:3]
	global_load_ushort v41, v[44:45], off
	global_load_ushort v43, v[46:47], off
.LBB54_6:                               ;   in Loop: Header=BB54_4 Depth=1
	s_or_b64 exec, exec, s[6:7]
	v_mov_b32_e32 v40, 0
	v_mov_b32_e32 v46, 0
	s_and_saveexec_b64 s[6:7], vcc
	s_cbranch_execz .LBB54_8
; %bb.7:                                ;   in Loop: Header=BB54_4 Depth=1
	v_mov_b32_e32 v42, s23
	v_add_co_u32_e64 v44, s[2:3], s22, v6
	v_addc_co_u32_e64 v45, s[2:3], v25, v42, s[2:3]
	global_load_ushort v46, v[44:45], off
.LBB54_8:                               ;   in Loop: Header=BB54_4 Depth=1
	s_or_b64 exec, exec, s[6:7]
	v_mov_b32_e32 v42, s27
	v_add_co_u32_e64 v44, s[2:3], s26, v37
	v_addc_co_u32_e64 v45, s[2:3], v38, v42, s[2:3]
	v_cmp_gt_u64_e64 s[2:3], s[24:25], v[44:45]
	v_mov_b32_e32 v45, 0
	s_and_saveexec_b64 s[8:9], s[2:3]
	s_cbranch_execz .LBB54_10
; %bb.9:                                ;   in Loop: Header=BB54_4 Depth=1
	v_mov_b32_e32 v40, s23
	v_add_co_u32_e64 v48, s[6:7], s22, v28
	v_addc_co_u32_e64 v49, s[6:7], v23, v40, s[6:7]
	v_add_co_u32_e64 v50, s[6:7], s22, v26
	v_addc_co_u32_e64 v51, s[6:7], v21, v40, s[6:7]
	global_load_ushort v40, v[50:51], off
	global_load_ushort v45, v[48:49], off
.LBB54_10:                              ;   in Loop: Header=BB54_4 Depth=1
	s_or_b64 exec, exec, s[8:9]
	v_mov_b32_e32 v42, 0
	v_mov_b32_e32 v48, 0
	s_and_saveexec_b64 s[8:9], s[2:3]
	s_cbranch_execz .LBB54_12
; %bb.11:                               ;   in Loop: Header=BB54_4 Depth=1
	v_mov_b32_e32 v44, s23
	v_add_co_u32_e64 v48, s[6:7], s22, v30
	v_addc_co_u32_e64 v49, s[6:7], v27, v44, s[6:7]
	global_load_ushort v48, v[48:49], off
.LBB54_12:                              ;   in Loop: Header=BB54_4 Depth=1
	s_or_b64 exec, exec, s[8:9]
	v_mov_b32_e32 v44, s27
	v_add_co_u32_e64 v50, s[6:7], s26, v35
	v_addc_co_u32_e64 v51, s[6:7], v36, v44, s[6:7]
	v_cmp_gt_u64_e64 s[6:7], s[24:25], v[50:51]
	v_mov_b32_e32 v47, 0
	s_and_saveexec_b64 s[10:11], s[6:7]
	s_cbranch_execz .LBB54_14
; %bb.13:                               ;   in Loop: Header=BB54_4 Depth=1
	v_mov_b32_e32 v42, s23
	v_add_co_u32_e64 v50, s[8:9], s22, v20
	v_addc_co_u32_e64 v51, s[8:9], v15, v42, s[8:9]
	v_add_co_u32_e64 v52, s[8:9], s22, v18
	v_addc_co_u32_e64 v53, s[8:9], v13, v42, s[8:9]
	global_load_ushort v42, v[52:53], off
	global_load_ushort v47, v[50:51], off
.LBB54_14:                              ;   in Loop: Header=BB54_4 Depth=1
	s_or_b64 exec, exec, s[10:11]
	v_mov_b32_e32 v44, 0
	v_mov_b32_e32 v50, 0
	s_and_saveexec_b64 s[10:11], s[6:7]
	s_cbranch_execz .LBB54_16
; %bb.15:                               ;   in Loop: Header=BB54_4 Depth=1
	v_mov_b32_e32 v49, s23
	v_add_co_u32_e64 v50, s[8:9], s22, v22
	v_addc_co_u32_e64 v51, s[8:9], v17, v49, s[8:9]
	global_load_ushort v50, v[50:51], off
.LBB54_16:                              ;   in Loop: Header=BB54_4 Depth=1
	s_or_b64 exec, exec, s[10:11]
	v_mov_b32_e32 v49, s27
	v_add_co_u32_e64 v52, s[8:9], s26, v33
	v_addc_co_u32_e64 v53, s[8:9], v34, v49, s[8:9]
	v_cmp_gt_u64_e64 s[8:9], s[24:25], v[52:53]
	v_mov_b32_e32 v49, 0
	s_and_saveexec_b64 s[28:29], s[8:9]
	s_cbranch_execnz .LBB54_22
; %bb.17:                               ;   in Loop: Header=BB54_4 Depth=1
	s_or_b64 exec, exec, s[28:29]
	v_mov_b32_e32 v51, 0
	s_and_saveexec_b64 s[28:29], s[8:9]
	s_cbranch_execnz .LBB54_23
.LBB54_18:                              ;   in Loop: Header=BB54_4 Depth=1
	s_or_b64 exec, exec, s[28:29]
	s_and_saveexec_b64 s[10:11], vcc
	s_cbranch_execnz .LBB54_24
.LBB54_19:                              ;   in Loop: Header=BB54_4 Depth=1
	s_or_b64 exec, exec, s[10:11]
	s_and_saveexec_b64 s[10:11], s[2:3]
	s_cbranch_execnz .LBB54_25
.LBB54_20:                              ;   in Loop: Header=BB54_4 Depth=1
	s_or_b64 exec, exec, s[10:11]
	s_and_saveexec_b64 s[2:3], s[6:7]
	s_cbranch_execnz .LBB54_26
.LBB54_21:                              ;   in Loop: Header=BB54_4 Depth=1
	s_or_b64 exec, exec, s[2:3]
	s_and_saveexec_b64 s[2:3], s[8:9]
	s_cbranch_execz .LBB54_3
	s_branch .LBB54_27
.LBB54_22:                              ;   in Loop: Header=BB54_4 Depth=1
	v_mov_b32_e32 v44, s23
	v_add_co_u32_e64 v52, s[10:11], s22, v12
	v_addc_co_u32_e64 v53, s[10:11], v7, v44, s[10:11]
	v_add_co_u32_e64 v54, s[10:11], s22, v10
	v_addc_co_u32_e64 v55, s[10:11], v5, v44, s[10:11]
	global_load_ushort v44, v[54:55], off
	global_load_ushort v49, v[52:53], off
	s_or_b64 exec, exec, s[28:29]
	v_mov_b32_e32 v51, 0
	s_and_saveexec_b64 s[28:29], s[8:9]
	s_cbranch_execz .LBB54_18
.LBB54_23:                              ;   in Loop: Header=BB54_4 Depth=1
	v_mov_b32_e32 v51, s23
	v_add_co_u32_e64 v52, s[10:11], s22, v14
	v_addc_co_u32_e64 v53, s[10:11], v9, v51, s[10:11]
	global_load_ushort v51, v[52:53], off
	s_or_b64 exec, exec, s[28:29]
	s_and_saveexec_b64 s[10:11], vcc
	s_cbranch_execz .LBB54_19
.LBB54_24:                              ;   in Loop: Header=BB54_4 Depth=1
	s_waitcnt vmcnt(0)
	v_lshlrev_b32_e32 v43, 16, v43
	v_lshlrev_b32_e32 v46, 16, v46
	v_div_scale_f32 v52, s[28:29], v46, v46, v43
	v_rcp_f32_e32 v53, v52
	v_lshlrev_b32_e32 v41, 16, v41
	v_fma_f32 v54, -v52, v53, 1.0
	v_fmac_f32_e32 v53, v54, v53
	v_div_scale_f32 v54, vcc, v43, v46, v43
	v_mul_f32_e32 v55, v54, v53
	v_fma_f32 v56, -v52, v55, v54
	v_fmac_f32_e32 v55, v56, v53
	v_fma_f32 v52, -v52, v55, v54
	v_div_fmas_f32 v52, v52, v53, v55
	v_div_fixup_f32 v43, v52, v46, v43
	v_add_f32_e32 v46, v43, v41
	v_fmac_f32_e32 v41, s30, v43
	v_cndmask_b32_e64 v41, v41, v46, s[0:1]
	v_bfe_u32 v43, v41, 16, 1
	v_add3_u32 v43, v41, v43, s35
	v_lshrrev_b32_e32 v43, 16, v43
	v_cmp_o_f32_e32 vcc, v41, v41
	v_cndmask_b32_e32 v41, v39, v43, vcc
	v_mov_b32_e32 v43, s23
	v_add_co_u32_e32 v52, vcc, s22, v8
	v_addc_co_u32_e32 v53, vcc, v29, v43, vcc
	global_store_short v[52:53], v41, off
	s_or_b64 exec, exec, s[10:11]
	s_and_saveexec_b64 s[10:11], s[2:3]
	s_cbranch_execz .LBB54_20
.LBB54_25:                              ;   in Loop: Header=BB54_4 Depth=1
	s_waitcnt vmcnt(0)
	v_lshlrev_b32_e32 v41, 16, v45
	v_lshlrev_b32_e32 v43, 16, v48
	v_div_scale_f32 v45, s[2:3], v43, v43, v41
	v_rcp_f32_e32 v46, v45
	v_lshlrev_b32_e32 v40, 16, v40
	v_fma_f32 v48, -v45, v46, 1.0
	v_fmac_f32_e32 v46, v48, v46
	v_div_scale_f32 v48, vcc, v41, v43, v41
	v_mul_f32_e32 v52, v48, v46
	v_fma_f32 v53, -v45, v52, v48
	v_fmac_f32_e32 v52, v53, v46
	v_fma_f32 v45, -v45, v52, v48
	v_div_fmas_f32 v45, v45, v46, v52
	v_div_fixup_f32 v41, v45, v43, v41
	v_add_f32_e32 v43, v41, v40
	v_fmac_f32_e32 v40, s30, v41
	v_cndmask_b32_e64 v43, v40, v43, s[0:1]
	v_bfe_u32 v40, v43, 16, 1
	v_add3_u32 v40, v43, v40, s35
	v_lshrrev_b32_e32 v45, 16, v40
	v_mov_b32_e32 v41, s23
	v_add_co_u32_e32 v40, vcc, s22, v32
	v_addc_co_u32_e32 v41, vcc, v31, v41, vcc
	v_cmp_o_f32_e32 vcc, v43, v43
	v_cndmask_b32_e32 v43, v39, v45, vcc
	global_store_short v[40:41], v43, off
	s_or_b64 exec, exec, s[10:11]
	s_and_saveexec_b64 s[2:3], s[6:7]
	s_cbranch_execz .LBB54_21
.LBB54_26:                              ;   in Loop: Header=BB54_4 Depth=1
	s_waitcnt vmcnt(0)
	v_lshlrev_b32_e32 v40, 16, v47
	v_lshlrev_b32_e32 v41, 16, v50
	v_div_scale_f32 v43, s[6:7], v41, v41, v40
	v_rcp_f32_e32 v45, v43
	v_lshlrev_b32_e32 v42, 16, v42
	v_fma_f32 v46, -v43, v45, 1.0
	v_fmac_f32_e32 v45, v46, v45
	v_div_scale_f32 v46, vcc, v40, v41, v40
	v_mul_f32_e32 v47, v46, v45
	v_fma_f32 v48, -v43, v47, v46
	v_fmac_f32_e32 v47, v48, v45
	v_fma_f32 v43, -v43, v47, v46
	v_div_fmas_f32 v43, v43, v45, v47
	v_div_fixup_f32 v40, v43, v41, v40
	v_add_f32_e32 v41, v40, v42
	v_fmac_f32_e32 v42, s30, v40
	v_cndmask_b32_e64 v42, v42, v41, s[0:1]
	v_bfe_u32 v40, v42, 16, 1
	v_add3_u32 v40, v42, v40, s35
	v_lshrrev_b32_e32 v43, 16, v40
	v_mov_b32_e32 v41, s23
	v_add_co_u32_e32 v40, vcc, s22, v24
	v_addc_co_u32_e32 v41, vcc, v19, v41, vcc
	v_cmp_o_f32_e32 vcc, v42, v42
	v_cndmask_b32_e32 v42, v39, v43, vcc
	global_store_short v[40:41], v42, off
	s_or_b64 exec, exec, s[2:3]
	s_and_saveexec_b64 s[2:3], s[8:9]
	s_cbranch_execz .LBB54_3
.LBB54_27:                              ;   in Loop: Header=BB54_4 Depth=1
	s_waitcnt vmcnt(0)
	v_lshlrev_b32_e32 v40, 16, v49
	v_lshlrev_b32_e32 v41, 16, v51
	v_div_scale_f32 v42, s[6:7], v41, v41, v40
	v_rcp_f32_e32 v43, v42
	v_lshlrev_b32_e32 v44, 16, v44
	v_fma_f32 v45, -v42, v43, 1.0
	v_fmac_f32_e32 v43, v45, v43
	v_div_scale_f32 v45, vcc, v40, v41, v40
	v_mul_f32_e32 v46, v45, v43
	v_fma_f32 v47, -v42, v46, v45
	v_fmac_f32_e32 v46, v47, v43
	v_fma_f32 v42, -v42, v46, v45
	v_div_fmas_f32 v42, v42, v43, v46
	v_div_fixup_f32 v40, v42, v41, v40
	v_add_f32_e32 v41, v40, v44
	v_fmac_f32_e32 v44, s30, v40
	v_cndmask_b32_e64 v42, v44, v41, s[0:1]
	v_bfe_u32 v40, v42, 16, 1
	v_add3_u32 v40, v42, v40, s35
	v_lshrrev_b32_e32 v43, 16, v40
	v_mov_b32_e32 v41, s23
	v_add_co_u32_e32 v40, vcc, s22, v16
	v_addc_co_u32_e32 v41, vcc, v11, v41, vcc
	v_cmp_o_f32_e32 vcc, v42, v42
	v_cndmask_b32_e32 v42, v39, v43, vcc
	global_store_short v[40:41], v42, off
	s_branch .LBB54_3
.LBB54_28:
	s_mov_b64 s[0:1], 0
.LBB54_29:
	s_andn2_b64 vcc, exec, s[0:1]
	s_cbranch_vccnz .LBB54_33
; %bb.30:
	v_mov_b32_e32 v3, 0
	v_lshlrev_b32_e32 v2, 2, v0
	s_mov_b32 s2, 0
	v_cmp_gt_i64_e32 vcc, s[20:21], v[2:3]
	s_and_saveexec_b64 s[0:1], vcc
	s_cbranch_execz .LBB54_33
; %bb.31:
	s_load_dword s3, s[4:5], 0xbfc
	v_lshlrev_b32_e32 v1, 3, v0
	v_mov_b32_e32 v2, s23
	v_add_co_u32_e32 v4, vcc, s22, v1
	s_waitcnt lgkmcnt(0)
	s_and_b32 s3, s3, 0xffff
	v_cmp_eq_f32_e64 s[0:1], s30, 1.0
	v_addc_co_u32_e32 v1, vcc, 0, v2, vcc
	s_lshl_b32 s22, s3, 3
	v_add_lshl_u32 v2, v0, s3, 2
	s_lshl_b32 s23, s3, 2
	s_mov_b64 s[8:9], 0
	v_mov_b32_e32 v0, s13
	v_mov_b32_e32 v5, s15
	v_mov_b32_e32 v6, s17
	s_movk_i32 s13, 0x7fff
	v_mov_b32_e32 v7, 0x7fc0
	v_mov_b32_e32 v8, 0x7fc00000
	;; [unrolled: 1-line block ×3, first 2 shown]
	s_mov_b64 s[10:11], 0xffff
	v_mov_b32_e32 v10, s2
	v_mov_b32_e32 v11, s2
.LBB54_32:                              ; =>This Inner Loop Header: Depth=1
	v_add_co_u32_e32 v12, vcc, s12, v4
	v_addc_co_u32_e32 v13, vcc, v0, v1, vcc
	v_add_co_u32_e32 v14, vcc, s14, v4
	v_addc_co_u32_e32 v15, vcc, v5, v1, vcc
	;; [unrolled: 2-line block ×3, first 2 shown]
	global_load_dwordx2 v[20:21], v[12:13], off
	global_load_dwordx2 v[22:23], v[14:15], off
	;; [unrolled: 1-line block ×3, first 2 shown]
	v_add_co_u32_e32 v18, vcc, s18, v4
	v_addc_co_u32_e32 v19, vcc, v9, v1, vcc
	v_cmp_le_i64_e32 vcc, s[20:21], v[2:3]
	v_cmp_lt_u64_e64 s[2:3], s[10:11], v[2:3]
	s_or_b64 s[2:3], vcc, s[2:3]
	v_add_co_u32_e64 v4, s[4:5], s22, v4
	s_and_b64 s[2:3], exec, s[2:3]
	v_addc_co_u32_e64 v1, s[4:5], v1, v10, s[4:5]
	s_or_b64 s[8:9], s[2:3], s[8:9]
	v_add_co_u32_e64 v2, s[4:5], s23, v2
	v_addc_co_u32_e64 v3, s[4:5], v3, v11, s[4:5]
	s_waitcnt vmcnt(2)
	v_lshlrev_b32_e32 v12, 16, v20
	s_waitcnt vmcnt(1)
	v_lshlrev_b32_e32 v13, 16, v22
	;; [unrolled: 2-line block ×3, first 2 shown]
	v_and_b32_e32 v16, 0xffff0000, v22
	v_and_b32_e32 v17, 0xffff0000, v24
	v_alignbit_b32 v22, v23, v22, 16
	v_alignbit_b32 v24, v25, v24, 16
	v_div_scale_f32 v26, s[2:3], v14, v14, v13
	v_and_b32_e32 v23, 0xffff0000, v23
	v_and_b32_e32 v25, 0xffff0000, v25
	v_div_scale_f32 v28, s[2:3], v17, v17, v16
	v_and_b32_e32 v22, 0xffff0000, v22
	v_and_b32_e32 v24, 0xffff0000, v24
	v_rcp_f32_e32 v32, v26
	v_div_scale_f32 v30, s[4:5], v25, v25, v23
	v_rcp_f32_e32 v33, v28
	v_div_scale_f32 v34, s[6:7], v24, v24, v22
	v_rcp_f32_e32 v36, v30
	v_rcp_f32_e32 v37, v34
	v_fma_f32 v38, -v26, v32, 1.0
	v_div_scale_f32 v27, vcc, v13, v14, v13
	v_fma_f32 v39, -v28, v33, 1.0
	v_fmac_f32_e32 v32, v38, v32
	v_div_scale_f32 v29, s[2:3], v16, v17, v16
	v_fma_f32 v40, -v30, v36, 1.0
	v_fmac_f32_e32 v33, v39, v33
	v_fma_f32 v38, -v34, v37, 1.0
	v_mul_f32_e32 v39, v27, v32
	v_div_scale_f32 v35, s[6:7], v22, v24, v22
	v_fmac_f32_e32 v36, v40, v36
	v_mul_f32_e32 v40, v29, v33
	v_fmac_f32_e32 v37, v38, v37
	v_fma_f32 v41, -v26, v39, v27
	v_div_scale_f32 v31, s[4:5], v23, v25, v23
	v_fma_f32 v42, -v28, v40, v29
	v_mul_f32_e32 v43, v35, v37
	v_fmac_f32_e32 v39, v41, v32
	v_mul_f32_e32 v38, v31, v36
	v_fmac_f32_e32 v40, v42, v33
	v_fma_f32 v41, -v34, v43, v35
	v_fma_f32 v26, -v26, v39, v27
	;; [unrolled: 1-line block ×4, first 2 shown]
	v_fmac_f32_e32 v43, v41, v37
	v_div_fmas_f32 v26, v26, v32, v39
	s_mov_b64 vcc, s[2:3]
	v_fmac_f32_e32 v38, v44, v36
	v_fma_f32 v29, -v34, v43, v35
	v_div_fixup_f32 v13, v26, v14, v13
	v_div_fmas_f32 v14, v27, v33, v40
	s_mov_b64 vcc, s[6:7]
	v_and_b32_e32 v15, 0xffff0000, v20
	v_alignbit_b32 v20, v21, v20, 16
	v_fma_f32 v28, -v30, v38, v31
	v_add_f32_e32 v26, v13, v12
	v_fmac_f32_e32 v12, s30, v13
	v_div_fixup_f32 v13, v14, v17, v16
	v_div_fmas_f32 v14, v29, v37, v43
	s_mov_b64 vcc, s[4:5]
	v_and_b32_e32 v20, 0xffff0000, v20
	v_cndmask_b32_e64 v12, v12, v26, s[0:1]
	v_add_f32_e32 v16, v13, v15
	v_fmac_f32_e32 v15, s30, v13
	v_div_fixup_f32 v13, v14, v24, v22
	v_div_fmas_f32 v14, v28, v36, v38
	v_and_b32_e32 v21, 0xffff0000, v21
	v_bfe_u32 v17, v12, 16, 1
	v_cndmask_b32_e64 v15, v15, v16, s[0:1]
	v_add_f32_e32 v16, v13, v20
	v_fmac_f32_e32 v20, s30, v13
	v_div_fixup_f32 v13, v14, v25, v23
	v_add3_u32 v14, v12, v17, s13
	v_bfe_u32 v17, v15, 16, 1
	v_cndmask_b32_e64 v16, v20, v16, s[0:1]
	v_add_f32_e32 v20, v13, v21
	v_fmac_f32_e32 v21, s30, v13
	v_lshrrev_b32_e32 v13, 16, v14
	v_add3_u32 v14, v15, v17, s13
	v_bfe_u32 v17, v16, 16, 1
	v_cndmask_b32_e64 v20, v21, v20, s[0:1]
	v_cmp_o_f32_e32 vcc, v12, v12
	v_cndmask_b32_e32 v12, v7, v13, vcc
	v_and_b32_e32 v13, 0xffff0000, v14
	v_add3_u32 v14, v16, v17, s13
	v_bfe_u32 v17, v20, 16, 1
	v_cmp_o_f32_e32 vcc, v15, v15
	v_cndmask_b32_e32 v13, v8, v13, vcc
	v_lshrrev_b32_e32 v14, 16, v14
	v_add3_u32 v15, v20, v17, s13
	v_cmp_o_f32_e32 vcc, v16, v16
	v_cndmask_b32_e32 v14, v7, v14, vcc
	v_and_b32_e32 v15, 0xffff0000, v15
	v_cmp_o_f32_e32 vcc, v20, v20
	v_or_b32_e32 v12, v12, v13
	v_cndmask_b32_e32 v13, v8, v15, vcc
	v_or3_b32 v12, v12, 0, 0
	v_or3_b32 v13, 0, v14, v13
	global_store_dwordx2 v[18:19], v[12:13], off
	s_andn2_b64 exec, exec, s[8:9]
	s_cbranch_execnz .LBB54_32
.LBB54_33:
	s_endpgm
	.section	.rodata,"a",@progbits
	.p2align	6, 0x0
	.amdhsa_kernel _ZN2at6native12_GLOBAL__N_125multi_tensor_apply_kernelINS1_18TensorListMetadataILi4EEENS1_24PointwiseOpScalarFunctorIN3c108BFloat16ELi4ELi3ELi3EEEJSt7dividesIfEfEEEvT_T0_DpT1_
		.amdhsa_group_segment_fixed_size 0
		.amdhsa_private_segment_fixed_size 0
		.amdhsa_kernarg_size 3312
		.amdhsa_user_sgpr_count 6
		.amdhsa_user_sgpr_private_segment_buffer 1
		.amdhsa_user_sgpr_dispatch_ptr 0
		.amdhsa_user_sgpr_queue_ptr 0
		.amdhsa_user_sgpr_kernarg_segment_ptr 1
		.amdhsa_user_sgpr_dispatch_id 0
		.amdhsa_user_sgpr_flat_scratch_init 0
		.amdhsa_user_sgpr_kernarg_preload_length 0
		.amdhsa_user_sgpr_kernarg_preload_offset 0
		.amdhsa_user_sgpr_private_segment_size 0
		.amdhsa_uses_dynamic_stack 0
		.amdhsa_system_sgpr_private_segment_wavefront_offset 0
		.amdhsa_system_sgpr_workgroup_id_x 1
		.amdhsa_system_sgpr_workgroup_id_y 0
		.amdhsa_system_sgpr_workgroup_id_z 0
		.amdhsa_system_sgpr_workgroup_info 0
		.amdhsa_system_vgpr_workitem_id 0
		.amdhsa_next_free_vgpr 57
		.amdhsa_next_free_sgpr 36
		.amdhsa_accum_offset 60
		.amdhsa_reserve_vcc 1
		.amdhsa_reserve_flat_scratch 0
		.amdhsa_float_round_mode_32 0
		.amdhsa_float_round_mode_16_64 0
		.amdhsa_float_denorm_mode_32 3
		.amdhsa_float_denorm_mode_16_64 3
		.amdhsa_dx10_clamp 1
		.amdhsa_ieee_mode 1
		.amdhsa_fp16_overflow 0
		.amdhsa_tg_split 0
		.amdhsa_exception_fp_ieee_invalid_op 0
		.amdhsa_exception_fp_denorm_src 0
		.amdhsa_exception_fp_ieee_div_zero 0
		.amdhsa_exception_fp_ieee_overflow 0
		.amdhsa_exception_fp_ieee_underflow 0
		.amdhsa_exception_fp_ieee_inexact 0
		.amdhsa_exception_int_div_zero 0
	.end_amdhsa_kernel
	.section	.text._ZN2at6native12_GLOBAL__N_125multi_tensor_apply_kernelINS1_18TensorListMetadataILi4EEENS1_24PointwiseOpScalarFunctorIN3c108BFloat16ELi4ELi3ELi3EEEJSt7dividesIfEfEEEvT_T0_DpT1_,"axG",@progbits,_ZN2at6native12_GLOBAL__N_125multi_tensor_apply_kernelINS1_18TensorListMetadataILi4EEENS1_24PointwiseOpScalarFunctorIN3c108BFloat16ELi4ELi3ELi3EEEJSt7dividesIfEfEEEvT_T0_DpT1_,comdat
.Lfunc_end54:
	.size	_ZN2at6native12_GLOBAL__N_125multi_tensor_apply_kernelINS1_18TensorListMetadataILi4EEENS1_24PointwiseOpScalarFunctorIN3c108BFloat16ELi4ELi3ELi3EEEJSt7dividesIfEfEEEvT_T0_DpT1_, .Lfunc_end54-_ZN2at6native12_GLOBAL__N_125multi_tensor_apply_kernelINS1_18TensorListMetadataILi4EEENS1_24PointwiseOpScalarFunctorIN3c108BFloat16ELi4ELi3ELi3EEEJSt7dividesIfEfEEEvT_T0_DpT1_
                                        ; -- End function
	.section	.AMDGPU.csdata,"",@progbits
; Kernel info:
; codeLenInByte = 3172
; NumSgprs: 40
; NumVgprs: 57
; NumAgprs: 0
; TotalNumVgprs: 57
; ScratchSize: 0
; MemoryBound: 0
; FloatMode: 240
; IeeeMode: 1
; LDSByteSize: 0 bytes/workgroup (compile time only)
; SGPRBlocks: 4
; VGPRBlocks: 7
; NumSGPRsForWavesPerEU: 40
; NumVGPRsForWavesPerEU: 57
; AccumOffset: 60
; Occupancy: 8
; WaveLimiterHint : 0
; COMPUTE_PGM_RSRC2:SCRATCH_EN: 0
; COMPUTE_PGM_RSRC2:USER_SGPR: 6
; COMPUTE_PGM_RSRC2:TRAP_HANDLER: 0
; COMPUTE_PGM_RSRC2:TGID_X_EN: 1
; COMPUTE_PGM_RSRC2:TGID_Y_EN: 0
; COMPUTE_PGM_RSRC2:TGID_Z_EN: 0
; COMPUTE_PGM_RSRC2:TIDIG_COMP_CNT: 0
; COMPUTE_PGM_RSRC3_GFX90A:ACCUM_OFFSET: 14
; COMPUTE_PGM_RSRC3_GFX90A:TG_SPLIT: 0
	.section	.text._ZN2at6native12_GLOBAL__N_125multi_tensor_apply_kernelINS1_18TensorListMetadataILi4EEENS1_32PointwiseOpScalar0dTensorFunctorIhLi4ELi2ELi3EEEJSt7dividesIhEhEEEvT_T0_DpT1_,"axG",@progbits,_ZN2at6native12_GLOBAL__N_125multi_tensor_apply_kernelINS1_18TensorListMetadataILi4EEENS1_32PointwiseOpScalar0dTensorFunctorIhLi4ELi2ELi3EEEJSt7dividesIhEhEEEvT_T0_DpT1_,comdat
	.globl	_ZN2at6native12_GLOBAL__N_125multi_tensor_apply_kernelINS1_18TensorListMetadataILi4EEENS1_32PointwiseOpScalar0dTensorFunctorIhLi4ELi2ELi3EEEJSt7dividesIhEhEEEvT_T0_DpT1_ ; -- Begin function _ZN2at6native12_GLOBAL__N_125multi_tensor_apply_kernelINS1_18TensorListMetadataILi4EEENS1_32PointwiseOpScalar0dTensorFunctorIhLi4ELi2ELi3EEEJSt7dividesIhEhEEEvT_T0_DpT1_
	.p2align	8
	.type	_ZN2at6native12_GLOBAL__N_125multi_tensor_apply_kernelINS1_18TensorListMetadataILi4EEENS1_32PointwiseOpScalar0dTensorFunctorIhLi4ELi2ELi3EEEJSt7dividesIhEhEEEvT_T0_DpT1_,@function
_ZN2at6native12_GLOBAL__N_125multi_tensor_apply_kernelINS1_18TensorListMetadataILi4EEENS1_32PointwiseOpScalar0dTensorFunctorIhLi4ELi2ELi3EEEJSt7dividesIhEhEEEvT_T0_DpT1_: ; @_ZN2at6native12_GLOBAL__N_125multi_tensor_apply_kernelINS1_18TensorListMetadataILi4EEENS1_32PointwiseOpScalar0dTensorFunctorIhLi4ELi2ELi3EEEJSt7dividesIhEhEEEvT_T0_DpT1_
; %bb.0:
	v_mov_b32_e32 v1, s6
	global_load_ubyte v1, v1, s[4:5] offset:1440
	s_add_u32 s0, s4, s6
	s_addc_u32 s1, s5, 0
	s_mul_hi_u32 s2, s6, 3
	s_mul_i32 s6, s6, 3
	s_add_u32 s0, s0, s6
	s_addc_u32 s1, s1, s2
	s_load_dword s0, s[0:1], 0x6e0
	v_mov_b32_e32 v3, 0
	s_mov_b32 s7, 0
	s_waitcnt vmcnt(0)
	v_readfirstlane_b32 s1, v1
	s_lshl_b32 s6, s1, 3
	s_load_dwordx2 s[2:3], s[4:5], s6 offset:0x120
	s_load_dwordx2 s[10:11], s[4:5], s6 offset:0x240
	;; [unrolled: 1-line block ×4, first 2 shown]
	s_waitcnt lgkmcnt(0)
	s_ashr_i32 s1, s0, 31
	s_lshl_b64 s[16:17], s[0:1], 16
	global_load_ubyte v1, v3, s[2:3]
	s_load_dword s26, s[4:5], 0xbe8
	s_load_dwordx2 s[20:21], s[4:5], s6 offset:0x480
	s_add_u32 s18, s14, s16
	s_addc_u32 s19, s15, s17
	s_add_u32 s0, s2, s16
	s_and_b32 s6, s0, 3
	s_cmp_lg_u64 s[6:7], 0
	s_cselect_b64 s[0:1], -1, 0
	s_add_u32 s27, s10, s16
	s_addc_u32 s2, s11, s17
	s_add_u32 s28, s12, s16
	s_addc_u32 s3, s13, s17
	s_or_b32 s6, s28, s27
	s_and_b32 s6, s6, 3
	s_cmp_lg_u32 s6, 0
	s_cselect_b64 s[8:9], -1, 0
	s_or_b64 s[0:1], s[8:9], s[0:1]
	s_waitcnt lgkmcnt(0)
	s_sub_u32 s8, s20, s16
	s_subb_u32 s9, s21, s17
	s_or_b64 s[20:21], s[20:21], s[18:19]
	s_and_b32 s6, s20, 3
	s_cmp_lg_u64 s[6:7], 0
	s_cselect_b64 s[6:7], -1, 0
	s_or_b64 s[0:1], s[0:1], s[6:7]
	s_andn2_b64 vcc, exec, s[0:1]
	s_mov_b64 s[0:1], -1
	s_cbranch_vccz .LBB55_5
; %bb.1:
	v_lshlrev_b32_e32 v2, 2, v0
	v_cmp_gt_i64_e32 vcc, s[8:9], v[2:3]
	s_and_saveexec_b64 s[20:21], vcc
	s_cbranch_execz .LBB55_4
; %bb.2:
	s_load_dword s0, s[4:5], 0xbfc
	s_mov_b32 s1, 0
	s_waitcnt vmcnt(0)
	v_cvt_f32_ubyte0_e32 v4, v1
	s_mov_b64 s[22:23], 0
	s_lshr_b32 s29, s26, 16
	s_waitcnt lgkmcnt(0)
	s_and_b32 s0, s0, 0xffff
	s_lshl_b32 s30, s0, 2
	v_mov_b32_e32 v5, s19
	v_mov_b32_e32 v6, s2
	s_mov_b32 s19, 0x6050400
	v_mov_b32_e32 v7, s3
	v_mov_b32_e32 v8, s1
	s_mov_b64 s[24:25], 0xffff
.LBB55_3:                               ; =>This Inner Loop Header: Depth=1
	v_add_co_u32_e32 v10, vcc, s18, v2
	v_addc_co_u32_e32 v11, vcc, v5, v3, vcc
	v_add_co_u32_e32 v12, vcc, s27, v2
	v_addc_co_u32_e32 v13, vcc, v6, v3, vcc
	global_load_dword v9, v[12:13], off
	global_load_dword v14, v[10:11], off
	v_add_co_u32_e32 v10, vcc, s28, v2
	v_addc_co_u32_e32 v11, vcc, v7, v3, vcc
	v_add_co_u32_e32 v2, vcc, s30, v2
	v_addc_co_u32_e32 v3, vcc, v8, v3, vcc
	v_cmp_le_i64_e32 vcc, s[8:9], v[2:3]
	v_cmp_lt_u64_e64 s[0:1], s[24:25], v[2:3]
	s_or_b64 s[0:1], vcc, s[0:1]
	s_and_b64 s[0:1], exec, s[0:1]
	s_or_b64 s[22:23], s[0:1], s[22:23]
	s_waitcnt vmcnt(1)
	v_cvt_f32_ubyte1_e32 v15, v9
	v_cvt_f32_ubyte2_e32 v17, v9
	v_cvt_f32_ubyte0_e32 v12, v9
	v_cvt_f32_ubyte3_e32 v9, v9
	v_rcp_iflag_f32_e32 v20, v15
	v_rcp_iflag_f32_e32 v21, v17
	;; [unrolled: 1-line block ×4, first 2 shown]
	v_mul_f32_e32 v20, v4, v20
	v_mul_f32_e32 v21, v4, v21
	;; [unrolled: 1-line block ×4, first 2 shown]
	v_trunc_f32_e32 v20, v20
	v_trunc_f32_e32 v21, v21
	;; [unrolled: 1-line block ×4, first 2 shown]
	v_mad_f32 v24, -v20, v15, v4
	v_cvt_u32_f32_e32 v20, v20
	v_mad_f32 v25, -v21, v17, v4
	v_cvt_u32_f32_e32 v21, v21
	;; [unrolled: 2-line block ×4, first 2 shown]
	v_cmp_ge_f32_e64 vcc, |v24|, v15
	v_cmp_ge_f32_e64 s[0:1], |v25|, v17
	s_waitcnt vmcnt(0)
	v_lshrrev_b32_e32 v13, 8, v14
	v_lshrrev_b32_e32 v16, 16, v14
	v_cmp_ge_f32_e64 s[2:3], |v26|, v9
	v_cmp_ge_f32_e64 s[6:7], |v23|, v12
	v_addc_co_u32_e32 v12, vcc, 0, v20, vcc
	v_addc_co_u32_e64 v15, vcc, 0, v21, s[0:1]
	v_lshrrev_b32_e32 v18, 24, v14
	v_addc_co_u32_e64 v9, s[6:7], 0, v19, s[6:7]
	v_addc_co_u32_e64 v17, vcc, 0, v22, s[2:3]
	v_mad_legacy_u16 v12, v12, s29, v13
	v_mad_legacy_u16 v13, v15, s29, v16
	;; [unrolled: 1-line block ×4, first 2 shown]
	v_and_b32_e32 v12, 0xff, v12
	v_and_b32_e32 v13, 0xff, v13
	v_lshlrev_b32_e32 v14, 24, v14
	v_perm_b32 v9, v12, v9, s19
	v_lshlrev_b32_e32 v12, 16, v13
	v_or3_b32 v9, v9, v12, v14
	global_store_dword v[10:11], v9, off
	s_andn2_b64 exec, exec, s[22:23]
	s_cbranch_execnz .LBB55_3
.LBB55_4:
	s_or_b64 exec, exec, s[20:21]
	s_mov_b64 s[0:1], 0
.LBB55_5:
	s_andn2_b64 vcc, exec, s[0:1]
	s_cbranch_vccnz .LBB55_25
; %bb.6:
	v_cmp_lt_i64_e64 s[0:1], s[8:9], 1
	s_and_b64 vcc, exec, s[0:1]
	s_cbranch_vccnz .LBB55_25
; %bb.7:
	s_load_dword s0, s[4:5], 0xbfc
	v_mov_b32_e32 v2, 0x10000
	v_mov_b32_e32 v3, 0
	v_cmp_lt_u64_e32 vcc, s[8:9], v[2:3]
	v_mov_b32_e32 v2, s17
	s_waitcnt lgkmcnt(0)
	s_and_b32 s6, s0, 0xffff
	s_and_b64 s[0:1], vcc, exec
	v_add_co_u32_e32 v3, vcc, s16, v0
	v_addc_co_u32_e32 v2, vcc, 0, v2, vcc
	v_mov_b32_e32 v4, s15
	v_add_co_u32_e32 v10, vcc, s14, v3
	v_addc_co_u32_e32 v11, vcc, v4, v2, vcc
	v_mov_b32_e32 v5, s11
	v_add_co_u32_e32 v12, vcc, s10, v3
	s_cselect_b32 s5, s9, 0
	s_cselect_b32 s4, s8, 0x10000
	s_lshl_b32 s7, s6, 1
	s_mul_i32 s0, s6, 3
	s_lshl_b32 s18, s6, 2
	v_addc_co_u32_e32 v13, vcc, v5, v2, vcc
	v_mov_b32_e32 v6, s13
	v_add_co_u32_e32 v14, vcc, s12, v3
	s_add_u32 s1, s16, s0
	v_addc_co_u32_e32 v15, vcc, v6, v2, vcc
	s_addc_u32 s11, s17, 0
	v_mov_b32_e32 v7, s11
	v_add_co_u32_e32 v8, vcc, s1, v0
	v_addc_co_u32_e32 v7, vcc, 0, v7, vcc
	v_add_co_u32_e32 v16, vcc, s14, v8
	v_addc_co_u32_e32 v17, vcc, v4, v7, vcc
	;; [unrolled: 2-line block ×4, first 2 shown]
	v_add_co_u32_e32 v22, vcc, s0, v0
	v_addc_co_u32_e64 v23, s[0:1], 0, 0, vcc
	s_add_u32 s0, s16, s7
	s_addc_u32 s1, s17, 0
	v_mov_b32_e32 v7, s1
	v_add_co_u32_e32 v8, vcc, s0, v0
	v_addc_co_u32_e32 v7, vcc, 0, v7, vcc
	v_add_co_u32_e32 v24, vcc, s14, v8
	v_addc_co_u32_e32 v25, vcc, v4, v7, vcc
	v_add_co_u32_e32 v26, vcc, s10, v8
	v_addc_co_u32_e32 v27, vcc, v5, v7, vcc
	v_add_co_u32_e32 v28, vcc, s12, v8
	v_addc_co_u32_e32 v29, vcc, v6, v7, vcc
	v_add_co_u32_e32 v30, vcc, s7, v0
	v_addc_co_u32_e64 v31, s[0:1], 0, 0, vcc
	v_add_co_u32_e32 v3, vcc, s6, v3
	v_addc_co_u32_e32 v2, vcc, 0, v2, vcc
	v_add_co_u32_e32 v32, vcc, s14, v3
	v_addc_co_u32_e32 v33, vcc, v4, v2, vcc
	;; [unrolled: 2-line block ×4, first 2 shown]
	v_add_co_u32_e32 v38, vcc, s6, v0
	s_mov_b64 s[2:3], 0x10000
	s_waitcnt vmcnt(0)
	v_cvt_f32_ubyte0_e32 v1, v1
	v_addc_co_u32_e64 v39, s[0:1], 0, 0, vcc
	s_mov_b64 s[6:7], 0
	s_branch .LBB55_9
.LBB55_8:                               ;   in Loop: Header=BB55_9 Depth=1
	s_or_b64 exec, exec, s[0:1]
	s_add_u32 s6, s6, s18
	s_addc_u32 s7, s7, 0
	v_pk_mov_b32 v[2:3], s[8:9], s[8:9] op_sel:[0,1]
	v_cmp_ge_i64_e32 vcc, s[6:7], v[2:3]
	v_mov_b32_e32 v2, 0xffff
	v_mov_b32_e32 v3, 0
	v_cmp_gt_u64_e64 s[0:1], s[6:7], v[2:3]
	s_or_b64 s[0:1], vcc, s[0:1]
	s_and_b64 vcc, exec, s[0:1]
	s_cbranch_vccnz .LBB55_25
.LBB55_9:                               ; =>This Inner Loop Header: Depth=1
	v_mov_b32_e32 v3, s7
	v_add_co_u32_e32 v2, vcc, s6, v0
	v_addc_co_u32_e32 v3, vcc, 0, v3, vcc
	v_cmp_gt_i64_e32 vcc, s[8:9], v[2:3]
	v_cmp_gt_u64_e64 s[0:1], s[2:3], v[2:3]
	s_and_b64 s[10:11], vcc, s[0:1]
	s_waitcnt vmcnt(0)
	v_mov_b32_e32 v41, 0
	v_mov_b32_e32 v40, 0
	s_and_saveexec_b64 s[0:1], s[10:11]
	s_cbranch_execz .LBB55_11
; %bb.10:                               ;   in Loop: Header=BB55_9 Depth=1
	v_mov_b32_e32 v7, s7
	v_add_co_u32_e32 v4, vcc, s6, v10
	v_addc_co_u32_e32 v5, vcc, v11, v7, vcc
	v_add_co_u32_e32 v6, vcc, s6, v12
	v_addc_co_u32_e32 v7, vcc, v13, v7, vcc
	global_load_ubyte v40, v[4:5], off
	global_load_ubyte v41, v[6:7], off
.LBB55_11:                              ;   in Loop: Header=BB55_9 Depth=1
	s_or_b64 exec, exec, s[0:1]
	v_mov_b32_e32 v5, s7
	v_add_co_u32_e32 v4, vcc, s6, v38
	v_addc_co_u32_e32 v5, vcc, v39, v5, vcc
	v_cmp_gt_i64_e32 vcc, s[8:9], v[4:5]
	v_cmp_gt_u64_e64 s[0:1], s[2:3], v[4:5]
	s_and_b64 s[10:11], vcc, s[0:1]
	s_and_saveexec_b64 s[0:1], s[10:11]
	s_cbranch_execz .LBB55_13
; %bb.12:                               ;   in Loop: Header=BB55_9 Depth=1
	v_mov_b32_e32 v9, s7
	v_add_co_u32_e32 v6, vcc, s6, v34
	v_addc_co_u32_e32 v7, vcc, v35, v9, vcc
	v_add_co_u32_e32 v8, vcc, s6, v32
	v_addc_co_u32_e32 v9, vcc, v33, v9, vcc
	global_load_ubyte v42, v[8:9], off
	global_load_ubyte v43, v[6:7], off
	s_waitcnt vmcnt(1)
	v_lshl_or_b32 v40, v42, 8, v40
	s_waitcnt vmcnt(0)
	v_lshl_or_b32 v41, v43, 8, v41
.LBB55_13:                              ;   in Loop: Header=BB55_9 Depth=1
	s_or_b64 exec, exec, s[0:1]
	v_mov_b32_e32 v7, s7
	v_add_co_u32_e32 v6, vcc, s6, v30
	v_addc_co_u32_e32 v7, vcc, v31, v7, vcc
	v_cmp_gt_i64_e32 vcc, s[8:9], v[6:7]
	v_cmp_gt_u64_e64 s[0:1], s[2:3], v[6:7]
	s_and_b64 s[10:11], vcc, s[0:1]
	s_and_saveexec_b64 s[0:1], s[10:11]
	s_cbranch_execz .LBB55_15
; %bb.14:                               ;   in Loop: Header=BB55_9 Depth=1
	v_mov_b32_e32 v43, s7
	v_add_co_u32_e32 v8, vcc, s6, v26
	v_addc_co_u32_e32 v9, vcc, v27, v43, vcc
	v_add_co_u32_e32 v42, vcc, s6, v24
	v_addc_co_u32_e32 v43, vcc, v25, v43, vcc
	global_load_ubyte v44, v[42:43], off
	global_load_ubyte v45, v[8:9], off
	s_waitcnt vmcnt(1)
	v_lshl_or_b32 v40, v44, 16, v40
	s_waitcnt vmcnt(0)
	v_lshl_or_b32 v41, v45, 16, v41
.LBB55_15:                              ;   in Loop: Header=BB55_9 Depth=1
	s_or_b64 exec, exec, s[0:1]
	v_mov_b32_e32 v9, s7
	v_add_co_u32_e32 v8, vcc, s6, v22
	v_addc_co_u32_e32 v9, vcc, v23, v9, vcc
	v_cmp_gt_i64_e32 vcc, s[8:9], v[8:9]
	v_cmp_gt_u64_e64 s[0:1], s[2:3], v[8:9]
	s_and_b64 s[10:11], vcc, s[0:1]
	s_and_saveexec_b64 s[0:1], s[10:11]
	s_cbranch_execnz .LBB55_20
; %bb.16:                               ;   in Loop: Header=BB55_9 Depth=1
	s_or_b64 exec, exec, s[0:1]
	v_cmp_gt_u64_e32 vcc, s[4:5], v[2:3]
	s_and_saveexec_b64 s[0:1], vcc
	s_cbranch_execnz .LBB55_21
.LBB55_17:                              ;   in Loop: Header=BB55_9 Depth=1
	s_or_b64 exec, exec, s[0:1]
	v_cmp_gt_u64_e32 vcc, s[4:5], v[4:5]
	s_and_saveexec_b64 s[0:1], vcc
	s_cbranch_execnz .LBB55_22
.LBB55_18:                              ;   in Loop: Header=BB55_9 Depth=1
	s_or_b64 exec, exec, s[0:1]
	v_cmp_gt_u64_e32 vcc, s[4:5], v[6:7]
	s_and_saveexec_b64 s[0:1], vcc
	s_cbranch_execnz .LBB55_23
.LBB55_19:                              ;   in Loop: Header=BB55_9 Depth=1
	s_or_b64 exec, exec, s[0:1]
	v_cmp_gt_u64_e32 vcc, s[4:5], v[8:9]
	s_and_saveexec_b64 s[0:1], vcc
	s_cbranch_execz .LBB55_8
	s_branch .LBB55_24
.LBB55_20:                              ;   in Loop: Header=BB55_9 Depth=1
	v_mov_b32_e32 v45, s7
	v_add_co_u32_e32 v42, vcc, s6, v18
	v_addc_co_u32_e32 v43, vcc, v19, v45, vcc
	v_add_co_u32_e32 v44, vcc, s6, v16
	v_addc_co_u32_e32 v45, vcc, v17, v45, vcc
	global_load_ubyte v46, v[44:45], off
	global_load_ubyte v47, v[42:43], off
	s_waitcnt vmcnt(1)
	v_lshl_or_b32 v40, v46, 24, v40
	s_waitcnt vmcnt(0)
	v_lshl_or_b32 v41, v47, 24, v41
	s_or_b64 exec, exec, s[0:1]
	v_cmp_gt_u64_e32 vcc, s[4:5], v[2:3]
	s_and_saveexec_b64 s[0:1], vcc
	s_cbranch_execz .LBB55_17
.LBB55_21:                              ;   in Loop: Header=BB55_9 Depth=1
	s_waitcnt vmcnt(0)
	v_cvt_f32_ubyte0_e32 v42, v41
	v_rcp_iflag_f32_e32 v43, v42
	v_mov_b32_e32 v3, s7
	v_add_co_u32_e32 v2, vcc, s6, v14
	v_mul_f32_e32 v43, v1, v43
	v_trunc_f32_e32 v43, v43
	v_cvt_u32_f32_e32 v44, v43
	v_addc_co_u32_e32 v3, vcc, v15, v3, vcc
	v_mad_f32 v43, -v43, v42, v1
	v_cmp_ge_f32_e64 vcc, |v43|, v42
	s_lshr_b32 s10, s26, 16
	v_addc_co_u32_e32 v42, vcc, 0, v44, vcc
	v_mad_legacy_u16 v42, v42, s10, v40
	global_store_byte v[2:3], v42, off
	s_or_b64 exec, exec, s[0:1]
	v_cmp_gt_u64_e32 vcc, s[4:5], v[4:5]
	s_and_saveexec_b64 s[0:1], vcc
	s_cbranch_execz .LBB55_18
.LBB55_22:                              ;   in Loop: Header=BB55_9 Depth=1
	s_waitcnt vmcnt(0)
	v_cvt_f32_ubyte1_e32 v2, v41
	v_rcp_iflag_f32_e32 v3, v2
	s_lshr_b32 s10, s26, 16
	v_lshrrev_b32_e32 v4, 8, v40
	v_mov_b32_e32 v5, s7
	v_mul_f32_e32 v3, v1, v3
	v_trunc_f32_e32 v3, v3
	v_cvt_u32_f32_e32 v42, v3
	v_mad_f32 v3, -v3, v2, v1
	v_cmp_ge_f32_e64 vcc, |v3|, v2
	v_addc_co_u32_e32 v2, vcc, 0, v42, vcc
	v_mad_legacy_u16 v4, v2, s10, v4
	v_add_co_u32_e32 v2, vcc, s6, v36
	v_addc_co_u32_e32 v3, vcc, v37, v5, vcc
	global_store_byte v[2:3], v4, off
	s_or_b64 exec, exec, s[0:1]
	v_cmp_gt_u64_e32 vcc, s[4:5], v[6:7]
	s_and_saveexec_b64 s[0:1], vcc
	s_cbranch_execz .LBB55_19
.LBB55_23:                              ;   in Loop: Header=BB55_9 Depth=1
	s_waitcnt vmcnt(0)
	v_cvt_f32_ubyte2_e32 v2, v41
	v_rcp_iflag_f32_e32 v3, v2
	s_lshr_b32 s10, s26, 16
	v_lshrrev_b32_e32 v4, 16, v40
	v_mov_b32_e32 v5, s7
	v_mul_f32_e32 v3, v1, v3
	v_trunc_f32_e32 v3, v3
	v_cvt_u32_f32_e32 v6, v3
	v_mad_f32 v3, -v3, v2, v1
	v_cmp_ge_f32_e64 vcc, |v3|, v2
	v_addc_co_u32_e32 v2, vcc, 0, v6, vcc
	v_mad_legacy_u16 v4, v2, s10, v4
	v_add_co_u32_e32 v2, vcc, s6, v28
	v_addc_co_u32_e32 v3, vcc, v29, v5, vcc
	global_store_byte v[2:3], v4, off
	s_or_b64 exec, exec, s[0:1]
	v_cmp_gt_u64_e32 vcc, s[4:5], v[8:9]
	s_and_saveexec_b64 s[0:1], vcc
	s_cbranch_execz .LBB55_8
.LBB55_24:                              ;   in Loop: Header=BB55_9 Depth=1
	s_waitcnt vmcnt(0)
	v_cvt_f32_ubyte3_e32 v2, v41
	v_rcp_iflag_f32_e32 v3, v2
	s_lshr_b32 s10, s26, 16
	v_lshrrev_b32_e32 v4, 24, v40
	v_mov_b32_e32 v5, s7
	v_mul_f32_e32 v3, v1, v3
	v_trunc_f32_e32 v3, v3
	v_cvt_u32_f32_e32 v6, v3
	v_mad_f32 v3, -v3, v2, v1
	v_cmp_ge_f32_e64 vcc, |v3|, v2
	v_addc_co_u32_e32 v2, vcc, 0, v6, vcc
	v_mad_legacy_u16 v4, v2, s10, v4
	v_add_co_u32_e32 v2, vcc, s6, v20
	v_addc_co_u32_e32 v3, vcc, v21, v5, vcc
	global_store_byte v[2:3], v4, off
	s_branch .LBB55_8
.LBB55_25:
	s_endpgm
	.section	.rodata,"a",@progbits
	.p2align	6, 0x0
	.amdhsa_kernel _ZN2at6native12_GLOBAL__N_125multi_tensor_apply_kernelINS1_18TensorListMetadataILi4EEENS1_32PointwiseOpScalar0dTensorFunctorIhLi4ELi2ELi3EEEJSt7dividesIhEhEEEvT_T0_DpT1_
		.amdhsa_group_segment_fixed_size 0
		.amdhsa_private_segment_fixed_size 0
		.amdhsa_kernarg_size 3312
		.amdhsa_user_sgpr_count 6
		.amdhsa_user_sgpr_private_segment_buffer 1
		.amdhsa_user_sgpr_dispatch_ptr 0
		.amdhsa_user_sgpr_queue_ptr 0
		.amdhsa_user_sgpr_kernarg_segment_ptr 1
		.amdhsa_user_sgpr_dispatch_id 0
		.amdhsa_user_sgpr_flat_scratch_init 0
		.amdhsa_user_sgpr_kernarg_preload_length 0
		.amdhsa_user_sgpr_kernarg_preload_offset 0
		.amdhsa_user_sgpr_private_segment_size 0
		.amdhsa_uses_dynamic_stack 0
		.amdhsa_system_sgpr_private_segment_wavefront_offset 0
		.amdhsa_system_sgpr_workgroup_id_x 1
		.amdhsa_system_sgpr_workgroup_id_y 0
		.amdhsa_system_sgpr_workgroup_id_z 0
		.amdhsa_system_sgpr_workgroup_info 0
		.amdhsa_system_vgpr_workitem_id 0
		.amdhsa_next_free_vgpr 48
		.amdhsa_next_free_sgpr 31
		.amdhsa_accum_offset 48
		.amdhsa_reserve_vcc 1
		.amdhsa_reserve_flat_scratch 0
		.amdhsa_float_round_mode_32 0
		.amdhsa_float_round_mode_16_64 0
		.amdhsa_float_denorm_mode_32 3
		.amdhsa_float_denorm_mode_16_64 3
		.amdhsa_dx10_clamp 1
		.amdhsa_ieee_mode 1
		.amdhsa_fp16_overflow 0
		.amdhsa_tg_split 0
		.amdhsa_exception_fp_ieee_invalid_op 0
		.amdhsa_exception_fp_denorm_src 0
		.amdhsa_exception_fp_ieee_div_zero 0
		.amdhsa_exception_fp_ieee_overflow 0
		.amdhsa_exception_fp_ieee_underflow 0
		.amdhsa_exception_fp_ieee_inexact 0
		.amdhsa_exception_int_div_zero 0
	.end_amdhsa_kernel
	.section	.text._ZN2at6native12_GLOBAL__N_125multi_tensor_apply_kernelINS1_18TensorListMetadataILi4EEENS1_32PointwiseOpScalar0dTensorFunctorIhLi4ELi2ELi3EEEJSt7dividesIhEhEEEvT_T0_DpT1_,"axG",@progbits,_ZN2at6native12_GLOBAL__N_125multi_tensor_apply_kernelINS1_18TensorListMetadataILi4EEENS1_32PointwiseOpScalar0dTensorFunctorIhLi4ELi2ELi3EEEJSt7dividesIhEhEEEvT_T0_DpT1_,comdat
.Lfunc_end55:
	.size	_ZN2at6native12_GLOBAL__N_125multi_tensor_apply_kernelINS1_18TensorListMetadataILi4EEENS1_32PointwiseOpScalar0dTensorFunctorIhLi4ELi2ELi3EEEJSt7dividesIhEhEEEvT_T0_DpT1_, .Lfunc_end55-_ZN2at6native12_GLOBAL__N_125multi_tensor_apply_kernelINS1_18TensorListMetadataILi4EEENS1_32PointwiseOpScalar0dTensorFunctorIhLi4ELi2ELi3EEEJSt7dividesIhEhEEEvT_T0_DpT1_
                                        ; -- End function
	.section	.AMDGPU.csdata,"",@progbits
; Kernel info:
; codeLenInByte = 1900
; NumSgprs: 35
; NumVgprs: 48
; NumAgprs: 0
; TotalNumVgprs: 48
; ScratchSize: 0
; MemoryBound: 0
; FloatMode: 240
; IeeeMode: 1
; LDSByteSize: 0 bytes/workgroup (compile time only)
; SGPRBlocks: 4
; VGPRBlocks: 5
; NumSGPRsForWavesPerEU: 35
; NumVGPRsForWavesPerEU: 48
; AccumOffset: 48
; Occupancy: 8
; WaveLimiterHint : 0
; COMPUTE_PGM_RSRC2:SCRATCH_EN: 0
; COMPUTE_PGM_RSRC2:USER_SGPR: 6
; COMPUTE_PGM_RSRC2:TRAP_HANDLER: 0
; COMPUTE_PGM_RSRC2:TGID_X_EN: 1
; COMPUTE_PGM_RSRC2:TGID_Y_EN: 0
; COMPUTE_PGM_RSRC2:TGID_Z_EN: 0
; COMPUTE_PGM_RSRC2:TIDIG_COMP_CNT: 0
; COMPUTE_PGM_RSRC3_GFX90A:ACCUM_OFFSET: 11
; COMPUTE_PGM_RSRC3_GFX90A:TG_SPLIT: 0
	.section	.text._ZN2at6native12_GLOBAL__N_125multi_tensor_apply_kernelINS1_18TensorListMetadataILi4EEENS1_32PointwiseOpScalar0dTensorFunctorIaLi4ELi2ELi3EEEJSt7dividesIaEaEEEvT_T0_DpT1_,"axG",@progbits,_ZN2at6native12_GLOBAL__N_125multi_tensor_apply_kernelINS1_18TensorListMetadataILi4EEENS1_32PointwiseOpScalar0dTensorFunctorIaLi4ELi2ELi3EEEJSt7dividesIaEaEEEvT_T0_DpT1_,comdat
	.globl	_ZN2at6native12_GLOBAL__N_125multi_tensor_apply_kernelINS1_18TensorListMetadataILi4EEENS1_32PointwiseOpScalar0dTensorFunctorIaLi4ELi2ELi3EEEJSt7dividesIaEaEEEvT_T0_DpT1_ ; -- Begin function _ZN2at6native12_GLOBAL__N_125multi_tensor_apply_kernelINS1_18TensorListMetadataILi4EEENS1_32PointwiseOpScalar0dTensorFunctorIaLi4ELi2ELi3EEEJSt7dividesIaEaEEEvT_T0_DpT1_
	.p2align	8
	.type	_ZN2at6native12_GLOBAL__N_125multi_tensor_apply_kernelINS1_18TensorListMetadataILi4EEENS1_32PointwiseOpScalar0dTensorFunctorIaLi4ELi2ELi3EEEJSt7dividesIaEaEEEvT_T0_DpT1_,@function
_ZN2at6native12_GLOBAL__N_125multi_tensor_apply_kernelINS1_18TensorListMetadataILi4EEENS1_32PointwiseOpScalar0dTensorFunctorIaLi4ELi2ELi3EEEJSt7dividesIaEaEEEvT_T0_DpT1_: ; @_ZN2at6native12_GLOBAL__N_125multi_tensor_apply_kernelINS1_18TensorListMetadataILi4EEENS1_32PointwiseOpScalar0dTensorFunctorIaLi4ELi2ELi3EEEJSt7dividesIaEaEEEvT_T0_DpT1_
; %bb.0:
	v_mov_b32_e32 v1, s6
	global_load_ubyte v1, v1, s[4:5] offset:1440
	s_add_u32 s0, s4, s6
	s_addc_u32 s1, s5, 0
	s_mul_hi_u32 s2, s6, 3
	s_mul_i32 s6, s6, 3
	s_add_u32 s0, s0, s6
	s_addc_u32 s1, s1, s2
	s_load_dword s0, s[0:1], 0x6e0
	v_mov_b32_e32 v3, 0
	s_mov_b32 s17, 0
	s_waitcnt vmcnt(0)
	v_readfirstlane_b32 s1, v1
	s_lshl_b32 s6, s1, 3
	s_load_dwordx2 s[2:3], s[4:5], s6 offset:0x120
	s_load_dwordx2 s[8:9], s[4:5], s6 offset:0x240
	;; [unrolled: 1-line block ×4, first 2 shown]
	s_waitcnt lgkmcnt(0)
	s_ashr_i32 s1, s0, 31
	s_lshl_b64 s[14:15], s[0:1], 16
	global_load_ubyte v1, v3, s[2:3]
	s_load_dword s22, s[4:5], 0xbe8
	s_load_dwordx2 s[18:19], s[4:5], s6 offset:0x480
	s_add_u32 s6, s12, s14
	s_addc_u32 s7, s13, s15
	s_add_u32 s0, s2, s14
	s_and_b32 s16, s0, 3
	s_cmp_lg_u64 s[16:17], 0
	s_cselect_b64 s[0:1], -1, 0
	s_add_u32 s23, s8, s14
	s_addc_u32 s20, s9, s15
	s_add_u32 s24, s10, s14
	s_addc_u32 s21, s11, s15
	s_or_b32 s2, s24, s23
	s_and_b32 s2, s2, 3
	s_cmp_lg_u32 s2, 0
	s_cselect_b64 s[2:3], -1, 0
	s_or_b64 s[0:1], s[2:3], s[0:1]
	s_waitcnt lgkmcnt(0)
	s_sub_u32 s2, s18, s14
	s_subb_u32 s3, s19, s15
	s_or_b64 s[18:19], s[18:19], s[6:7]
	s_and_b32 s16, s18, 3
	s_cmp_lg_u64 s[16:17], 0
	s_cselect_b64 s[16:17], -1, 0
	s_or_b64 s[0:1], s[0:1], s[16:17]
	s_andn2_b64 vcc, exec, s[0:1]
	s_mov_b64 s[0:1], -1
	s_cbranch_vccz .LBB56_5
; %bb.1:
	v_lshlrev_b32_e32 v2, 2, v0
	v_cmp_gt_i64_e32 vcc, s[2:3], v[2:3]
	s_and_saveexec_b64 s[16:17], vcc
	s_cbranch_execz .LBB56_4
; %bb.2:
	s_load_dword s0, s[4:5], 0xbfc
	s_waitcnt vmcnt(0)
	v_cvt_f32_i32_sdwa v4, sext(v1) dst_sel:DWORD dst_unused:UNUSED_PAD src0_sel:BYTE_0
	s_mov_b32 s1, 0
	s_mov_b64 s[18:19], 0
	s_lshr_b32 s25, s22, 16
	s_waitcnt lgkmcnt(0)
	s_and_b32 s0, s0, 0xffff
	s_lshl_b32 s26, s0, 2
	v_mov_b32_e32 v5, s7
	v_mov_b32_e32 v6, s20
	s_mov_b32 s7, 0x6050400
	v_mov_b32_e32 v7, s21
	v_mov_b32_e32 v8, s1
	s_mov_b64 s[20:21], 0xffff
.LBB56_3:                               ; =>This Inner Loop Header: Depth=1
	v_add_co_u32_e32 v10, vcc, s6, v2
	v_addc_co_u32_e32 v11, vcc, v5, v3, vcc
	v_add_co_u32_e32 v12, vcc, s23, v2
	v_addc_co_u32_e32 v13, vcc, v6, v3, vcc
	global_load_dword v9, v[12:13], off
	global_load_dword v14, v[10:11], off
	v_add_co_u32_e32 v10, vcc, s24, v2
	v_addc_co_u32_e32 v11, vcc, v7, v3, vcc
	v_add_co_u32_e32 v2, vcc, s26, v2
	v_addc_co_u32_e32 v3, vcc, v8, v3, vcc
	v_cmp_le_i64_e32 vcc, s[2:3], v[2:3]
	v_cmp_lt_u64_e64 s[0:1], s[20:21], v[2:3]
	s_or_b64 s[0:1], vcc, s[0:1]
	s_and_b64 s[0:1], exec, s[0:1]
	s_or_b64 s[18:19], s[0:1], s[18:19]
	s_waitcnt vmcnt(1)
	v_bfe_i32 v12, v9, 0, 8
	v_bfe_i32 v15, v9, 8, 8
	;; [unrolled: 1-line block ×3, first 2 shown]
	v_xor_b32_sdwa v19, sext(v1), v12 dst_sel:DWORD dst_unused:UNUSED_PAD src0_sel:BYTE_0 src1_sel:DWORD
	v_cvt_f32_i32_e32 v12, v12
	v_ashrrev_i32_e32 v9, 24, v9
	v_xor_b32_sdwa v20, sext(v1), v15 dst_sel:DWORD dst_unused:UNUSED_PAD src0_sel:BYTE_0 src1_sel:DWORD
	v_cvt_f32_i32_e32 v15, v15
	v_xor_b32_sdwa v21, sext(v1), v17 dst_sel:DWORD dst_unused:UNUSED_PAD src0_sel:BYTE_0 src1_sel:DWORD
	v_cvt_f32_i32_e32 v17, v17
	;; [unrolled: 2-line block ×3, first 2 shown]
	v_rcp_iflag_f32_e32 v23, v12
	v_rcp_iflag_f32_e32 v24, v15
	;; [unrolled: 1-line block ×4, first 2 shown]
	v_mul_f32_e32 v23, v4, v23
	v_mul_f32_e32 v24, v4, v24
	;; [unrolled: 1-line block ×3, first 2 shown]
	v_trunc_f32_e32 v23, v23
	v_ashrrev_i32_e32 v19, 30, v19
	v_mul_f32_e32 v26, v4, v26
	v_trunc_f32_e32 v24, v24
	v_trunc_f32_e32 v25, v25
	v_mad_f32 v27, -v23, v12, v4
	v_ashrrev_i32_e32 v20, 30, v20
	v_or_b32_e32 v19, 1, v19
	v_trunc_f32_e32 v26, v26
	v_cvt_i32_f32_e32 v23, v23
	v_mad_f32 v28, -v24, v15, v4
	v_cvt_i32_f32_e32 v24, v24
	v_mad_f32 v29, -v25, v17, v4
	v_cvt_i32_f32_e32 v25, v25
	v_cmp_ge_f32_e64 vcc, |v27|, |v12|
	v_ashrrev_i32_e32 v21, 30, v21
	v_or_b32_e32 v20, 1, v20
	v_mad_f32 v30, -v26, v9, v4
	v_cvt_i32_f32_e32 v26, v26
	v_cndmask_b32_e32 v12, 0, v19, vcc
	v_cmp_ge_f32_e64 vcc, |v28|, |v15|
	v_ashrrev_i32_e32 v22, 30, v22
	v_or_b32_e32 v21, 1, v21
	v_cndmask_b32_e32 v15, 0, v20, vcc
	v_cmp_ge_f32_e64 vcc, |v29|, |v17|
	v_or_b32_e32 v22, 1, v22
	v_cndmask_b32_e32 v17, 0, v21, vcc
	v_cmp_ge_f32_e64 vcc, |v30|, |v9|
	s_waitcnt vmcnt(0)
	v_lshrrev_b32_e32 v13, 8, v14
	v_lshrrev_b32_e32 v16, 16, v14
	v_cndmask_b32_e32 v9, 0, v22, vcc
	v_add_u32_e32 v12, v23, v12
	v_add_u32_e32 v15, v24, v15
	;; [unrolled: 1-line block ×3, first 2 shown]
	v_lshrrev_b32_e32 v18, 24, v14
	v_add_u32_e32 v9, v26, v9
	v_mad_legacy_u16 v12, v12, s25, v14
	v_mad_legacy_u16 v13, v15, s25, v13
	;; [unrolled: 1-line block ×4, first 2 shown]
	v_and_b32_e32 v13, 0xff, v13
	v_and_b32_e32 v14, 0xff, v14
	v_lshlrev_b32_e32 v9, 24, v9
	v_perm_b32 v12, v13, v12, s7
	v_lshlrev_b32_e32 v13, 16, v14
	v_or3_b32 v9, v12, v13, v9
	global_store_dword v[10:11], v9, off
	s_andn2_b64 exec, exec, s[18:19]
	s_cbranch_execnz .LBB56_3
.LBB56_4:
	s_or_b64 exec, exec, s[16:17]
	s_mov_b64 s[0:1], 0
.LBB56_5:
	s_andn2_b64 vcc, exec, s[0:1]
	s_cbranch_vccnz .LBB56_25
; %bb.6:
	v_cmp_lt_i64_e64 s[0:1], s[2:3], 1
	s_and_b64 vcc, exec, s[0:1]
	s_cbranch_vccnz .LBB56_25
; %bb.7:
	s_load_dword s0, s[4:5], 0xbfc
	v_mov_b32_e32 v2, 0x10000
	v_mov_b32_e32 v3, 0
	v_cmp_lt_u64_e32 vcc, s[2:3], v[2:3]
	v_mov_b32_e32 v2, s15
	s_waitcnt lgkmcnt(0)
	s_and_b32 s17, s0, 0xffff
	s_and_b64 s[0:1], vcc, exec
	v_add_co_u32_e32 v3, vcc, s14, v0
	v_addc_co_u32_e32 v2, vcc, 0, v2, vcc
	v_mov_b32_e32 v4, s13
	v_add_co_u32_e32 v11, vcc, s12, v3
	v_addc_co_u32_e32 v12, vcc, v4, v2, vcc
	v_mov_b32_e32 v5, s9
	v_add_co_u32_e32 v13, vcc, s8, v3
	s_cselect_b32 s7, s3, 0
	s_cselect_b32 s6, s2, 0x10000
	s_lshl_b32 s18, s17, 1
	s_mul_i32 s0, s17, 3
	s_lshl_b32 s16, s17, 2
	v_addc_co_u32_e32 v14, vcc, v5, v2, vcc
	v_mov_b32_e32 v6, s11
	v_add_co_u32_e32 v15, vcc, s10, v3
	s_add_u32 s1, s14, s0
	v_addc_co_u32_e32 v16, vcc, v6, v2, vcc
	s_addc_u32 s9, s15, 0
	v_mov_b32_e32 v7, s9
	v_add_co_u32_e32 v8, vcc, s1, v0
	v_addc_co_u32_e32 v7, vcc, 0, v7, vcc
	v_add_co_u32_e32 v17, vcc, s12, v8
	v_addc_co_u32_e32 v18, vcc, v4, v7, vcc
	;; [unrolled: 2-line block ×4, first 2 shown]
	v_add_co_u32_e32 v23, vcc, s0, v0
	v_addc_co_u32_e64 v24, s[0:1], 0, 0, vcc
	s_add_u32 s0, s14, s18
	s_addc_u32 s1, s15, 0
	v_mov_b32_e32 v7, s1
	v_add_co_u32_e32 v8, vcc, s0, v0
	v_addc_co_u32_e32 v7, vcc, 0, v7, vcc
	v_add_co_u32_e32 v25, vcc, s12, v8
	v_addc_co_u32_e32 v26, vcc, v4, v7, vcc
	;; [unrolled: 2-line block ×4, first 2 shown]
	v_add_co_u32_e32 v31, vcc, s18, v0
	v_addc_co_u32_e64 v32, s[0:1], 0, 0, vcc
	v_add_co_u32_e32 v3, vcc, s17, v3
	v_addc_co_u32_e32 v2, vcc, 0, v2, vcc
	v_add_co_u32_e32 v33, vcc, s12, v3
	v_addc_co_u32_e32 v34, vcc, v4, v2, vcc
	v_add_co_u32_e32 v35, vcc, s8, v3
	v_addc_co_u32_e32 v36, vcc, v5, v2, vcc
	s_waitcnt vmcnt(0)
	v_cvt_f32_i32_sdwa v10, sext(v1) dst_sel:DWORD dst_unused:UNUSED_PAD src0_sel:BYTE_0
	v_add_co_u32_e32 v37, vcc, s10, v3
	v_addc_co_u32_e32 v38, vcc, v6, v2, vcc
	v_add_co_u32_e32 v39, vcc, s17, v0
	s_mov_b64 s[4:5], 0x10000
	v_addc_co_u32_e64 v40, s[0:1], 0, 0, vcc
	s_mov_b64 s[8:9], 0
	s_branch .LBB56_9
.LBB56_8:                               ;   in Loop: Header=BB56_9 Depth=1
	s_or_b64 exec, exec, s[0:1]
	s_add_u32 s8, s8, s16
	s_addc_u32 s9, s9, 0
	v_pk_mov_b32 v[2:3], s[2:3], s[2:3] op_sel:[0,1]
	v_cmp_ge_i64_e32 vcc, s[8:9], v[2:3]
	v_mov_b32_e32 v2, 0xffff
	v_mov_b32_e32 v3, 0
	v_cmp_gt_u64_e64 s[0:1], s[8:9], v[2:3]
	s_or_b64 s[0:1], vcc, s[0:1]
	s_and_b64 vcc, exec, s[0:1]
	s_cbranch_vccnz .LBB56_25
.LBB56_9:                               ; =>This Inner Loop Header: Depth=1
	v_mov_b32_e32 v2, s9
	v_add_co_u32_e32 v8, vcc, s8, v0
	v_addc_co_u32_e32 v9, vcc, 0, v2, vcc
	v_cmp_gt_i64_e32 vcc, s[2:3], v[8:9]
	v_cmp_gt_u64_e64 s[0:1], s[4:5], v[8:9]
	s_and_b64 s[10:11], vcc, s[0:1]
	s_waitcnt vmcnt(0)
	v_mov_b32_e32 v42, 0
	v_mov_b32_e32 v41, 0
	s_and_saveexec_b64 s[0:1], s[10:11]
	s_cbranch_execz .LBB56_11
; %bb.10:                               ;   in Loop: Header=BB56_9 Depth=1
	v_mov_b32_e32 v5, s9
	v_add_co_u32_e32 v2, vcc, s8, v11
	v_addc_co_u32_e32 v3, vcc, v12, v5, vcc
	v_add_co_u32_e32 v4, vcc, s8, v13
	v_addc_co_u32_e32 v5, vcc, v14, v5, vcc
	global_load_ubyte v41, v[2:3], off
	global_load_ubyte v42, v[4:5], off
.LBB56_11:                              ;   in Loop: Header=BB56_9 Depth=1
	s_or_b64 exec, exec, s[0:1]
	v_mov_b32_e32 v2, s9
	v_add_co_u32_e32 v6, vcc, s8, v39
	v_addc_co_u32_e32 v7, vcc, v40, v2, vcc
	v_cmp_gt_i64_e32 vcc, s[2:3], v[6:7]
	v_cmp_gt_u64_e64 s[0:1], s[4:5], v[6:7]
	s_and_b64 s[10:11], vcc, s[0:1]
	s_and_saveexec_b64 s[0:1], s[10:11]
	s_cbranch_execz .LBB56_13
; %bb.12:                               ;   in Loop: Header=BB56_9 Depth=1
	v_mov_b32_e32 v5, s9
	v_add_co_u32_e32 v2, vcc, s8, v35
	v_addc_co_u32_e32 v3, vcc, v36, v5, vcc
	v_add_co_u32_e32 v4, vcc, s8, v33
	v_addc_co_u32_e32 v5, vcc, v34, v5, vcc
	global_load_ubyte v43, v[4:5], off
	global_load_ubyte v44, v[2:3], off
	s_waitcnt vmcnt(1)
	v_lshl_or_b32 v41, v43, 8, v41
	s_waitcnt vmcnt(0)
	v_lshl_or_b32 v42, v44, 8, v42
.LBB56_13:                              ;   in Loop: Header=BB56_9 Depth=1
	s_or_b64 exec, exec, s[0:1]
	v_mov_b32_e32 v2, s9
	v_add_co_u32_e32 v4, vcc, s8, v31
	v_addc_co_u32_e32 v5, vcc, v32, v2, vcc
	v_cmp_gt_i64_e32 vcc, s[2:3], v[4:5]
	v_cmp_gt_u64_e64 s[0:1], s[4:5], v[4:5]
	s_and_b64 s[10:11], vcc, s[0:1]
	s_and_saveexec_b64 s[0:1], s[10:11]
	s_cbranch_execz .LBB56_15
; %bb.14:                               ;   in Loop: Header=BB56_9 Depth=1
	v_mov_b32_e32 v43, s9
	v_add_co_u32_e32 v2, vcc, s8, v27
	v_addc_co_u32_e32 v3, vcc, v28, v43, vcc
	v_add_co_u32_e32 v44, vcc, s8, v25
	v_addc_co_u32_e32 v45, vcc, v26, v43, vcc
	global_load_ubyte v43, v[44:45], off
	global_load_ubyte v46, v[2:3], off
	s_waitcnt vmcnt(1)
	v_lshl_or_b32 v41, v43, 16, v41
	s_waitcnt vmcnt(0)
	v_lshl_or_b32 v42, v46, 16, v42
.LBB56_15:                              ;   in Loop: Header=BB56_9 Depth=1
	s_or_b64 exec, exec, s[0:1]
	v_mov_b32_e32 v3, s9
	v_add_co_u32_e32 v2, vcc, s8, v23
	v_addc_co_u32_e32 v3, vcc, v24, v3, vcc
	v_cmp_gt_i64_e32 vcc, s[2:3], v[2:3]
	v_cmp_gt_u64_e64 s[0:1], s[4:5], v[2:3]
	s_and_b64 s[10:11], vcc, s[0:1]
	s_and_saveexec_b64 s[0:1], s[10:11]
	s_cbranch_execnz .LBB56_20
; %bb.16:                               ;   in Loop: Header=BB56_9 Depth=1
	s_or_b64 exec, exec, s[0:1]
	v_cmp_gt_u64_e32 vcc, s[6:7], v[8:9]
	s_and_saveexec_b64 s[0:1], vcc
	s_cbranch_execnz .LBB56_21
.LBB56_17:                              ;   in Loop: Header=BB56_9 Depth=1
	s_or_b64 exec, exec, s[0:1]
	v_cmp_gt_u64_e32 vcc, s[6:7], v[6:7]
	s_and_saveexec_b64 s[0:1], vcc
	s_cbranch_execnz .LBB56_22
.LBB56_18:                              ;   in Loop: Header=BB56_9 Depth=1
	s_or_b64 exec, exec, s[0:1]
	v_cmp_gt_u64_e32 vcc, s[6:7], v[4:5]
	s_and_saveexec_b64 s[0:1], vcc
	s_cbranch_execnz .LBB56_23
.LBB56_19:                              ;   in Loop: Header=BB56_9 Depth=1
	s_or_b64 exec, exec, s[0:1]
	v_cmp_gt_u64_e32 vcc, s[6:7], v[2:3]
	s_and_saveexec_b64 s[0:1], vcc
	s_cbranch_execz .LBB56_8
	s_branch .LBB56_24
.LBB56_20:                              ;   in Loop: Header=BB56_9 Depth=1
	v_mov_b32_e32 v43, s9
	v_add_co_u32_e32 v44, vcc, s8, v19
	v_addc_co_u32_e32 v45, vcc, v20, v43, vcc
	v_add_co_u32_e32 v46, vcc, s8, v17
	v_addc_co_u32_e32 v47, vcc, v18, v43, vcc
	global_load_ubyte v43, v[46:47], off
	global_load_ubyte v48, v[44:45], off
	s_waitcnt vmcnt(1)
	v_lshl_or_b32 v41, v43, 24, v41
	s_waitcnt vmcnt(0)
	v_lshl_or_b32 v42, v48, 24, v42
	s_or_b64 exec, exec, s[0:1]
	v_cmp_gt_u64_e32 vcc, s[6:7], v[8:9]
	s_and_saveexec_b64 s[0:1], vcc
	s_cbranch_execz .LBB56_17
.LBB56_21:                              ;   in Loop: Header=BB56_9 Depth=1
	s_waitcnt vmcnt(0)
	v_bfe_i32 v8, v42, 0, 8
	v_cvt_f32_i32_e32 v9, v8
	v_xor_b32_sdwa v8, sext(v1), v8 dst_sel:DWORD dst_unused:UNUSED_PAD src0_sel:BYTE_0 src1_sel:DWORD
	v_ashrrev_i32_e32 v8, 30, v8
	v_or_b32_e32 v8, 1, v8
	v_rcp_iflag_f32_e32 v44, v9
	s_lshr_b32 s10, s22, 16
	v_mov_b32_e32 v43, s9
	v_mul_f32_e32 v44, v10, v44
	v_trunc_f32_e32 v44, v44
	v_cvt_i32_f32_e32 v45, v44
	v_mad_f32 v44, -v44, v9, v10
	v_cmp_ge_f32_e64 vcc, |v44|, |v9|
	v_cndmask_b32_e32 v8, 0, v8, vcc
	v_add_u32_e32 v8, v45, v8
	v_mad_legacy_u16 v44, v8, s10, v41
	v_add_co_u32_e32 v8, vcc, s8, v15
	v_addc_co_u32_e32 v9, vcc, v16, v43, vcc
	global_store_byte v[8:9], v44, off
	s_or_b64 exec, exec, s[0:1]
	v_cmp_gt_u64_e32 vcc, s[6:7], v[6:7]
	s_and_saveexec_b64 s[0:1], vcc
	s_cbranch_execz .LBB56_18
.LBB56_22:                              ;   in Loop: Header=BB56_9 Depth=1
	s_waitcnt vmcnt(0)
	v_bfe_i32 v6, v42, 8, 8
	v_cvt_f32_i32_e32 v7, v6
	v_xor_b32_sdwa v6, sext(v1), v6 dst_sel:DWORD dst_unused:UNUSED_PAD src0_sel:BYTE_0 src1_sel:DWORD
	v_ashrrev_i32_e32 v6, 30, v6
	v_or_b32_e32 v6, 1, v6
	v_rcp_iflag_f32_e32 v43, v7
	s_lshr_b32 s10, s22, 16
	v_lshrrev_b32_e32 v8, 8, v41
	v_mov_b32_e32 v9, s9
	v_mul_f32_e32 v43, v10, v43
	v_trunc_f32_e32 v43, v43
	v_cvt_i32_f32_e32 v44, v43
	v_mad_f32 v43, -v43, v7, v10
	v_cmp_ge_f32_e64 vcc, |v43|, |v7|
	v_cndmask_b32_e32 v6, 0, v6, vcc
	v_add_u32_e32 v6, v44, v6
	v_mad_legacy_u16 v8, v6, s10, v8
	v_add_co_u32_e32 v6, vcc, s8, v37
	v_addc_co_u32_e32 v7, vcc, v38, v9, vcc
	global_store_byte v[6:7], v8, off
	s_or_b64 exec, exec, s[0:1]
	v_cmp_gt_u64_e32 vcc, s[6:7], v[4:5]
	s_and_saveexec_b64 s[0:1], vcc
	s_cbranch_execz .LBB56_19
.LBB56_23:                              ;   in Loop: Header=BB56_9 Depth=1
	s_waitcnt vmcnt(0)
	v_bfe_i32 v4, v42, 16, 8
	v_cvt_f32_i32_e32 v5, v4
	v_xor_b32_sdwa v4, sext(v1), v4 dst_sel:DWORD dst_unused:UNUSED_PAD src0_sel:BYTE_0 src1_sel:DWORD
	v_ashrrev_i32_e32 v4, 30, v4
	v_or_b32_e32 v4, 1, v4
	v_rcp_iflag_f32_e32 v8, v5
	s_lshr_b32 s10, s22, 16
	v_lshrrev_b32_e32 v6, 16, v41
	v_mov_b32_e32 v7, s9
	v_mul_f32_e32 v8, v10, v8
	v_trunc_f32_e32 v8, v8
	v_cvt_i32_f32_e32 v9, v8
	v_mad_f32 v8, -v8, v5, v10
	v_cmp_ge_f32_e64 vcc, |v8|, |v5|
	v_cndmask_b32_e32 v4, 0, v4, vcc
	v_add_u32_e32 v4, v9, v4
	v_mad_legacy_u16 v6, v4, s10, v6
	v_add_co_u32_e32 v4, vcc, s8, v29
	v_addc_co_u32_e32 v5, vcc, v30, v7, vcc
	global_store_byte v[4:5], v6, off
	s_or_b64 exec, exec, s[0:1]
	v_cmp_gt_u64_e32 vcc, s[6:7], v[2:3]
	s_and_saveexec_b64 s[0:1], vcc
	s_cbranch_execz .LBB56_8
.LBB56_24:                              ;   in Loop: Header=BB56_9 Depth=1
	s_waitcnt vmcnt(0)
	v_ashrrev_i32_e32 v2, 24, v42
	v_cvt_f32_i32_e32 v3, v2
	v_xor_b32_sdwa v2, sext(v1), v2 dst_sel:DWORD dst_unused:UNUSED_PAD src0_sel:BYTE_0 src1_sel:DWORD
	v_ashrrev_i32_e32 v2, 30, v2
	v_or_b32_e32 v2, 1, v2
	v_rcp_iflag_f32_e32 v6, v3
	s_lshr_b32 s10, s22, 16
	v_lshrrev_b32_e32 v4, 24, v41
	v_mov_b32_e32 v5, s9
	v_mul_f32_e32 v6, v10, v6
	v_trunc_f32_e32 v6, v6
	v_cvt_i32_f32_e32 v7, v6
	v_mad_f32 v6, -v6, v3, v10
	v_cmp_ge_f32_e64 vcc, |v6|, |v3|
	v_cndmask_b32_e32 v2, 0, v2, vcc
	v_add_u32_e32 v2, v7, v2
	v_mad_legacy_u16 v4, v2, s10, v4
	v_add_co_u32_e32 v2, vcc, s8, v21
	v_addc_co_u32_e32 v3, vcc, v22, v5, vcc
	global_store_byte v[2:3], v4, off
	s_branch .LBB56_8
.LBB56_25:
	s_endpgm
	.section	.rodata,"a",@progbits
	.p2align	6, 0x0
	.amdhsa_kernel _ZN2at6native12_GLOBAL__N_125multi_tensor_apply_kernelINS1_18TensorListMetadataILi4EEENS1_32PointwiseOpScalar0dTensorFunctorIaLi4ELi2ELi3EEEJSt7dividesIaEaEEEvT_T0_DpT1_
		.amdhsa_group_segment_fixed_size 0
		.amdhsa_private_segment_fixed_size 0
		.amdhsa_kernarg_size 3312
		.amdhsa_user_sgpr_count 6
		.amdhsa_user_sgpr_private_segment_buffer 1
		.amdhsa_user_sgpr_dispatch_ptr 0
		.amdhsa_user_sgpr_queue_ptr 0
		.amdhsa_user_sgpr_kernarg_segment_ptr 1
		.amdhsa_user_sgpr_dispatch_id 0
		.amdhsa_user_sgpr_flat_scratch_init 0
		.amdhsa_user_sgpr_kernarg_preload_length 0
		.amdhsa_user_sgpr_kernarg_preload_offset 0
		.amdhsa_user_sgpr_private_segment_size 0
		.amdhsa_uses_dynamic_stack 0
		.amdhsa_system_sgpr_private_segment_wavefront_offset 0
		.amdhsa_system_sgpr_workgroup_id_x 1
		.amdhsa_system_sgpr_workgroup_id_y 0
		.amdhsa_system_sgpr_workgroup_id_z 0
		.amdhsa_system_sgpr_workgroup_info 0
		.amdhsa_system_vgpr_workitem_id 0
		.amdhsa_next_free_vgpr 49
		.amdhsa_next_free_sgpr 27
		.amdhsa_accum_offset 52
		.amdhsa_reserve_vcc 1
		.amdhsa_reserve_flat_scratch 0
		.amdhsa_float_round_mode_32 0
		.amdhsa_float_round_mode_16_64 0
		.amdhsa_float_denorm_mode_32 3
		.amdhsa_float_denorm_mode_16_64 3
		.amdhsa_dx10_clamp 1
		.amdhsa_ieee_mode 1
		.amdhsa_fp16_overflow 0
		.amdhsa_tg_split 0
		.amdhsa_exception_fp_ieee_invalid_op 0
		.amdhsa_exception_fp_denorm_src 0
		.amdhsa_exception_fp_ieee_div_zero 0
		.amdhsa_exception_fp_ieee_overflow 0
		.amdhsa_exception_fp_ieee_underflow 0
		.amdhsa_exception_fp_ieee_inexact 0
		.amdhsa_exception_int_div_zero 0
	.end_amdhsa_kernel
	.section	.text._ZN2at6native12_GLOBAL__N_125multi_tensor_apply_kernelINS1_18TensorListMetadataILi4EEENS1_32PointwiseOpScalar0dTensorFunctorIaLi4ELi2ELi3EEEJSt7dividesIaEaEEEvT_T0_DpT1_,"axG",@progbits,_ZN2at6native12_GLOBAL__N_125multi_tensor_apply_kernelINS1_18TensorListMetadataILi4EEENS1_32PointwiseOpScalar0dTensorFunctorIaLi4ELi2ELi3EEEJSt7dividesIaEaEEEvT_T0_DpT1_,comdat
.Lfunc_end56:
	.size	_ZN2at6native12_GLOBAL__N_125multi_tensor_apply_kernelINS1_18TensorListMetadataILi4EEENS1_32PointwiseOpScalar0dTensorFunctorIaLi4ELi2ELi3EEEJSt7dividesIaEaEEEvT_T0_DpT1_, .Lfunc_end56-_ZN2at6native12_GLOBAL__N_125multi_tensor_apply_kernelINS1_18TensorListMetadataILi4EEENS1_32PointwiseOpScalar0dTensorFunctorIaLi4ELi2ELi3EEEJSt7dividesIaEaEEEvT_T0_DpT1_
                                        ; -- End function
	.section	.AMDGPU.csdata,"",@progbits
; Kernel info:
; codeLenInByte = 2112
; NumSgprs: 31
; NumVgprs: 49
; NumAgprs: 0
; TotalNumVgprs: 49
; ScratchSize: 0
; MemoryBound: 0
; FloatMode: 240
; IeeeMode: 1
; LDSByteSize: 0 bytes/workgroup (compile time only)
; SGPRBlocks: 3
; VGPRBlocks: 6
; NumSGPRsForWavesPerEU: 31
; NumVGPRsForWavesPerEU: 49
; AccumOffset: 52
; Occupancy: 8
; WaveLimiterHint : 0
; COMPUTE_PGM_RSRC2:SCRATCH_EN: 0
; COMPUTE_PGM_RSRC2:USER_SGPR: 6
; COMPUTE_PGM_RSRC2:TRAP_HANDLER: 0
; COMPUTE_PGM_RSRC2:TGID_X_EN: 1
; COMPUTE_PGM_RSRC2:TGID_Y_EN: 0
; COMPUTE_PGM_RSRC2:TGID_Z_EN: 0
; COMPUTE_PGM_RSRC2:TIDIG_COMP_CNT: 0
; COMPUTE_PGM_RSRC3_GFX90A:ACCUM_OFFSET: 12
; COMPUTE_PGM_RSRC3_GFX90A:TG_SPLIT: 0
	.section	.text._ZN2at6native12_GLOBAL__N_125multi_tensor_apply_kernelINS1_18TensorListMetadataILi4EEENS1_32PointwiseOpScalar0dTensorFunctorIiLi4ELi2ELi3EEEJSt7dividesIiEiEEEvT_T0_DpT1_,"axG",@progbits,_ZN2at6native12_GLOBAL__N_125multi_tensor_apply_kernelINS1_18TensorListMetadataILi4EEENS1_32PointwiseOpScalar0dTensorFunctorIiLi4ELi2ELi3EEEJSt7dividesIiEiEEEvT_T0_DpT1_,comdat
	.globl	_ZN2at6native12_GLOBAL__N_125multi_tensor_apply_kernelINS1_18TensorListMetadataILi4EEENS1_32PointwiseOpScalar0dTensorFunctorIiLi4ELi2ELi3EEEJSt7dividesIiEiEEEvT_T0_DpT1_ ; -- Begin function _ZN2at6native12_GLOBAL__N_125multi_tensor_apply_kernelINS1_18TensorListMetadataILi4EEENS1_32PointwiseOpScalar0dTensorFunctorIiLi4ELi2ELi3EEEJSt7dividesIiEiEEEvT_T0_DpT1_
	.p2align	8
	.type	_ZN2at6native12_GLOBAL__N_125multi_tensor_apply_kernelINS1_18TensorListMetadataILi4EEENS1_32PointwiseOpScalar0dTensorFunctorIiLi4ELi2ELi3EEEJSt7dividesIiEiEEEvT_T0_DpT1_,@function
_ZN2at6native12_GLOBAL__N_125multi_tensor_apply_kernelINS1_18TensorListMetadataILi4EEENS1_32PointwiseOpScalar0dTensorFunctorIiLi4ELi2ELi3EEEJSt7dividesIiEiEEEvT_T0_DpT1_: ; @_ZN2at6native12_GLOBAL__N_125multi_tensor_apply_kernelINS1_18TensorListMetadataILi4EEENS1_32PointwiseOpScalar0dTensorFunctorIiLi4ELi2ELi3EEEJSt7dividesIiEiEEEvT_T0_DpT1_
; %bb.0:
	v_mov_b32_e32 v1, s6
	global_load_ubyte v1, v1, s[4:5] offset:1440
	s_add_u32 s0, s4, s6
	s_mul_hi_u32 s1, s6, 3
	s_mul_i32 s6, s6, 3
	s_addc_u32 s2, s5, 0
	s_add_u32 s0, s0, s6
	s_addc_u32 s1, s2, s1
	s_load_dword s2, s[0:1], 0x6e0
	s_mov_b32 s1, 0
	s_mov_b32 s7, s1
	;; [unrolled: 1-line block ×3, first 2 shown]
	s_waitcnt lgkmcnt(0)
	s_ashr_i32 s3, s2, 31
	s_lshl_b64 s[8:9], s[2:3], 18
	s_waitcnt vmcnt(0)
	v_readfirstlane_b32 s0, v1
	s_lshl_b32 s0, s0, 3
	s_load_dwordx2 s[14:15], s[4:5], s0 offset:0x0
	s_load_dwordx2 s[10:11], s[4:5], s0 offset:0x120
	s_load_dword s24, s[4:5], 0xbec
	s_load_dwordx2 s[20:21], s[4:5], s0 offset:0x480
	s_load_dwordx2 s[16:17], s[4:5], s0 offset:0x240
	;; [unrolled: 1-line block ×3, first 2 shown]
	s_waitcnt lgkmcnt(0)
	s_add_u32 s6, s10, s8
	s_and_b32 s0, s14, 15
	s_and_b32 s6, s6, 15
	s_cmp_lg_u64 s[6:7], 0
	s_load_dword s26, s[10:11], 0x0
	s_cselect_b64 s[6:7], -1, 0
	s_add_u32 s10, s16, s8
	s_or_b32 s10, s12, s10
	s_and_b32 s10, s10, 15
	s_cmp_lg_u32 s10, 0
	s_cselect_b64 s[10:11], -1, 0
	s_lshl_b64 s[2:3], s[2:3], 16
	s_or_b64 s[6:7], s[10:11], s[6:7]
	s_sub_u32 s10, s20, s2
	s_subb_u32 s11, s21, s3
	s_and_b32 s18, s20, 3
	s_or_b64 s[2:3], s[0:1], s[18:19]
	s_cmp_lg_u64 s[2:3], 0
	s_cselect_b64 s[2:3], -1, 0
	s_or_b64 s[2:3], s[6:7], s[2:3]
	s_andn2_b64 vcc, exec, s[2:3]
	s_mov_b64 s[2:3], -1
	s_cbranch_vccz .LBB57_5
; %bb.1:
	v_mov_b32_e32 v3, 0
	v_lshlrev_b32_e32 v2, 2, v0
	v_cmp_gt_i64_e32 vcc, s[10:11], v[2:3]
	s_and_saveexec_b64 s[18:19], vcc
	s_cbranch_execz .LBB57_4
; %bb.2:
	s_load_dword s0, s[4:5], 0xbfc
	s_waitcnt lgkmcnt(0)
	s_ashr_i32 s27, s26, 31
	s_abs_i32 s28, s26
	v_lshlrev_b32_e32 v1, 4, v0
	v_mov_b32_e32 v5, s9
	s_and_b32 s0, s0, 0xffff
	s_lshl_b32 s29, s0, 2
	s_add_u32 s30, s14, 8
	s_addc_u32 s2, s15, 0
	s_lshl_b32 s31, s0, 4
	s_add_u32 s33, s16, 8
	v_add_co_u32_e32 v4, vcc, s8, v1
	s_addc_u32 s3, s17, 0
	s_mov_b32 s25, s24
	v_add_lshl_u32 v2, v0, s0, 2
	v_addc_co_u32_e32 v1, vcc, 0, v5, vcc
	s_mov_b64 s[20:21], 0
	v_mov_b32_e32 v5, s2
	v_mov_b32_e32 v6, s3
	;; [unrolled: 1-line block ×3, first 2 shown]
	s_mov_b64 s[22:23], 0xffff
	v_mov_b32_e32 v8, s1
	v_mov_b32_e32 v9, s1
.LBB57_3:                               ; =>This Inner Loop Header: Depth=1
	v_add_co_u32_e32 v18, vcc, s30, v4
	v_addc_co_u32_e32 v19, vcc, v5, v1, vcc
	v_add_co_u32_e32 v20, vcc, s33, v4
	v_addc_co_u32_e32 v21, vcc, v6, v1, vcc
	global_load_dwordx4 v[10:13], v[20:21], off offset:-8
	global_load_dwordx4 v[14:17], v[18:19], off offset:-8
	v_add_co_u32_e32 v22, vcc, s12, v4
	v_addc_co_u32_e32 v23, vcc, v7, v1, vcc
	v_cmp_le_i64_e32 vcc, s[10:11], v[2:3]
	v_cmp_lt_u64_e64 s[0:1], s[22:23], v[2:3]
	v_add_co_u32_e64 v2, s[2:3], s29, v2
	v_addc_co_u32_e64 v3, s[2:3], v3, v8, s[2:3]
	s_or_b64 s[0:1], vcc, s[0:1]
	v_add_co_u32_e64 v4, s[2:3], s31, v4
	s_and_b64 s[0:1], exec, s[0:1]
	v_addc_co_u32_e64 v1, s[2:3], v1, v9, s[2:3]
	s_or_b64 s[20:21], s[0:1], s[20:21]
	s_waitcnt vmcnt(1)
	v_sub_u32_e32 v21, 0, v10
	v_ashrrev_i32_e32 v19, 31, v10
	v_ashrrev_i32_e32 v24, 31, v11
	v_sub_u32_e32 v25, 0, v11
	v_ashrrev_i32_e32 v26, 31, v12
	v_max_i32_e32 v10, v10, v21
	v_sub_u32_e32 v27, 0, v12
	v_ashrrev_i32_e32 v28, 31, v13
	v_xor_b32_e32 v21, s27, v24
	v_max_i32_e32 v11, v11, v25
	v_xor_b32_e32 v24, s27, v26
	v_cvt_f32_u32_e32 v26, v10
	v_sub_u32_e32 v29, 0, v13
	v_max_i32_e32 v12, v12, v27
	v_xor_b32_e32 v25, s27, v28
	v_cvt_f32_u32_e32 v28, v11
	v_max_i32_e32 v13, v13, v29
	v_cvt_f32_u32_e32 v30, v12
	v_cvt_f32_u32_e32 v32, v13
	v_rcp_iflag_f32_e32 v26, v26
	v_rcp_iflag_f32_e32 v28, v28
	;; [unrolled: 1-line block ×4, first 2 shown]
	v_mul_f32_e32 v26, 0x4f7ffffe, v26
	v_mul_f32_e32 v28, 0x4f7ffffe, v28
	v_cvt_u32_f32_e32 v26, v26
	v_mul_f32_e32 v30, 0x4f7ffffe, v30
	v_cvt_u32_f32_e32 v28, v28
	;; [unrolled: 2-line block ×3, first 2 shown]
	v_sub_u32_e32 v27, 0, v10
	v_cvt_u32_f32_e32 v32, v32
	v_sub_u32_e32 v29, 0, v11
	v_mul_lo_u32 v27, v27, v26
	v_sub_u32_e32 v31, 0, v12
	v_mul_lo_u32 v29, v29, v28
	v_mul_hi_u32 v27, v26, v27
	v_sub_u32_e32 v33, 0, v13
	v_mul_lo_u32 v31, v31, v30
	v_mul_hi_u32 v29, v28, v29
	v_add_u32_e32 v26, v26, v27
	v_mul_lo_u32 v33, v33, v32
	v_mul_hi_u32 v31, v30, v31
	v_add_u32_e32 v27, v28, v29
	v_mul_hi_u32 v26, s28, v26
	v_mul_hi_u32 v33, v32, v33
	v_add_u32_e32 v28, v30, v31
	v_mul_hi_u32 v27, s28, v27
	v_mul_lo_u32 v30, v26, v10
	v_add_u32_e32 v29, v32, v33
	v_mul_hi_u32 v28, s28, v28
	v_mul_lo_u32 v32, v27, v11
	v_sub_u32_e32 v30, s28, v30
	v_mul_hi_u32 v29, s28, v29
	v_add_u32_e32 v31, 1, v26
	v_mul_lo_u32 v34, v28, v12
	v_sub_u32_e32 v32, s28, v32
	v_cmp_ge_u32_e32 vcc, v30, v10
	v_add_u32_e32 v33, 1, v27
	v_mul_lo_u32 v36, v29, v13
	v_sub_u32_e32 v34, s28, v34
	v_cndmask_b32_e32 v26, v26, v31, vcc
	v_sub_u32_e32 v31, v30, v10
	v_cmp_ge_u32_e64 s[0:1], v32, v11
	v_add_u32_e32 v35, 1, v28
	v_sub_u32_e32 v36, s28, v36
	v_cndmask_b32_e64 v27, v27, v33, s[0:1]
	v_sub_u32_e32 v33, v32, v11
	v_cmp_ge_u32_e64 s[2:3], v34, v12
	v_cndmask_b32_e32 v30, v30, v31, vcc
	v_add_u32_e32 v37, 1, v29
	v_cndmask_b32_e64 v28, v28, v35, s[2:3]
	v_sub_u32_e32 v35, v34, v12
	v_cmp_ge_u32_e64 s[6:7], v36, v13
	v_add_u32_e32 v31, 1, v26
	v_cndmask_b32_e64 v32, v32, v33, s[0:1]
	v_cmp_ge_u32_e32 vcc, v30, v10
	v_cndmask_b32_e64 v29, v29, v37, s[6:7]
	v_sub_u32_e32 v37, v36, v13
	v_add_u32_e32 v33, 1, v27
	v_cndmask_b32_e64 v34, v34, v35, s[2:3]
	v_cndmask_b32_e32 v10, v26, v31, vcc
	v_cmp_ge_u32_e32 vcc, v32, v11
	v_add_u32_e32 v35, 1, v28
	v_cndmask_b32_e64 v36, v36, v37, s[6:7]
	v_cndmask_b32_e32 v11, v27, v33, vcc
	v_cmp_ge_u32_e32 vcc, v34, v12
	v_add_u32_e32 v37, 1, v29
	v_cndmask_b32_e32 v12, v28, v35, vcc
	v_cmp_ge_u32_e32 vcc, v36, v13
	v_xor_b32_e32 v19, s27, v19
	v_cndmask_b32_e32 v13, v29, v37, vcc
	v_xor_b32_e32 v10, v10, v19
	v_xor_b32_e32 v11, v11, v21
	;; [unrolled: 1-line block ×4, first 2 shown]
	s_waitcnt vmcnt(0)
	v_mov_b32_e32 v18, v15
	v_mov_b32_e32 v20, v17
	v_sub_u32_e32 v10, v10, v19
	v_sub_u32_e32 v11, v11, v21
	;; [unrolled: 1-line block ×4, first 2 shown]
	v_mad_u64_u32 v[18:19], s[0:1], v11, s25, v[18:19]
	v_mad_u64_u32 v[10:11], s[0:1], v10, s24, v[14:15]
	;; [unrolled: 1-line block ×4, first 2 shown]
	v_mov_b32_e32 v11, v18
	v_mov_b32_e32 v13, v14
	global_store_dwordx4 v[22:23], v[10:13], off
	s_andn2_b64 exec, exec, s[20:21]
	s_cbranch_execnz .LBB57_3
.LBB57_4:
	s_or_b64 exec, exec, s[18:19]
	s_mov_b64 s[2:3], 0
.LBB57_5:
	s_andn2_b64 vcc, exec, s[2:3]
	s_cbranch_vccnz .LBB57_25
; %bb.6:
	v_cmp_lt_i64_e64 s[0:1], s[10:11], 1
	s_and_b64 vcc, exec, s[0:1]
	s_cbranch_vccnz .LBB57_25
; %bb.7:
	s_load_dword s0, s[4:5], 0xbfc
	v_mov_b32_e32 v2, 0x10000
	v_mov_b32_e32 v3, 0
	v_cmp_lt_u64_e32 vcc, s[10:11], v[2:3]
	v_lshlrev_b32_e32 v14, 2, v0
	s_waitcnt lgkmcnt(0)
	s_and_b32 s19, s0, 0xffff
	s_and_b64 s[0:1], vcc, exec
	v_mov_b32_e32 v21, s15
	v_add_co_u32_e32 v2, vcc, s14, v14
	v_addc_co_u32_e32 v3, vcc, 0, v21, vcc
	v_mov_b32_e32 v23, s17
	v_add_co_u32_e32 v4, vcc, s16, v14
	v_mov_b32_e32 v1, 0
	v_addc_co_u32_e32 v5, vcc, 0, v23, vcc
	v_mov_b32_e32 v15, v1
	v_mov_b32_e32 v25, s13
	v_add_co_u32_e32 v6, vcc, s12, v14
	v_addc_co_u32_e32 v7, vcc, 0, v25, vcc
	v_mad_u64_u32 v[12:13], s[0:1], s19, 12, v[14:15]
	v_add_co_u32_e32 v8, vcc, s14, v12
	v_addc_co_u32_e32 v9, vcc, v21, v13, vcc
	v_add_co_u32_e32 v10, vcc, s16, v12
	v_addc_co_u32_e32 v11, vcc, v23, v13, vcc
	v_add_co_u32_e32 v12, vcc, s12, v12
	s_cselect_b32 s5, s11, 0
	s_cselect_b32 s4, s10, 0x10000
	v_addc_co_u32_e32 v13, vcc, v25, v13, vcc
	s_lshl_b32 s0, s19, 3
	v_add_co_u32_e32 v18, vcc, s0, v14
	v_addc_co_u32_e64 v19, s[0:1], 0, 0, vcc
	v_add_co_u32_e32 v14, vcc, s14, v18
	v_addc_co_u32_e32 v15, vcc, v21, v19, vcc
	v_add_co_u32_e32 v16, vcc, s16, v18
	v_addc_co_u32_e32 v17, vcc, v23, v19, vcc
	v_add_co_u32_e32 v18, vcc, s12, v18
	v_addc_co_u32_e32 v19, vcc, v25, v19, vcc
	v_add_lshl_u32 v24, v0, s19, 2
	v_add_co_u32_e32 v20, vcc, s14, v24
	v_addc_co_u32_e32 v21, vcc, 0, v21, vcc
	v_add_co_u32_e32 v22, vcc, s16, v24
	s_mov_b32 s18, 0
	v_addc_co_u32_e32 v23, vcc, 0, v23, vcc
	s_lshl_b32 s6, s19, 2
	s_mov_b32 s7, s18
	v_add_co_u32_e32 v24, vcc, s12, v24
	s_mov_b64 s[2:3], 0x10000
	s_lshl_b32 s20, s19, 1
	s_mov_b32 s21, s18
	s_mul_i32 s22, s19, 3
	s_mov_b32 s23, s18
	s_ashr_i32 s25, s26, 31
	s_abs_i32 s26, s26
	s_lshl_b32 s15, s19, 4
	s_mov_b32 s27, s18
	v_addc_co_u32_e32 v25, vcc, 0, v25, vcc
	s_mov_b64 s[12:13], s[6:7]
	s_branch .LBB57_9
.LBB57_8:                               ;   in Loop: Header=BB57_9 Depth=1
	s_or_b64 exec, exec, s[0:1]
	s_waitcnt vmcnt(0)
	v_pk_mov_b32 v[26:27], s[10:11], s[10:11] op_sel:[0,1]
	v_cmp_ge_i64_e32 vcc, s[12:13], v[26:27]
	v_mov_b32_e32 v26, 0xffff
	v_mov_b32_e32 v27, 0
	v_cmp_gt_u64_e64 s[0:1], s[12:13], v[26:27]
	s_or_b64 s[0:1], vcc, s[0:1]
	v_mov_b32_e32 v26, s27
	v_add_co_u32_e32 v2, vcc, s15, v2
	v_addc_co_u32_e32 v3, vcc, v3, v26, vcc
	v_add_co_u32_e32 v4, vcc, s15, v4
	v_addc_co_u32_e32 v5, vcc, v5, v26, vcc
	;; [unrolled: 2-line block ×3, first 2 shown]
	v_mov_b32_e32 v27, s7
	v_add_co_u32_e32 v0, vcc, s6, v0
	v_addc_co_u32_e32 v1, vcc, v1, v27, vcc
	v_add_co_u32_e32 v8, vcc, s15, v8
	v_addc_co_u32_e32 v9, vcc, v9, v26, vcc
	;; [unrolled: 2-line block ×9, first 2 shown]
	v_add_co_u32_e32 v24, vcc, s15, v24
	s_add_u32 s12, s12, s6
	v_addc_co_u32_e32 v25, vcc, v25, v26, vcc
	s_addc_u32 s13, s13, 0
	s_and_b64 vcc, exec, s[0:1]
	s_cbranch_vccnz .LBB57_25
.LBB57_9:                               ; =>This Inner Loop Header: Depth=1
	v_cmp_gt_i64_e32 vcc, s[10:11], v[0:1]
	v_cmp_gt_u64_e64 s[0:1], s[2:3], v[0:1]
	s_and_b64 s[16:17], vcc, s[0:1]
	v_mov_b32_e32 v35, 0
	v_mov_b32_e32 v34, 0
	s_and_saveexec_b64 s[0:1], s[16:17]
	s_cbranch_execz .LBB57_11
; %bb.10:                               ;   in Loop: Header=BB57_9 Depth=1
	v_mov_b32_e32 v29, s9
	v_add_co_u32_e32 v26, vcc, s8, v2
	v_addc_co_u32_e32 v27, vcc, v3, v29, vcc
	v_add_co_u32_e32 v28, vcc, s8, v4
	v_addc_co_u32_e32 v29, vcc, v5, v29, vcc
	global_load_dword v34, v[26:27], off
	global_load_dword v35, v[28:29], off
.LBB57_11:                              ;   in Loop: Header=BB57_9 Depth=1
	s_or_b64 exec, exec, s[0:1]
	v_mov_b32_e32 v26, s18
	v_add_co_u32_e32 v38, vcc, s19, v0
	v_addc_co_u32_e32 v39, vcc, v26, v1, vcc
	v_cmp_gt_i64_e32 vcc, s[10:11], v[38:39]
	v_cmp_gt_u64_e64 s[0:1], s[2:3], v[38:39]
	s_and_b64 s[16:17], vcc, s[0:1]
	v_mov_b32_e32 v27, 0
	v_mov_b32_e32 v33, 0
	v_mov_b32_e32 v32, 0
	s_and_saveexec_b64 s[0:1], s[16:17]
	s_cbranch_execz .LBB57_13
; %bb.12:                               ;   in Loop: Header=BB57_9 Depth=1
	v_mov_b32_e32 v26, s9
	v_add_co_u32_e32 v28, vcc, s8, v20
	v_addc_co_u32_e32 v29, vcc, v21, v26, vcc
	v_add_co_u32_e32 v30, vcc, s8, v22
	v_addc_co_u32_e32 v31, vcc, v23, v26, vcc
	global_load_dword v32, v[28:29], off
	global_load_dword v33, v[30:31], off
.LBB57_13:                              ;   in Loop: Header=BB57_9 Depth=1
	s_or_b64 exec, exec, s[0:1]
	v_mov_b32_e32 v26, s21
	v_add_co_u32_e32 v36, vcc, s20, v0
	v_addc_co_u32_e32 v37, vcc, v26, v1, vcc
	v_cmp_gt_i64_e32 vcc, s[10:11], v[36:37]
	v_cmp_gt_u64_e64 s[0:1], s[2:3], v[36:37]
	s_and_b64 s[16:17], vcc, s[0:1]
	v_mov_b32_e32 v28, 0
	s_and_saveexec_b64 s[0:1], s[16:17]
	s_cbranch_execz .LBB57_15
; %bb.14:                               ;   in Loop: Header=BB57_9 Depth=1
	v_mov_b32_e32 v26, s9
	v_add_co_u32_e32 v30, vcc, s8, v14
	v_addc_co_u32_e32 v31, vcc, v15, v26, vcc
	v_add_co_u32_e32 v40, vcc, s8, v16
	v_addc_co_u32_e32 v41, vcc, v17, v26, vcc
	global_load_dword v28, v[30:31], off
	global_load_dword v27, v[40:41], off
.LBB57_15:                              ;   in Loop: Header=BB57_9 Depth=1
	s_or_b64 exec, exec, s[0:1]
	v_mov_b32_e32 v26, s23
	v_add_co_u32_e32 v30, vcc, s22, v0
	v_addc_co_u32_e32 v31, vcc, v26, v1, vcc
	v_cmp_gt_i64_e32 vcc, s[10:11], v[30:31]
	v_cmp_gt_u64_e64 s[0:1], s[2:3], v[30:31]
	s_and_b64 s[16:17], vcc, s[0:1]
	v_mov_b32_e32 v29, 0
	v_mov_b32_e32 v26, 0
	s_and_saveexec_b64 s[0:1], s[16:17]
	s_cbranch_execnz .LBB57_20
; %bb.16:                               ;   in Loop: Header=BB57_9 Depth=1
	s_or_b64 exec, exec, s[0:1]
	v_cmp_gt_u64_e32 vcc, s[4:5], v[0:1]
	s_and_saveexec_b64 s[0:1], vcc
	s_cbranch_execnz .LBB57_21
.LBB57_17:                              ;   in Loop: Header=BB57_9 Depth=1
	s_or_b64 exec, exec, s[0:1]
	v_cmp_gt_u64_e32 vcc, s[4:5], v[38:39]
	s_and_saveexec_b64 s[0:1], vcc
	s_cbranch_execnz .LBB57_22
.LBB57_18:                              ;   in Loop: Header=BB57_9 Depth=1
	s_or_b64 exec, exec, s[0:1]
	v_cmp_gt_u64_e32 vcc, s[4:5], v[36:37]
	s_and_saveexec_b64 s[0:1], vcc
	s_cbranch_execnz .LBB57_23
.LBB57_19:                              ;   in Loop: Header=BB57_9 Depth=1
	s_or_b64 exec, exec, s[0:1]
	v_cmp_gt_u64_e32 vcc, s[4:5], v[30:31]
	s_and_saveexec_b64 s[0:1], vcc
	s_cbranch_execz .LBB57_8
	s_branch .LBB57_24
.LBB57_20:                              ;   in Loop: Header=BB57_9 Depth=1
	v_mov_b32_e32 v26, s9
	v_add_co_u32_e32 v40, vcc, s8, v8
	v_addc_co_u32_e32 v41, vcc, v9, v26, vcc
	v_add_co_u32_e32 v42, vcc, s8, v10
	v_addc_co_u32_e32 v43, vcc, v11, v26, vcc
	global_load_dword v26, v[40:41], off
	global_load_dword v29, v[42:43], off
	s_or_b64 exec, exec, s[0:1]
	v_cmp_gt_u64_e32 vcc, s[4:5], v[0:1]
	s_and_saveexec_b64 s[0:1], vcc
	s_cbranch_execz .LBB57_17
.LBB57_21:                              ;   in Loop: Header=BB57_9 Depth=1
	s_waitcnt vmcnt(0)
	v_sub_u32_e32 v40, 0, v35
	v_max_i32_e32 v42, v35, v40
	v_cvt_f32_u32_e32 v40, v42
	v_sub_u32_e32 v44, 0, v42
	v_mov_b32_e32 v41, s9
	v_ashrrev_i32_e32 v35, 31, v35
	v_rcp_iflag_f32_e32 v40, v40
	v_xor_b32_e32 v35, s25, v35
	v_mul_f32_e32 v40, 0x4f7ffffe, v40
	v_cvt_u32_f32_e32 v43, v40
	v_add_co_u32_e32 v40, vcc, s8, v6
	v_addc_co_u32_e32 v41, vcc, v7, v41, vcc
	v_mul_lo_u32 v44, v44, v43
	v_mul_hi_u32 v44, v43, v44
	v_add_u32_e32 v43, v43, v44
	v_mul_hi_u32 v43, s26, v43
	v_mul_lo_u32 v44, v43, v42
	v_sub_u32_e32 v44, s26, v44
	v_add_u32_e32 v45, 1, v43
	v_cmp_ge_u32_e32 vcc, v44, v42
	v_cndmask_b32_e32 v43, v43, v45, vcc
	v_sub_u32_e32 v45, v44, v42
	v_cndmask_b32_e32 v44, v44, v45, vcc
	v_add_u32_e32 v45, 1, v43
	v_cmp_ge_u32_e32 vcc, v44, v42
	v_cndmask_b32_e32 v42, v43, v45, vcc
	v_xor_b32_e32 v42, v42, v35
	v_sub_u32_e32 v35, v42, v35
	v_mad_u64_u32 v[34:35], s[16:17], v35, s24, v[34:35]
	global_store_dword v[40:41], v34, off
	s_or_b64 exec, exec, s[0:1]
	v_cmp_gt_u64_e32 vcc, s[4:5], v[38:39]
	s_and_saveexec_b64 s[0:1], vcc
	s_cbranch_execz .LBB57_18
.LBB57_22:                              ;   in Loop: Header=BB57_9 Depth=1
	s_waitcnt vmcnt(0)
	v_sub_u32_e32 v34, 0, v33
	v_max_i32_e32 v34, v33, v34
	v_cvt_f32_u32_e32 v35, v34
	v_sub_u32_e32 v38, 0, v34
	v_ashrrev_i32_e32 v33, 31, v33
	v_xor_b32_e32 v33, s25, v33
	v_rcp_iflag_f32_e32 v35, v35
	v_mul_f32_e32 v35, 0x4f7ffffe, v35
	v_cvt_u32_f32_e32 v35, v35
	v_mul_lo_u32 v38, v38, v35
	v_mul_hi_u32 v38, v35, v38
	v_add_u32_e32 v35, v35, v38
	v_mul_hi_u32 v35, s26, v35
	v_mul_lo_u32 v38, v35, v34
	v_sub_u32_e32 v38, s26, v38
	v_add_u32_e32 v39, 1, v35
	v_cmp_ge_u32_e32 vcc, v38, v34
	v_cndmask_b32_e32 v35, v35, v39, vcc
	v_sub_u32_e32 v39, v38, v34
	v_cndmask_b32_e32 v38, v38, v39, vcc
	v_add_u32_e32 v39, 1, v35
	v_cmp_ge_u32_e32 vcc, v38, v34
	v_cndmask_b32_e32 v34, v35, v39, vcc
	v_xor_b32_e32 v34, v34, v33
	v_sub_u32_e32 v33, v34, v33
	v_mad_u64_u32 v[32:33], s[16:17], v33, s24, v[32:33]
	v_mov_b32_e32 v33, s9
	v_add_co_u32_e32 v34, vcc, s8, v24
	v_addc_co_u32_e32 v35, vcc, v25, v33, vcc
	global_store_dword v[34:35], v32, off
	s_or_b64 exec, exec, s[0:1]
	v_cmp_gt_u64_e32 vcc, s[4:5], v[36:37]
	s_and_saveexec_b64 s[0:1], vcc
	s_cbranch_execz .LBB57_19
.LBB57_23:                              ;   in Loop: Header=BB57_9 Depth=1
	s_waitcnt vmcnt(0)
	v_sub_u32_e32 v32, 0, v27
	v_max_i32_e32 v32, v27, v32
	v_cvt_f32_u32_e32 v33, v32
	v_sub_u32_e32 v34, 0, v32
	v_ashrrev_i32_e32 v27, 31, v27
	v_xor_b32_e32 v27, s25, v27
	v_rcp_iflag_f32_e32 v33, v33
	v_mul_f32_e32 v33, 0x4f7ffffe, v33
	v_cvt_u32_f32_e32 v33, v33
	v_mul_lo_u32 v34, v34, v33
	v_mul_hi_u32 v34, v33, v34
	v_add_u32_e32 v33, v33, v34
	v_mul_hi_u32 v33, s26, v33
	v_mul_lo_u32 v34, v33, v32
	v_sub_u32_e32 v34, s26, v34
	v_add_u32_e32 v35, 1, v33
	v_cmp_ge_u32_e32 vcc, v34, v32
	v_cndmask_b32_e32 v33, v33, v35, vcc
	v_sub_u32_e32 v35, v34, v32
	v_cndmask_b32_e32 v34, v34, v35, vcc
	v_add_u32_e32 v35, 1, v33
	v_cmp_ge_u32_e32 vcc, v34, v32
	v_cndmask_b32_e32 v32, v33, v35, vcc
	v_xor_b32_e32 v32, v32, v27
	v_sub_u32_e32 v27, v32, v27
	v_mad_u64_u32 v[32:33], s[16:17], v27, s24, v[28:29]
	v_mov_b32_e32 v27, s9
	v_add_co_u32_e32 v34, vcc, s8, v18
	v_addc_co_u32_e32 v35, vcc, v19, v27, vcc
	global_store_dword v[34:35], v32, off
	s_or_b64 exec, exec, s[0:1]
	v_cmp_gt_u64_e32 vcc, s[4:5], v[30:31]
	s_and_saveexec_b64 s[0:1], vcc
	s_cbranch_execz .LBB57_8
.LBB57_24:                              ;   in Loop: Header=BB57_9 Depth=1
	s_waitcnt vmcnt(0)
	v_sub_u32_e32 v27, 0, v29
	v_max_i32_e32 v27, v29, v27
	v_cvt_f32_u32_e32 v28, v27
	v_sub_u32_e32 v30, 0, v27
	v_ashrrev_i32_e32 v29, 31, v29
	v_xor_b32_e32 v29, s25, v29
	v_rcp_iflag_f32_e32 v28, v28
	v_mul_f32_e32 v28, 0x4f7ffffe, v28
	v_cvt_u32_f32_e32 v28, v28
	v_mul_lo_u32 v30, v30, v28
	v_mul_hi_u32 v30, v28, v30
	v_add_u32_e32 v28, v28, v30
	v_mul_hi_u32 v28, s26, v28
	v_mul_lo_u32 v30, v28, v27
	v_sub_u32_e32 v30, s26, v30
	v_add_u32_e32 v31, 1, v28
	v_cmp_ge_u32_e32 vcc, v30, v27
	v_cndmask_b32_e32 v28, v28, v31, vcc
	v_sub_u32_e32 v31, v30, v27
	v_cndmask_b32_e32 v30, v30, v31, vcc
	v_add_u32_e32 v31, 1, v28
	v_cmp_ge_u32_e32 vcc, v30, v27
	v_cndmask_b32_e32 v27, v28, v31, vcc
	v_xor_b32_e32 v27, v27, v29
	v_sub_u32_e32 v27, v27, v29
	v_mad_u64_u32 v[26:27], s[16:17], v27, s24, v[26:27]
	v_mov_b32_e32 v27, s9
	v_add_co_u32_e32 v28, vcc, s8, v12
	v_addc_co_u32_e32 v29, vcc, v13, v27, vcc
	global_store_dword v[28:29], v26, off
	s_branch .LBB57_8
.LBB57_25:
	s_endpgm
	.section	.rodata,"a",@progbits
	.p2align	6, 0x0
	.amdhsa_kernel _ZN2at6native12_GLOBAL__N_125multi_tensor_apply_kernelINS1_18TensorListMetadataILi4EEENS1_32PointwiseOpScalar0dTensorFunctorIiLi4ELi2ELi3EEEJSt7dividesIiEiEEEvT_T0_DpT1_
		.amdhsa_group_segment_fixed_size 0
		.amdhsa_private_segment_fixed_size 0
		.amdhsa_kernarg_size 3312
		.amdhsa_user_sgpr_count 6
		.amdhsa_user_sgpr_private_segment_buffer 1
		.amdhsa_user_sgpr_dispatch_ptr 0
		.amdhsa_user_sgpr_queue_ptr 0
		.amdhsa_user_sgpr_kernarg_segment_ptr 1
		.amdhsa_user_sgpr_dispatch_id 0
		.amdhsa_user_sgpr_flat_scratch_init 0
		.amdhsa_user_sgpr_kernarg_preload_length 0
		.amdhsa_user_sgpr_kernarg_preload_offset 0
		.amdhsa_user_sgpr_private_segment_size 0
		.amdhsa_uses_dynamic_stack 0
		.amdhsa_system_sgpr_private_segment_wavefront_offset 0
		.amdhsa_system_sgpr_workgroup_id_x 1
		.amdhsa_system_sgpr_workgroup_id_y 0
		.amdhsa_system_sgpr_workgroup_id_z 0
		.amdhsa_system_sgpr_workgroup_info 0
		.amdhsa_system_vgpr_workitem_id 0
		.amdhsa_next_free_vgpr 46
		.amdhsa_next_free_sgpr 34
		.amdhsa_accum_offset 48
		.amdhsa_reserve_vcc 1
		.amdhsa_reserve_flat_scratch 0
		.amdhsa_float_round_mode_32 0
		.amdhsa_float_round_mode_16_64 0
		.amdhsa_float_denorm_mode_32 3
		.amdhsa_float_denorm_mode_16_64 3
		.amdhsa_dx10_clamp 1
		.amdhsa_ieee_mode 1
		.amdhsa_fp16_overflow 0
		.amdhsa_tg_split 0
		.amdhsa_exception_fp_ieee_invalid_op 0
		.amdhsa_exception_fp_denorm_src 0
		.amdhsa_exception_fp_ieee_div_zero 0
		.amdhsa_exception_fp_ieee_overflow 0
		.amdhsa_exception_fp_ieee_underflow 0
		.amdhsa_exception_fp_ieee_inexact 0
		.amdhsa_exception_int_div_zero 0
	.end_amdhsa_kernel
	.section	.text._ZN2at6native12_GLOBAL__N_125multi_tensor_apply_kernelINS1_18TensorListMetadataILi4EEENS1_32PointwiseOpScalar0dTensorFunctorIiLi4ELi2ELi3EEEJSt7dividesIiEiEEEvT_T0_DpT1_,"axG",@progbits,_ZN2at6native12_GLOBAL__N_125multi_tensor_apply_kernelINS1_18TensorListMetadataILi4EEENS1_32PointwiseOpScalar0dTensorFunctorIiLi4ELi2ELi3EEEJSt7dividesIiEiEEEvT_T0_DpT1_,comdat
.Lfunc_end57:
	.size	_ZN2at6native12_GLOBAL__N_125multi_tensor_apply_kernelINS1_18TensorListMetadataILi4EEENS1_32PointwiseOpScalar0dTensorFunctorIiLi4ELi2ELi3EEEJSt7dividesIiEiEEEvT_T0_DpT1_, .Lfunc_end57-_ZN2at6native12_GLOBAL__N_125multi_tensor_apply_kernelINS1_18TensorListMetadataILi4EEENS1_32PointwiseOpScalar0dTensorFunctorIiLi4ELi2ELi3EEEJSt7dividesIiEiEEEvT_T0_DpT1_
                                        ; -- End function
	.section	.AMDGPU.csdata,"",@progbits
; Kernel info:
; codeLenInByte = 2580
; NumSgprs: 38
; NumVgprs: 46
; NumAgprs: 0
; TotalNumVgprs: 46
; ScratchSize: 0
; MemoryBound: 0
; FloatMode: 240
; IeeeMode: 1
; LDSByteSize: 0 bytes/workgroup (compile time only)
; SGPRBlocks: 4
; VGPRBlocks: 5
; NumSGPRsForWavesPerEU: 38
; NumVGPRsForWavesPerEU: 46
; AccumOffset: 48
; Occupancy: 8
; WaveLimiterHint : 0
; COMPUTE_PGM_RSRC2:SCRATCH_EN: 0
; COMPUTE_PGM_RSRC2:USER_SGPR: 6
; COMPUTE_PGM_RSRC2:TRAP_HANDLER: 0
; COMPUTE_PGM_RSRC2:TGID_X_EN: 1
; COMPUTE_PGM_RSRC2:TGID_Y_EN: 0
; COMPUTE_PGM_RSRC2:TGID_Z_EN: 0
; COMPUTE_PGM_RSRC2:TIDIG_COMP_CNT: 0
; COMPUTE_PGM_RSRC3_GFX90A:ACCUM_OFFSET: 11
; COMPUTE_PGM_RSRC3_GFX90A:TG_SPLIT: 0
	.section	.text._ZN2at6native12_GLOBAL__N_125multi_tensor_apply_kernelINS1_18TensorListMetadataILi4EEENS1_32PointwiseOpScalar0dTensorFunctorIlLi4ELi2ELi3EEEJSt7dividesIlElEEEvT_T0_DpT1_,"axG",@progbits,_ZN2at6native12_GLOBAL__N_125multi_tensor_apply_kernelINS1_18TensorListMetadataILi4EEENS1_32PointwiseOpScalar0dTensorFunctorIlLi4ELi2ELi3EEEJSt7dividesIlElEEEvT_T0_DpT1_,comdat
	.globl	_ZN2at6native12_GLOBAL__N_125multi_tensor_apply_kernelINS1_18TensorListMetadataILi4EEENS1_32PointwiseOpScalar0dTensorFunctorIlLi4ELi2ELi3EEEJSt7dividesIlElEEEvT_T0_DpT1_ ; -- Begin function _ZN2at6native12_GLOBAL__N_125multi_tensor_apply_kernelINS1_18TensorListMetadataILi4EEENS1_32PointwiseOpScalar0dTensorFunctorIlLi4ELi2ELi3EEEJSt7dividesIlElEEEvT_T0_DpT1_
	.p2align	8
	.type	_ZN2at6native12_GLOBAL__N_125multi_tensor_apply_kernelINS1_18TensorListMetadataILi4EEENS1_32PointwiseOpScalar0dTensorFunctorIlLi4ELi2ELi3EEEJSt7dividesIlElEEEvT_T0_DpT1_,@function
_ZN2at6native12_GLOBAL__N_125multi_tensor_apply_kernelINS1_18TensorListMetadataILi4EEENS1_32PointwiseOpScalar0dTensorFunctorIlLi4ELi2ELi3EEEJSt7dividesIlElEEEvT_T0_DpT1_: ; @_ZN2at6native12_GLOBAL__N_125multi_tensor_apply_kernelINS1_18TensorListMetadataILi4EEENS1_32PointwiseOpScalar0dTensorFunctorIlLi4ELi2ELi3EEEJSt7dividesIlElEEEvT_T0_DpT1_
; %bb.0:
	v_mov_b32_e32 v1, s6
	global_load_ubyte v1, v1, s[4:5] offset:1440
	s_add_u32 s0, s4, s6
	s_mul_hi_u32 s1, s6, 3
	s_mul_i32 s6, s6, 3
	s_addc_u32 s2, s5, 0
	s_add_u32 s0, s0, s6
	s_addc_u32 s1, s2, s1
	s_load_dword s0, s[0:1], 0x6e0
	s_mov_b32 s13, 0
	s_mov_b32 s11, s13
	;; [unrolled: 1-line block ×3, first 2 shown]
	s_waitcnt lgkmcnt(0)
	s_ashr_i32 s1, s0, 31
	s_lshl_b64 s[2:3], s[0:1], 19
	s_waitcnt vmcnt(0)
	v_readfirstlane_b32 s6, v1
	s_lshl_b32 s8, s6, 3
	s_load_dwordx2 s[18:19], s[4:5], s8 offset:0x0
	s_load_dwordx2 s[22:23], s[4:5], s8 offset:0x120
	s_load_dwordx2 s[6:7], s[4:5], 0xbf0
	s_load_dwordx2 s[24:25], s[4:5], s8 offset:0x480
	s_load_dwordx2 s[20:21], s[4:5], s8 offset:0x240
	;; [unrolled: 1-line block ×3, first 2 shown]
	s_waitcnt lgkmcnt(0)
	s_add_u32 s30, s18, s2
	s_addc_u32 s31, s19, s3
	s_add_u32 s10, s22, s2
	s_and_b32 s12, s30, 31
	s_and_b32 s10, s10, 31
	s_cmp_lg_u64 s[10:11], 0
	s_cselect_b64 s[10:11], -1, 0
	s_add_u32 s33, s20, s2
	s_addc_u32 s34, s21, s3
	s_add_u32 s35, s16, s2
	s_addc_u32 s36, s17, s3
	s_or_b32 s14, s35, s33
	s_and_b32 s14, s14, 31
	s_cmp_lg_u32 s14, 0
	s_load_dwordx2 s[8:9], s[22:23], 0x0
	s_cselect_b64 s[22:23], -1, 0
	s_lshl_b64 s[0:1], s[0:1], 16
	s_or_b64 s[22:23], s[22:23], s[10:11]
	s_sub_u32 s10, s24, s0
	s_subb_u32 s11, s25, s1
	s_and_b32 s14, s24, 3
	s_or_b64 s[0:1], s[12:13], s[14:15]
	s_cmp_lg_u64 s[0:1], 0
	s_cselect_b64 s[0:1], -1, 0
	s_or_b64 s[0:1], s[22:23], s[0:1]
	s_andn2_b64 vcc, exec, s[0:1]
	s_mov_b64 s[0:1], -1
	s_cbranch_vccz .LBB58_21
; %bb.1:
	v_mov_b32_e32 v18, 0
	v_lshlrev_b32_e32 v2, 2, v0
	v_mov_b32_e32 v3, v18
	v_cmp_gt_i64_e32 vcc, s[10:11], v[2:3]
	s_and_saveexec_b64 s[14:15], vcc
	s_cbranch_execz .LBB58_20
; %bb.2:
	s_load_dword s0, s[4:5], 0xc04
	v_mov_b32_e32 v21, v18
	v_lshlrev_b32_e32 v22, 5, v0
	s_mov_b64 s[22:23], 0
	s_waitcnt lgkmcnt(0)
	s_ashr_i32 s24, s9, 31
	s_and_b32 s0, s0, 0xffff
	v_add_lshl_u32 v20, v0, s0, 2
	s_lshl_b32 s12, s0, 2
	s_lshl_b32 s37, s0, 5
	s_mov_b64 s[26:27], 0xffff
	s_branch .LBB58_4
.LBB58_3:                               ;   in Loop: Header=BB58_4 Depth=1
	s_or_b64 exec, exec, s[0:1]
	v_mul_lo_u32 v1, v16, s7
	v_mul_lo_u32 v12, v17, s6
	s_waitcnt vmcnt(1)
	v_mad_u64_u32 v[2:3], s[0:1], v16, s6, v[2:3]
	v_add3_u32 v3, v12, v3, v1
	v_mul_lo_u32 v1, v14, s7
	v_mul_lo_u32 v12, v15, s6
	s_waitcnt vmcnt(0)
	v_mad_u64_u32 v[8:9], s[0:1], v14, s6, v[8:9]
	v_add3_u32 v9, v12, v9, v1
	v_mul_lo_u32 v1, v24, s7
	v_mul_lo_u32 v12, v25, s6
	v_mad_u64_u32 v[6:7], s[0:1], v24, s6, v[6:7]
	v_add3_u32 v7, v12, v7, v1
	v_mul_lo_u32 v1, v10, s7
	v_mul_lo_u32 v11, v11, s6
	v_mad_u64_u32 v[4:5], s[0:1], v10, s6, v[4:5]
	v_add3_u32 v5, v11, v5, v1
	v_mov_b32_e32 v1, s36
	v_add_co_u32_e32 v10, vcc, s35, v22
	v_addc_co_u32_e32 v11, vcc, 0, v1, vcc
	v_cmp_le_i64_e32 vcc, s[10:11], v[20:21]
	v_cmp_lt_u64_e64 s[0:1], s[26:27], v[20:21]
	s_or_b64 s[0:1], vcc, s[0:1]
	s_add_u32 s30, s30, s37
	s_addc_u32 s31, s31, 0
	s_add_u32 s35, s35, s37
	s_addc_u32 s36, s36, 0
	;; [unrolled: 2-line block ×3, first 2 shown]
	v_mov_b32_e32 v1, s13
	s_and_b64 s[0:1], exec, s[0:1]
	v_add_co_u32_e32 v20, vcc, s12, v20
	s_or_b64 s[22:23], s[0:1], s[22:23]
	v_addc_co_u32_e32 v21, vcc, v21, v1, vcc
	global_store_dwordx4 v[10:11], v[6:9], off
	global_store_dwordx4 v[10:11], v[2:5], off offset:16
	s_andn2_b64 exec, exec, s[22:23]
	s_cbranch_execz .LBB58_20
.LBB58_4:                               ; =>This Inner Loop Header: Depth=1
	v_mov_b32_e32 v1, s31
	v_add_co_u32_e32 v24, vcc, s30, v22
	v_addc_co_u32_e32 v25, vcc, 0, v1, vcc
	v_mov_b32_e32 v1, s34
	v_add_co_u32_e32 v26, vcc, s33, v22
	v_addc_co_u32_e32 v27, vcc, 0, v1, vcc
	global_load_dwordx4 v[10:13], v[26:27], off offset:16
	global_load_dwordx4 v[14:17], v[26:27], off
	global_load_dwordx4 v[2:5], v[24:25], off offset:16
	global_load_dwordx4 v[6:9], v[24:25], off
                                        ; implicit-def: $vgpr24_vgpr25
	s_waitcnt vmcnt(2)
	v_or_b32_e32 v19, s9, v15
	v_cmp_ne_u64_e32 vcc, 0, v[18:19]
	s_and_saveexec_b64 s[0:1], vcc
	s_xor_b64 s[28:29], exec, s[0:1]
	s_cbranch_execz .LBB58_6
; %bb.5:                                ;   in Loop: Header=BB58_4 Depth=1
	v_ashrrev_i32_e32 v1, 31, v15
	v_add_co_u32_e32 v19, vcc, v14, v1
	v_addc_co_u32_e32 v15, vcc, v15, v1, vcc
	v_xor_b32_e32 v15, v15, v1
	v_xor_b32_e32 v19, v19, v1
	v_cvt_f32_u32_e32 v23, v19
	v_cvt_f32_u32_e32 v24, v15
	v_sub_co_u32_e32 v28, vcc, 0, v19
	v_subb_co_u32_e32 v29, vcc, 0, v15, vcc
	v_mac_f32_e32 v23, 0x4f800000, v24
	v_rcp_f32_e32 v23, v23
	s_mov_b32 s25, s24
	v_xor_b32_e32 v1, s24, v1
	v_mul_f32_e32 v23, 0x5f7ffffc, v23
	v_mul_f32_e32 v24, 0x2f800000, v23
	v_trunc_f32_e32 v24, v24
	v_mac_f32_e32 v23, 0xcf800000, v24
	v_cvt_u32_f32_e32 v23, v23
	v_cvt_u32_f32_e32 v30, v24
	v_mul_lo_u32 v26, v29, v23
	v_mad_u64_u32 v[24:25], s[0:1], v28, v23, 0
	v_mul_lo_u32 v27, v28, v30
	v_add3_u32 v25, v25, v27, v26
	v_mad_u64_u32 v[26:27], s[0:1], v23, v25, 0
	v_mul_hi_u32 v31, v23, v24
	v_add_co_u32_e32 v31, vcc, v31, v26
	v_addc_co_u32_e32 v32, vcc, 0, v27, vcc
	v_mad_u64_u32 v[26:27], s[0:1], v30, v25, 0
	v_mad_u64_u32 v[24:25], s[0:1], v30, v24, 0
	v_add_co_u32_e32 v24, vcc, v31, v24
	v_addc_co_u32_e32 v24, vcc, v32, v25, vcc
	v_addc_co_u32_e32 v25, vcc, 0, v27, vcc
	v_add_co_u32_e32 v24, vcc, v24, v26
	v_addc_co_u32_e32 v25, vcc, 0, v25, vcc
	v_add_co_u32_e32 v23, vcc, v23, v24
	v_addc_co_u32_e32 v32, vcc, v30, v25, vcc
	v_mul_lo_u32 v26, v28, v32
	v_mul_lo_u32 v27, v29, v23
	v_mad_u64_u32 v[24:25], s[0:1], v28, v23, 0
	v_add3_u32 v25, v25, v26, v27
	v_mad_u64_u32 v[28:29], s[0:1], v32, v24, 0
	v_mad_u64_u32 v[30:31], s[0:1], v23, v25, 0
	v_mul_hi_u32 v24, v23, v24
	v_add_co_u32_e32 v24, vcc, v24, v30
	v_mad_u64_u32 v[26:27], s[0:1], v32, v25, 0
	v_addc_co_u32_e32 v25, vcc, 0, v31, vcc
	v_add_co_u32_e32 v24, vcc, v24, v28
	v_addc_co_u32_e32 v24, vcc, v25, v29, vcc
	v_addc_co_u32_e32 v25, vcc, 0, v27, vcc
	v_add_co_u32_e32 v24, vcc, v24, v26
	v_addc_co_u32_e32 v25, vcc, 0, v25, vcc
	s_add_u32 s0, s8, s24
	v_add_co_u32_e32 v23, vcc, v23, v24
	s_addc_u32 s1, s9, s24
	v_addc_co_u32_e32 v26, vcc, v32, v25, vcc
	s_xor_b64 s[38:39], s[0:1], s[24:25]
	v_mad_u64_u32 v[24:25], s[0:1], s38, v26, 0
	v_mul_hi_u32 v27, s38, v23
	v_add_co_u32_e32 v28, vcc, v27, v24
	v_addc_co_u32_e32 v29, vcc, 0, v25, vcc
	v_mad_u64_u32 v[24:25], s[0:1], s39, v26, 0
	v_mad_u64_u32 v[26:27], s[0:1], s39, v23, 0
	v_add_co_u32_e32 v23, vcc, v28, v26
	v_addc_co_u32_e32 v23, vcc, v29, v27, vcc
	v_addc_co_u32_e32 v25, vcc, 0, v25, vcc
	v_add_co_u32_e32 v23, vcc, v23, v24
	v_addc_co_u32_e32 v26, vcc, 0, v25, vcc
	v_mul_lo_u32 v27, v15, v23
	v_mul_lo_u32 v28, v19, v26
	v_mad_u64_u32 v[24:25], s[0:1], v19, v23, 0
	v_add3_u32 v25, v25, v28, v27
	v_sub_u32_e32 v27, s39, v25
	v_sub_co_u32_e32 v24, vcc, s38, v24
	v_subb_co_u32_e64 v27, s[0:1], v27, v15, vcc
	v_sub_co_u32_e64 v28, s[0:1], v24, v19
	v_subbrev_co_u32_e64 v27, s[0:1], 0, v27, s[0:1]
	v_cmp_ge_u32_e64 s[0:1], v27, v15
	v_cndmask_b32_e64 v29, 0, -1, s[0:1]
	v_cmp_ge_u32_e64 s[0:1], v28, v19
	v_cndmask_b32_e64 v28, 0, -1, s[0:1]
	v_cmp_eq_u32_e64 s[0:1], v27, v15
	v_cndmask_b32_e64 v27, v29, v28, s[0:1]
	v_add_co_u32_e64 v28, s[0:1], 2, v23
	v_addc_co_u32_e64 v29, s[0:1], 0, v26, s[0:1]
	v_add_co_u32_e64 v30, s[0:1], 1, v23
	v_addc_co_u32_e64 v31, s[0:1], 0, v26, s[0:1]
	v_cmp_ne_u32_e64 s[0:1], 0, v27
	v_cndmask_b32_e64 v27, v31, v29, s[0:1]
	v_mov_b32_e32 v29, s39
	v_subb_co_u32_e32 v25, vcc, v29, v25, vcc
	v_cmp_ge_u32_e32 vcc, v25, v15
	v_cndmask_b32_e64 v29, 0, -1, vcc
	v_cmp_ge_u32_e32 vcc, v24, v19
	v_cndmask_b32_e64 v19, 0, -1, vcc
	v_cmp_eq_u32_e32 vcc, v25, v15
	v_cndmask_b32_e32 v15, v29, v19, vcc
	v_cmp_ne_u32_e32 vcc, 0, v15
	v_cndmask_b32_e64 v19, v30, v28, s[0:1]
	v_cndmask_b32_e32 v19, v23, v19, vcc
	v_cndmask_b32_e32 v15, v26, v27, vcc
	v_xor_b32_e32 v19, v19, v1
	v_xor_b32_e32 v15, v15, v1
	v_sub_co_u32_e32 v24, vcc, v19, v1
	v_subb_co_u32_e32 v25, vcc, v15, v1, vcc
.LBB58_6:                               ;   in Loop: Header=BB58_4 Depth=1
	s_andn2_saveexec_b64 s[0:1], s[28:29]
	s_cbranch_execz .LBB58_8
; %bb.7:                                ;   in Loop: Header=BB58_4 Depth=1
	v_cvt_f32_u32_e32 v1, v14
	v_sub_u32_e32 v15, 0, v14
	v_mov_b32_e32 v25, v18
	v_rcp_iflag_f32_e32 v1, v1
	v_mul_f32_e32 v1, 0x4f7ffffe, v1
	v_cvt_u32_f32_e32 v1, v1
	v_mul_lo_u32 v15, v15, v1
	v_mul_hi_u32 v15, v1, v15
	v_add_u32_e32 v1, v1, v15
	v_mul_hi_u32 v1, s8, v1
	v_mul_lo_u32 v15, v1, v14
	v_sub_u32_e32 v15, s8, v15
	v_add_u32_e32 v19, 1, v1
	v_sub_u32_e32 v23, v15, v14
	v_cmp_ge_u32_e32 vcc, v15, v14
	v_cndmask_b32_e32 v15, v15, v23, vcc
	v_cndmask_b32_e32 v1, v1, v19, vcc
	v_add_u32_e32 v19, 1, v1
	v_cmp_ge_u32_e32 vcc, v15, v14
	v_cndmask_b32_e32 v24, v1, v19, vcc
.LBB58_8:                               ;   in Loop: Header=BB58_4 Depth=1
	s_or_b64 exec, exec, s[0:1]
	v_or_b32_e32 v19, s9, v17
	v_cmp_ne_u64_e32 vcc, 0, v[18:19]
                                        ; implicit-def: $vgpr14_vgpr15
	s_and_saveexec_b64 s[0:1], vcc
	s_xor_b64 s[28:29], exec, s[0:1]
	s_cbranch_execz .LBB58_10
; %bb.9:                                ;   in Loop: Header=BB58_4 Depth=1
	v_ashrrev_i32_e32 v1, 31, v17
	v_add_co_u32_e32 v14, vcc, v16, v1
	v_addc_co_u32_e32 v15, vcc, v17, v1, vcc
	v_xor_b32_e32 v19, v15, v1
	v_xor_b32_e32 v23, v14, v1
	v_cvt_f32_u32_e32 v14, v23
	v_cvt_f32_u32_e32 v15, v19
	v_sub_co_u32_e32 v27, vcc, 0, v23
	v_subb_co_u32_e32 v28, vcc, 0, v19, vcc
	v_mac_f32_e32 v14, 0x4f800000, v15
	v_rcp_f32_e32 v14, v14
	s_mov_b32 s25, s24
	v_xor_b32_e32 v1, s24, v1
	v_mul_f32_e32 v14, 0x5f7ffffc, v14
	v_mul_f32_e32 v15, 0x2f800000, v14
	v_trunc_f32_e32 v15, v15
	v_mac_f32_e32 v14, 0xcf800000, v15
	v_cvt_u32_f32_e32 v26, v14
	v_cvt_u32_f32_e32 v29, v15
	v_mul_lo_u32 v16, v28, v26
	v_mad_u64_u32 v[14:15], s[0:1], v27, v26, 0
	v_mul_lo_u32 v17, v27, v29
	v_add3_u32 v15, v15, v17, v16
	v_mad_u64_u32 v[16:17], s[0:1], v26, v15, 0
	v_mul_hi_u32 v30, v26, v14
	v_add_co_u32_e32 v30, vcc, v30, v16
	v_addc_co_u32_e32 v31, vcc, 0, v17, vcc
	v_mad_u64_u32 v[16:17], s[0:1], v29, v15, 0
	v_mad_u64_u32 v[14:15], s[0:1], v29, v14, 0
	v_add_co_u32_e32 v14, vcc, v30, v14
	v_addc_co_u32_e32 v14, vcc, v31, v15, vcc
	v_addc_co_u32_e32 v15, vcc, 0, v17, vcc
	v_add_co_u32_e32 v14, vcc, v14, v16
	v_addc_co_u32_e32 v15, vcc, 0, v15, vcc
	v_add_co_u32_e32 v30, vcc, v26, v14
	v_addc_co_u32_e32 v31, vcc, v29, v15, vcc
	v_mul_lo_u32 v16, v27, v31
	v_mul_lo_u32 v17, v28, v30
	v_mad_u64_u32 v[14:15], s[0:1], v27, v30, 0
	v_add3_u32 v15, v15, v16, v17
	v_mad_u64_u32 v[26:27], s[0:1], v31, v14, 0
	v_mad_u64_u32 v[28:29], s[0:1], v30, v15, 0
	v_mul_hi_u32 v14, v30, v14
	v_add_co_u32_e32 v14, vcc, v14, v28
	v_mad_u64_u32 v[16:17], s[0:1], v31, v15, 0
	v_addc_co_u32_e32 v15, vcc, 0, v29, vcc
	v_add_co_u32_e32 v14, vcc, v14, v26
	v_addc_co_u32_e32 v14, vcc, v15, v27, vcc
	v_addc_co_u32_e32 v15, vcc, 0, v17, vcc
	v_add_co_u32_e32 v14, vcc, v14, v16
	v_addc_co_u32_e32 v15, vcc, 0, v15, vcc
	s_add_u32 s0, s8, s24
	v_add_co_u32_e32 v16, vcc, v30, v14
	s_addc_u32 s1, s9, s24
	v_addc_co_u32_e32 v17, vcc, v31, v15, vcc
	s_xor_b64 s[38:39], s[0:1], s[24:25]
	v_mad_u64_u32 v[14:15], s[0:1], s38, v17, 0
	v_mul_hi_u32 v26, s38, v16
	v_add_co_u32_e32 v26, vcc, v26, v14
	v_addc_co_u32_e32 v27, vcc, 0, v15, vcc
	v_mad_u64_u32 v[14:15], s[0:1], s39, v17, 0
	v_mad_u64_u32 v[16:17], s[0:1], s39, v16, 0
	v_add_co_u32_e32 v16, vcc, v26, v16
	v_addc_co_u32_e32 v16, vcc, v27, v17, vcc
	v_addc_co_u32_e32 v15, vcc, 0, v15, vcc
	v_add_co_u32_e32 v16, vcc, v16, v14
	v_addc_co_u32_e32 v17, vcc, 0, v15, vcc
	v_mul_lo_u32 v26, v19, v16
	v_mul_lo_u32 v27, v23, v17
	v_mad_u64_u32 v[14:15], s[0:1], v23, v16, 0
	v_add3_u32 v15, v15, v27, v26
	v_sub_u32_e32 v26, s39, v15
	v_sub_co_u32_e32 v14, vcc, s38, v14
	v_subb_co_u32_e64 v26, s[0:1], v26, v19, vcc
	v_sub_co_u32_e64 v27, s[0:1], v14, v23
	v_subbrev_co_u32_e64 v26, s[0:1], 0, v26, s[0:1]
	v_cmp_ge_u32_e64 s[0:1], v26, v19
	v_cndmask_b32_e64 v28, 0, -1, s[0:1]
	v_cmp_ge_u32_e64 s[0:1], v27, v23
	v_cndmask_b32_e64 v27, 0, -1, s[0:1]
	v_cmp_eq_u32_e64 s[0:1], v26, v19
	v_cndmask_b32_e64 v26, v28, v27, s[0:1]
	v_add_co_u32_e64 v27, s[0:1], 2, v16
	v_addc_co_u32_e64 v28, s[0:1], 0, v17, s[0:1]
	v_add_co_u32_e64 v29, s[0:1], 1, v16
	v_addc_co_u32_e64 v30, s[0:1], 0, v17, s[0:1]
	v_cmp_ne_u32_e64 s[0:1], 0, v26
	v_cndmask_b32_e64 v26, v30, v28, s[0:1]
	v_mov_b32_e32 v28, s39
	v_subb_co_u32_e32 v15, vcc, v28, v15, vcc
	v_cmp_ge_u32_e32 vcc, v15, v19
	v_cndmask_b32_e64 v28, 0, -1, vcc
	v_cmp_ge_u32_e32 vcc, v14, v23
	v_cndmask_b32_e64 v14, 0, -1, vcc
	v_cmp_eq_u32_e32 vcc, v15, v19
	v_cndmask_b32_e32 v14, v28, v14, vcc
	v_cmp_ne_u32_e32 vcc, 0, v14
	v_cndmask_b32_e64 v15, v29, v27, s[0:1]
	v_cndmask_b32_e32 v14, v17, v26, vcc
	v_cndmask_b32_e32 v15, v16, v15, vcc
	v_xor_b32_e32 v16, v14, v1
	v_xor_b32_e32 v14, v15, v1
	v_sub_co_u32_e32 v14, vcc, v14, v1
	v_subb_co_u32_e32 v15, vcc, v16, v1, vcc
                                        ; implicit-def: $vgpr16_vgpr17
.LBB58_10:                              ;   in Loop: Header=BB58_4 Depth=1
	s_andn2_saveexec_b64 s[0:1], s[28:29]
	s_cbranch_execz .LBB58_12
; %bb.11:                               ;   in Loop: Header=BB58_4 Depth=1
	v_cvt_f32_u32_e32 v1, v16
	v_sub_u32_e32 v14, 0, v16
	v_rcp_iflag_f32_e32 v1, v1
	v_mul_f32_e32 v1, 0x4f7ffffe, v1
	v_cvt_u32_f32_e32 v1, v1
	v_mul_lo_u32 v14, v14, v1
	v_mul_hi_u32 v14, v1, v14
	v_add_u32_e32 v1, v1, v14
	v_mul_hi_u32 v1, s8, v1
	v_mul_lo_u32 v14, v1, v16
	v_sub_u32_e32 v14, s8, v14
	v_add_u32_e32 v15, 1, v1
	v_sub_u32_e32 v17, v14, v16
	v_cmp_ge_u32_e32 vcc, v14, v16
	v_cndmask_b32_e32 v14, v14, v17, vcc
	v_cndmask_b32_e32 v1, v1, v15, vcc
	v_add_u32_e32 v15, 1, v1
	v_cmp_ge_u32_e32 vcc, v14, v16
	v_cndmask_b32_e32 v14, v1, v15, vcc
	v_mov_b32_e32 v15, v18
.LBB58_12:                              ;   in Loop: Header=BB58_4 Depth=1
	s_or_b64 exec, exec, s[0:1]
	v_or_b32_e32 v19, s9, v11
	v_cmp_ne_u64_e32 vcc, 0, v[18:19]
                                        ; implicit-def: $vgpr16_vgpr17
	s_and_saveexec_b64 s[0:1], vcc
	s_xor_b64 s[28:29], exec, s[0:1]
	s_cbranch_execz .LBB58_14
; %bb.13:                               ;   in Loop: Header=BB58_4 Depth=1
	v_ashrrev_i32_e32 v1, 31, v11
	v_add_co_u32_e32 v16, vcc, v10, v1
	v_addc_co_u32_e32 v11, vcc, v11, v1, vcc
	v_xor_b32_e32 v11, v11, v1
	v_xor_b32_e32 v19, v16, v1
	v_cvt_f32_u32_e32 v16, v19
	v_cvt_f32_u32_e32 v17, v11
	v_sub_co_u32_e32 v28, vcc, 0, v19
	v_subb_co_u32_e32 v29, vcc, 0, v11, vcc
	v_mac_f32_e32 v16, 0x4f800000, v17
	v_rcp_f32_e32 v16, v16
	s_mov_b32 s25, s24
	v_xor_b32_e32 v1, s24, v1
	v_mul_f32_e32 v16, 0x5f7ffffc, v16
	v_mul_f32_e32 v17, 0x2f800000, v16
	v_trunc_f32_e32 v17, v17
	v_mac_f32_e32 v16, 0xcf800000, v17
	v_cvt_u32_f32_e32 v23, v16
	v_cvt_u32_f32_e32 v30, v17
	v_mul_lo_u32 v26, v29, v23
	v_mad_u64_u32 v[16:17], s[0:1], v28, v23, 0
	v_mul_lo_u32 v27, v28, v30
	v_add3_u32 v17, v17, v27, v26
	v_mad_u64_u32 v[26:27], s[0:1], v23, v17, 0
	v_mul_hi_u32 v31, v23, v16
	v_add_co_u32_e32 v31, vcc, v31, v26
	v_addc_co_u32_e32 v32, vcc, 0, v27, vcc
	v_mad_u64_u32 v[26:27], s[0:1], v30, v17, 0
	v_mad_u64_u32 v[16:17], s[0:1], v30, v16, 0
	v_add_co_u32_e32 v16, vcc, v31, v16
	v_addc_co_u32_e32 v16, vcc, v32, v17, vcc
	v_addc_co_u32_e32 v17, vcc, 0, v27, vcc
	v_add_co_u32_e32 v16, vcc, v16, v26
	v_addc_co_u32_e32 v17, vcc, 0, v17, vcc
	v_add_co_u32_e32 v23, vcc, v23, v16
	v_addc_co_u32_e32 v32, vcc, v30, v17, vcc
	v_mul_lo_u32 v26, v28, v32
	v_mul_lo_u32 v27, v29, v23
	v_mad_u64_u32 v[16:17], s[0:1], v28, v23, 0
	v_add3_u32 v17, v17, v26, v27
	v_mad_u64_u32 v[28:29], s[0:1], v32, v16, 0
	v_mad_u64_u32 v[30:31], s[0:1], v23, v17, 0
	v_mul_hi_u32 v16, v23, v16
	v_add_co_u32_e32 v16, vcc, v16, v30
	v_mad_u64_u32 v[26:27], s[0:1], v32, v17, 0
	v_addc_co_u32_e32 v17, vcc, 0, v31, vcc
	v_add_co_u32_e32 v16, vcc, v16, v28
	v_addc_co_u32_e32 v16, vcc, v17, v29, vcc
	v_addc_co_u32_e32 v17, vcc, 0, v27, vcc
	v_add_co_u32_e32 v16, vcc, v16, v26
	v_addc_co_u32_e32 v17, vcc, 0, v17, vcc
	s_add_u32 s0, s8, s24
	v_add_co_u32_e32 v23, vcc, v23, v16
	s_addc_u32 s1, s9, s24
	v_addc_co_u32_e32 v26, vcc, v32, v17, vcc
	s_xor_b64 s[38:39], s[0:1], s[24:25]
	v_mad_u64_u32 v[16:17], s[0:1], s38, v26, 0
	v_mul_hi_u32 v27, s38, v23
	v_add_co_u32_e32 v28, vcc, v27, v16
	v_addc_co_u32_e32 v29, vcc, 0, v17, vcc
	v_mad_u64_u32 v[16:17], s[0:1], s39, v26, 0
	v_mad_u64_u32 v[26:27], s[0:1], s39, v23, 0
	v_add_co_u32_e32 v23, vcc, v28, v26
	v_addc_co_u32_e32 v23, vcc, v29, v27, vcc
	v_addc_co_u32_e32 v17, vcc, 0, v17, vcc
	v_add_co_u32_e32 v23, vcc, v23, v16
	v_addc_co_u32_e32 v26, vcc, 0, v17, vcc
	v_mul_lo_u32 v27, v11, v23
	v_mul_lo_u32 v28, v19, v26
	v_mad_u64_u32 v[16:17], s[0:1], v19, v23, 0
	v_add3_u32 v17, v17, v28, v27
	v_sub_u32_e32 v27, s39, v17
	v_sub_co_u32_e32 v16, vcc, s38, v16
	v_subb_co_u32_e64 v27, s[0:1], v27, v11, vcc
	v_sub_co_u32_e64 v28, s[0:1], v16, v19
	v_subbrev_co_u32_e64 v27, s[0:1], 0, v27, s[0:1]
	v_cmp_ge_u32_e64 s[0:1], v27, v11
	v_cndmask_b32_e64 v29, 0, -1, s[0:1]
	v_cmp_ge_u32_e64 s[0:1], v28, v19
	v_cndmask_b32_e64 v28, 0, -1, s[0:1]
	v_cmp_eq_u32_e64 s[0:1], v27, v11
	v_cndmask_b32_e64 v27, v29, v28, s[0:1]
	v_add_co_u32_e64 v28, s[0:1], 2, v23
	v_addc_co_u32_e64 v29, s[0:1], 0, v26, s[0:1]
	v_add_co_u32_e64 v30, s[0:1], 1, v23
	v_addc_co_u32_e64 v31, s[0:1], 0, v26, s[0:1]
	v_cmp_ne_u32_e64 s[0:1], 0, v27
	v_cndmask_b32_e64 v27, v31, v29, s[0:1]
	v_mov_b32_e32 v29, s39
	v_subb_co_u32_e32 v17, vcc, v29, v17, vcc
	v_cmp_ge_u32_e32 vcc, v17, v11
	v_cndmask_b32_e64 v29, 0, -1, vcc
	v_cmp_ge_u32_e32 vcc, v16, v19
	v_cndmask_b32_e64 v16, 0, -1, vcc
	v_cmp_eq_u32_e32 vcc, v17, v11
	v_cndmask_b32_e32 v11, v29, v16, vcc
	v_cmp_ne_u32_e32 vcc, 0, v11
	v_cndmask_b32_e64 v16, v30, v28, s[0:1]
	v_cndmask_b32_e32 v16, v23, v16, vcc
	v_cndmask_b32_e32 v11, v26, v27, vcc
	v_xor_b32_e32 v16, v16, v1
	v_xor_b32_e32 v11, v11, v1
	v_sub_co_u32_e32 v16, vcc, v16, v1
	v_subb_co_u32_e32 v17, vcc, v11, v1, vcc
.LBB58_14:                              ;   in Loop: Header=BB58_4 Depth=1
	s_andn2_saveexec_b64 s[0:1], s[28:29]
	s_cbranch_execz .LBB58_16
; %bb.15:                               ;   in Loop: Header=BB58_4 Depth=1
	v_cvt_f32_u32_e32 v1, v10
	v_sub_u32_e32 v11, 0, v10
	v_rcp_iflag_f32_e32 v1, v1
	v_mul_f32_e32 v1, 0x4f7ffffe, v1
	v_cvt_u32_f32_e32 v1, v1
	v_mul_lo_u32 v11, v11, v1
	v_mul_hi_u32 v11, v1, v11
	v_add_u32_e32 v1, v1, v11
	v_mul_hi_u32 v1, s8, v1
	v_mul_lo_u32 v11, v1, v10
	v_sub_u32_e32 v11, s8, v11
	v_add_u32_e32 v16, 1, v1
	v_sub_u32_e32 v17, v11, v10
	v_cmp_ge_u32_e32 vcc, v11, v10
	v_cndmask_b32_e32 v11, v11, v17, vcc
	v_cndmask_b32_e32 v1, v1, v16, vcc
	v_add_u32_e32 v16, 1, v1
	v_cmp_ge_u32_e32 vcc, v11, v10
	v_cndmask_b32_e32 v16, v1, v16, vcc
	v_mov_b32_e32 v17, v18
.LBB58_16:                              ;   in Loop: Header=BB58_4 Depth=1
	s_or_b64 exec, exec, s[0:1]
	v_or_b32_e32 v19, s9, v13
	v_cmp_ne_u64_e32 vcc, 0, v[18:19]
                                        ; implicit-def: $vgpr10_vgpr11
	s_and_saveexec_b64 s[0:1], vcc
	s_xor_b64 s[28:29], exec, s[0:1]
	s_cbranch_execz .LBB58_18
; %bb.17:                               ;   in Loop: Header=BB58_4 Depth=1
	v_ashrrev_i32_e32 v1, 31, v13
	v_add_co_u32_e32 v10, vcc, v12, v1
	v_addc_co_u32_e32 v11, vcc, v13, v1, vcc
	v_xor_b32_e32 v19, v11, v1
	v_xor_b32_e32 v23, v10, v1
	v_cvt_f32_u32_e32 v10, v23
	v_cvt_f32_u32_e32 v11, v19
	v_sub_co_u32_e32 v27, vcc, 0, v23
	v_subb_co_u32_e32 v28, vcc, 0, v19, vcc
	v_mac_f32_e32 v10, 0x4f800000, v11
	v_rcp_f32_e32 v10, v10
	s_mov_b32 s25, s24
	v_xor_b32_e32 v1, s24, v1
	v_mul_f32_e32 v10, 0x5f7ffffc, v10
	v_mul_f32_e32 v11, 0x2f800000, v10
	v_trunc_f32_e32 v11, v11
	v_mac_f32_e32 v10, 0xcf800000, v11
	v_cvt_u32_f32_e32 v26, v10
	v_cvt_u32_f32_e32 v29, v11
	v_mul_lo_u32 v12, v28, v26
	v_mad_u64_u32 v[10:11], s[0:1], v27, v26, 0
	v_mul_lo_u32 v13, v27, v29
	v_add3_u32 v11, v11, v13, v12
	v_mad_u64_u32 v[12:13], s[0:1], v26, v11, 0
	v_mul_hi_u32 v30, v26, v10
	v_add_co_u32_e32 v30, vcc, v30, v12
	v_addc_co_u32_e32 v31, vcc, 0, v13, vcc
	v_mad_u64_u32 v[12:13], s[0:1], v29, v11, 0
	v_mad_u64_u32 v[10:11], s[0:1], v29, v10, 0
	v_add_co_u32_e32 v10, vcc, v30, v10
	v_addc_co_u32_e32 v10, vcc, v31, v11, vcc
	v_addc_co_u32_e32 v11, vcc, 0, v13, vcc
	v_add_co_u32_e32 v10, vcc, v10, v12
	v_addc_co_u32_e32 v11, vcc, 0, v11, vcc
	v_add_co_u32_e32 v30, vcc, v26, v10
	v_addc_co_u32_e32 v31, vcc, v29, v11, vcc
	v_mul_lo_u32 v12, v27, v31
	v_mul_lo_u32 v13, v28, v30
	v_mad_u64_u32 v[10:11], s[0:1], v27, v30, 0
	v_add3_u32 v11, v11, v12, v13
	v_mad_u64_u32 v[26:27], s[0:1], v31, v10, 0
	v_mad_u64_u32 v[28:29], s[0:1], v30, v11, 0
	v_mul_hi_u32 v10, v30, v10
	v_add_co_u32_e32 v10, vcc, v10, v28
	v_mad_u64_u32 v[12:13], s[0:1], v31, v11, 0
	v_addc_co_u32_e32 v11, vcc, 0, v29, vcc
	v_add_co_u32_e32 v10, vcc, v10, v26
	v_addc_co_u32_e32 v10, vcc, v11, v27, vcc
	v_addc_co_u32_e32 v11, vcc, 0, v13, vcc
	v_add_co_u32_e32 v10, vcc, v10, v12
	v_addc_co_u32_e32 v11, vcc, 0, v11, vcc
	s_add_u32 s0, s8, s24
	v_add_co_u32_e32 v12, vcc, v30, v10
	s_addc_u32 s1, s9, s24
	v_addc_co_u32_e32 v13, vcc, v31, v11, vcc
	s_xor_b64 s[38:39], s[0:1], s[24:25]
	v_mad_u64_u32 v[10:11], s[0:1], s38, v13, 0
	v_mul_hi_u32 v26, s38, v12
	v_add_co_u32_e32 v26, vcc, v26, v10
	v_addc_co_u32_e32 v27, vcc, 0, v11, vcc
	v_mad_u64_u32 v[10:11], s[0:1], s39, v13, 0
	v_mad_u64_u32 v[12:13], s[0:1], s39, v12, 0
	v_add_co_u32_e32 v12, vcc, v26, v12
	v_addc_co_u32_e32 v12, vcc, v27, v13, vcc
	v_addc_co_u32_e32 v11, vcc, 0, v11, vcc
	v_add_co_u32_e32 v12, vcc, v12, v10
	v_addc_co_u32_e32 v13, vcc, 0, v11, vcc
	v_mul_lo_u32 v26, v19, v12
	v_mul_lo_u32 v27, v23, v13
	v_mad_u64_u32 v[10:11], s[0:1], v23, v12, 0
	v_add3_u32 v11, v11, v27, v26
	v_sub_u32_e32 v26, s39, v11
	v_sub_co_u32_e32 v10, vcc, s38, v10
	v_subb_co_u32_e64 v26, s[0:1], v26, v19, vcc
	v_sub_co_u32_e64 v27, s[0:1], v10, v23
	v_subbrev_co_u32_e64 v26, s[0:1], 0, v26, s[0:1]
	v_cmp_ge_u32_e64 s[0:1], v26, v19
	v_cndmask_b32_e64 v28, 0, -1, s[0:1]
	v_cmp_ge_u32_e64 s[0:1], v27, v23
	v_cndmask_b32_e64 v27, 0, -1, s[0:1]
	v_cmp_eq_u32_e64 s[0:1], v26, v19
	v_cndmask_b32_e64 v26, v28, v27, s[0:1]
	v_add_co_u32_e64 v27, s[0:1], 2, v12
	v_addc_co_u32_e64 v28, s[0:1], 0, v13, s[0:1]
	v_add_co_u32_e64 v29, s[0:1], 1, v12
	v_addc_co_u32_e64 v30, s[0:1], 0, v13, s[0:1]
	v_cmp_ne_u32_e64 s[0:1], 0, v26
	v_cndmask_b32_e64 v26, v30, v28, s[0:1]
	v_mov_b32_e32 v28, s39
	v_subb_co_u32_e32 v11, vcc, v28, v11, vcc
	v_cmp_ge_u32_e32 vcc, v11, v19
	v_cndmask_b32_e64 v28, 0, -1, vcc
	v_cmp_ge_u32_e32 vcc, v10, v23
	v_cndmask_b32_e64 v10, 0, -1, vcc
	v_cmp_eq_u32_e32 vcc, v11, v19
	v_cndmask_b32_e32 v10, v28, v10, vcc
	v_cmp_ne_u32_e32 vcc, 0, v10
	v_cndmask_b32_e64 v11, v29, v27, s[0:1]
	v_cndmask_b32_e32 v10, v13, v26, vcc
	v_cndmask_b32_e32 v11, v12, v11, vcc
	v_xor_b32_e32 v12, v10, v1
	v_xor_b32_e32 v10, v11, v1
	v_sub_co_u32_e32 v10, vcc, v10, v1
	v_subb_co_u32_e32 v11, vcc, v12, v1, vcc
                                        ; implicit-def: $vgpr12_vgpr13
.LBB58_18:                              ;   in Loop: Header=BB58_4 Depth=1
	s_andn2_saveexec_b64 s[0:1], s[28:29]
	s_cbranch_execz .LBB58_3
; %bb.19:                               ;   in Loop: Header=BB58_4 Depth=1
	v_cvt_f32_u32_e32 v1, v12
	v_sub_u32_e32 v10, 0, v12
	v_rcp_iflag_f32_e32 v1, v1
	v_mul_f32_e32 v1, 0x4f7ffffe, v1
	v_cvt_u32_f32_e32 v1, v1
	v_mul_lo_u32 v10, v10, v1
	v_mul_hi_u32 v10, v1, v10
	v_add_u32_e32 v1, v1, v10
	v_mul_hi_u32 v1, s8, v1
	v_mul_lo_u32 v10, v1, v12
	v_sub_u32_e32 v10, s8, v10
	v_add_u32_e32 v11, 1, v1
	v_sub_u32_e32 v13, v10, v12
	v_cmp_ge_u32_e32 vcc, v10, v12
	v_cndmask_b32_e32 v10, v10, v13, vcc
	v_cndmask_b32_e32 v1, v1, v11, vcc
	v_add_u32_e32 v11, 1, v1
	v_cmp_ge_u32_e32 vcc, v10, v12
	v_cndmask_b32_e32 v10, v1, v11, vcc
	v_mov_b32_e32 v11, v18
	s_branch .LBB58_3
.LBB58_20:
	s_or_b64 exec, exec, s[14:15]
	s_mov_b64 s[0:1], 0
.LBB58_21:
	s_andn2_b64 vcc, exec, s[0:1]
	s_cbranch_vccnz .LBB58_57
; %bb.22:
	v_cmp_lt_i64_e64 s[0:1], s[10:11], 1
	s_and_b64 vcc, exec, s[0:1]
	s_cbranch_vccnz .LBB58_57
; %bb.23:
	s_load_dword s0, s[4:5], 0xc04
	v_mov_b32_e32 v4, 0x10000
	v_mov_b32_e32 v5, 0
	v_cmp_lt_u64_e32 vcc, s[10:11], v[4:5]
	v_lshlrev_b32_e32 v16, 3, v0
	s_waitcnt lgkmcnt(0)
	s_and_b32 s23, s0, 0xffff
	s_and_b64 s[0:1], vcc, exec
	v_mov_b32_e32 v3, s19
	v_add_co_u32_e32 v4, vcc, s18, v16
	v_addc_co_u32_e32 v5, vcc, 0, v3, vcc
	v_mov_b32_e32 v25, s21
	v_add_co_u32_e32 v6, vcc, s20, v16
	v_mov_b32_e32 v2, 0
	v_addc_co_u32_e32 v7, vcc, 0, v25, vcc
	v_mov_b32_e32 v17, v2
	v_mov_b32_e32 v27, s17
	v_add_co_u32_e32 v8, vcc, s16, v16
	v_addc_co_u32_e32 v9, vcc, 0, v27, vcc
	v_mad_u64_u32 v[14:15], s[0:1], s23, 24, v[16:17]
	v_add_co_u32_e32 v10, vcc, s18, v14
	v_addc_co_u32_e32 v11, vcc, v3, v15, vcc
	v_add_co_u32_e32 v12, vcc, s20, v14
	v_addc_co_u32_e32 v13, vcc, v25, v15, vcc
	v_add_co_u32_e32 v14, vcc, s16, v14
	s_cselect_b32 s13, s11, 0
	s_cselect_b32 s12, s10, 0x10000
	v_addc_co_u32_e32 v15, vcc, v27, v15, vcc
	s_lshl_b32 s0, s23, 4
	v_add_co_u32_e32 v20, vcc, s0, v16
	v_addc_co_u32_e64 v21, s[0:1], 0, 0, vcc
	v_add_co_u32_e32 v16, vcc, s18, v20
	v_addc_co_u32_e32 v17, vcc, v3, v21, vcc
	v_add_co_u32_e32 v18, vcc, s20, v20
	v_addc_co_u32_e32 v19, vcc, v25, v21, vcc
	v_add_co_u32_e32 v20, vcc, s16, v20
	v_addc_co_u32_e32 v21, vcc, v27, v21, vcc
	v_add_lshl_u32 v26, v0, s23, 3
	v_add_co_u32_e32 v22, vcc, s18, v26
	v_addc_co_u32_e32 v23, vcc, 0, v3, vcc
	v_add_co_u32_e32 v24, vcc, s20, v26
	s_mov_b32 s22, 0
	v_addc_co_u32_e32 v25, vcc, 0, v25, vcc
	s_lshl_b32 s14, s23, 2
	s_mov_b32 s15, s22
	v_add_co_u32_e32 v26, vcc, s16, v26
	v_mov_b32_e32 v1, v2
	s_mov_b64 s[4:5], 0x10000
	s_lshl_b32 s24, s23, 1
	s_mov_b32 s25, s22
	s_mul_i32 s26, s23, 3
	s_mov_b32 s27, s22
	s_lshl_b32 s28, s23, 5
	s_mov_b32 s29, s22
	v_addc_co_u32_e32 v27, vcc, 0, v27, vcc
	s_mov_b64 s[16:17], s[14:15]
	s_branch .LBB58_25
.LBB58_24:                              ;   in Loop: Header=BB58_25 Depth=1
	s_or_b64 exec, exec, s[0:1]
	v_pk_mov_b32 v[28:29], s[10:11], s[10:11] op_sel:[0,1]
	v_cmp_ge_i64_e32 vcc, s[16:17], v[28:29]
	v_mov_b32_e32 v28, 0xffff
	v_mov_b32_e32 v29, 0
	v_cmp_gt_u64_e64 s[0:1], s[16:17], v[28:29]
	s_or_b64 s[0:1], vcc, s[0:1]
	v_mov_b32_e32 v3, s29
	v_add_co_u32_e32 v4, vcc, s28, v4
	v_addc_co_u32_e32 v5, vcc, v5, v3, vcc
	v_add_co_u32_e32 v6, vcc, s28, v6
	v_addc_co_u32_e32 v7, vcc, v7, v3, vcc
	;; [unrolled: 2-line block ×3, first 2 shown]
	v_mov_b32_e32 v28, s15
	v_add_co_u32_e32 v0, vcc, s14, v0
	v_addc_co_u32_e32 v1, vcc, v1, v28, vcc
	v_add_co_u32_e32 v10, vcc, s28, v10
	v_addc_co_u32_e32 v11, vcc, v11, v3, vcc
	;; [unrolled: 2-line block ×9, first 2 shown]
	v_add_co_u32_e32 v26, vcc, s28, v26
	s_add_u32 s16, s16, s14
	v_addc_co_u32_e32 v27, vcc, v27, v3, vcc
	s_addc_u32 s17, s17, 0
	s_and_b64 vcc, exec, s[0:1]
	s_cbranch_vccnz .LBB58_57
.LBB58_25:                              ; =>This Inner Loop Header: Depth=1
	v_cmp_gt_i64_e32 vcc, s[10:11], v[0:1]
	v_cmp_gt_u64_e64 s[0:1], s[4:5], v[0:1]
	v_pk_mov_b32 v[48:49], 0, 0
	s_and_b64 s[18:19], vcc, s[0:1]
	v_pk_mov_b32 v[42:43], v[48:49], v[48:49] op_sel:[0,1]
	v_pk_mov_b32 v[28:29], v[48:49], v[48:49] op_sel:[0,1]
	s_and_saveexec_b64 s[0:1], s[18:19]
	s_cbranch_execz .LBB58_27
; %bb.26:                               ;   in Loop: Header=BB58_25 Depth=1
	v_mov_b32_e32 v3, s3
	v_add_co_u32_e32 v30, vcc, s2, v4
	v_addc_co_u32_e32 v31, vcc, v5, v3, vcc
	v_add_co_u32_e32 v32, vcc, s2, v6
	v_addc_co_u32_e32 v33, vcc, v7, v3, vcc
	global_load_dwordx2 v[28:29], v[30:31], off
	global_load_dwordx2 v[42:43], v[32:33], off
.LBB58_27:                              ;   in Loop: Header=BB58_25 Depth=1
	s_or_b64 exec, exec, s[0:1]
	v_mov_b32_e32 v3, s22
	v_add_co_u32_e32 v30, vcc, s23, v0
	v_addc_co_u32_e32 v31, vcc, v3, v1, vcc
	v_cmp_gt_i64_e32 vcc, s[10:11], v[30:31]
	v_cmp_gt_u64_e64 s[0:1], s[4:5], v[30:31]
	s_and_b64 s[18:19], vcc, s[0:1]
	v_pk_mov_b32 v[32:33], v[48:49], v[48:49] op_sel:[0,1]
	s_and_saveexec_b64 s[0:1], s[18:19]
	s_cbranch_execz .LBB58_29
; %bb.28:                               ;   in Loop: Header=BB58_25 Depth=1
	v_mov_b32_e32 v3, s3
	v_add_co_u32_e32 v34, vcc, s2, v22
	v_addc_co_u32_e32 v35, vcc, v23, v3, vcc
	v_add_co_u32_e32 v36, vcc, s2, v24
	v_addc_co_u32_e32 v37, vcc, v25, v3, vcc
	global_load_dwordx2 v[32:33], v[34:35], off
	global_load_dwordx2 v[48:49], v[36:37], off
.LBB58_29:                              ;   in Loop: Header=BB58_25 Depth=1
	s_or_b64 exec, exec, s[0:1]
	v_mov_b32_e32 v3, s25
	v_add_co_u32_e32 v34, vcc, s24, v0
	v_addc_co_u32_e32 v35, vcc, v3, v1, vcc
	v_cmp_gt_i64_e32 vcc, s[10:11], v[34:35]
	v_cmp_gt_u64_e64 s[0:1], s[4:5], v[34:35]
	v_pk_mov_b32 v[46:47], 0, 0
	s_and_b64 s[18:19], vcc, s[0:1]
	v_pk_mov_b32 v[50:51], v[46:47], v[46:47] op_sel:[0,1]
	v_pk_mov_b32 v[36:37], v[46:47], v[46:47] op_sel:[0,1]
	s_and_saveexec_b64 s[0:1], s[18:19]
	s_cbranch_execz .LBB58_31
; %bb.30:                               ;   in Loop: Header=BB58_25 Depth=1
	v_mov_b32_e32 v3, s3
	v_add_co_u32_e32 v38, vcc, s2, v16
	v_addc_co_u32_e32 v39, vcc, v17, v3, vcc
	v_add_co_u32_e32 v40, vcc, s2, v18
	v_addc_co_u32_e32 v41, vcc, v19, v3, vcc
	global_load_dwordx2 v[36:37], v[38:39], off
	global_load_dwordx2 v[50:51], v[40:41], off
.LBB58_31:                              ;   in Loop: Header=BB58_25 Depth=1
	s_or_b64 exec, exec, s[0:1]
	v_mov_b32_e32 v3, s27
	v_add_co_u32_e32 v38, vcc, s26, v0
	v_addc_co_u32_e32 v39, vcc, v3, v1, vcc
	v_cmp_gt_i64_e32 vcc, s[10:11], v[38:39]
	v_cmp_gt_u64_e64 s[0:1], s[4:5], v[38:39]
	s_and_b64 s[18:19], vcc, s[0:1]
	v_pk_mov_b32 v[40:41], v[46:47], v[46:47] op_sel:[0,1]
	s_and_saveexec_b64 s[0:1], s[18:19]
	s_cbranch_execz .LBB58_33
; %bb.32:                               ;   in Loop: Header=BB58_25 Depth=1
	v_mov_b32_e32 v3, s3
	v_add_co_u32_e32 v44, vcc, s2, v10
	v_addc_co_u32_e32 v45, vcc, v11, v3, vcc
	v_add_co_u32_e32 v52, vcc, s2, v12
	v_addc_co_u32_e32 v53, vcc, v13, v3, vcc
	global_load_dwordx2 v[40:41], v[44:45], off
	global_load_dwordx2 v[46:47], v[52:53], off
.LBB58_33:                              ;   in Loop: Header=BB58_25 Depth=1
	s_or_b64 exec, exec, s[0:1]
	s_waitcnt vmcnt(0)
	v_or_b32_e32 v3, s9, v49
	v_cmp_ne_u64_e32 vcc, 0, v[2:3]
                                        ; implicit-def: $vgpr44_vgpr45
	s_and_saveexec_b64 s[0:1], vcc
	s_xor_b64 s[18:19], exec, s[0:1]
	s_cbranch_execz .LBB58_35
; %bb.34:                               ;   in Loop: Header=BB58_25 Depth=1
	v_ashrrev_i32_e32 v3, 31, v49
	v_add_co_u32_e32 v44, vcc, v48, v3
	v_addc_co_u32_e32 v45, vcc, v49, v3, vcc
	v_xor_b32_e32 v56, v45, v3
	v_xor_b32_e32 v57, v44, v3
	v_cvt_f32_u32_e32 v44, v57
	v_cvt_f32_u32_e32 v45, v56
	v_sub_co_u32_e32 v53, vcc, 0, v57
	v_subb_co_u32_e32 v54, vcc, 0, v56, vcc
	v_mac_f32_e32 v44, 0x4f800000, v45
	v_rcp_f32_e32 v44, v44
	s_ashr_i32 s20, s9, 31
	s_mov_b32 s21, s20
	v_xor_b32_e32 v3, s20, v3
	v_mul_f32_e32 v44, 0x5f7ffffc, v44
	v_mul_f32_e32 v45, 0x2f800000, v44
	v_trunc_f32_e32 v45, v45
	v_mac_f32_e32 v44, 0xcf800000, v45
	v_cvt_u32_f32_e32 v52, v44
	v_cvt_u32_f32_e32 v55, v45
	v_mul_lo_u32 v48, v54, v52
	v_mad_u64_u32 v[44:45], s[0:1], v53, v52, 0
	v_mul_lo_u32 v49, v53, v55
	v_add3_u32 v45, v45, v49, v48
	v_mad_u64_u32 v[48:49], s[0:1], v52, v45, 0
	v_mul_hi_u32 v58, v52, v44
	v_add_co_u32_e32 v58, vcc, v58, v48
	v_addc_co_u32_e32 v59, vcc, 0, v49, vcc
	v_mad_u64_u32 v[48:49], s[0:1], v55, v45, 0
	v_mad_u64_u32 v[44:45], s[0:1], v55, v44, 0
	v_add_co_u32_e32 v44, vcc, v58, v44
	v_addc_co_u32_e32 v44, vcc, v59, v45, vcc
	v_addc_co_u32_e32 v45, vcc, 0, v49, vcc
	v_add_co_u32_e32 v44, vcc, v44, v48
	v_addc_co_u32_e32 v45, vcc, 0, v45, vcc
	v_add_co_u32_e32 v58, vcc, v52, v44
	v_addc_co_u32_e32 v59, vcc, v55, v45, vcc
	v_mul_lo_u32 v48, v53, v59
	v_mul_lo_u32 v49, v54, v58
	v_mad_u64_u32 v[44:45], s[0:1], v53, v58, 0
	v_add3_u32 v45, v45, v48, v49
	v_mad_u64_u32 v[52:53], s[0:1], v59, v44, 0
	v_mad_u64_u32 v[54:55], s[0:1], v58, v45, 0
	v_mul_hi_u32 v44, v58, v44
	v_add_co_u32_e32 v44, vcc, v44, v54
	v_mad_u64_u32 v[48:49], s[0:1], v59, v45, 0
	v_addc_co_u32_e32 v45, vcc, 0, v55, vcc
	v_add_co_u32_e32 v44, vcc, v44, v52
	v_addc_co_u32_e32 v44, vcc, v45, v53, vcc
	v_addc_co_u32_e32 v45, vcc, 0, v49, vcc
	v_add_co_u32_e32 v44, vcc, v44, v48
	v_addc_co_u32_e32 v45, vcc, 0, v45, vcc
	s_add_u32 s0, s8, s20
	v_add_co_u32_e32 v48, vcc, v58, v44
	s_addc_u32 s1, s9, s20
	v_addc_co_u32_e32 v49, vcc, v59, v45, vcc
	s_xor_b64 s[30:31], s[0:1], s[20:21]
	v_mad_u64_u32 v[44:45], s[0:1], s30, v49, 0
	v_mul_hi_u32 v52, s30, v48
	v_add_co_u32_e32 v52, vcc, v52, v44
	v_addc_co_u32_e32 v53, vcc, 0, v45, vcc
	v_mad_u64_u32 v[44:45], s[0:1], s31, v49, 0
	v_mad_u64_u32 v[48:49], s[0:1], s31, v48, 0
	v_add_co_u32_e32 v48, vcc, v52, v48
	v_addc_co_u32_e32 v48, vcc, v53, v49, vcc
	v_addc_co_u32_e32 v45, vcc, 0, v45, vcc
	v_add_co_u32_e32 v48, vcc, v48, v44
	v_addc_co_u32_e32 v49, vcc, 0, v45, vcc
	v_mul_lo_u32 v52, v56, v48
	v_mul_lo_u32 v53, v57, v49
	v_mad_u64_u32 v[44:45], s[0:1], v57, v48, 0
	v_add3_u32 v45, v45, v53, v52
	v_sub_u32_e32 v52, s31, v45
	v_sub_co_u32_e32 v44, vcc, s30, v44
	v_subb_co_u32_e64 v52, s[0:1], v52, v56, vcc
	v_sub_co_u32_e64 v53, s[0:1], v44, v57
	v_subbrev_co_u32_e64 v52, s[0:1], 0, v52, s[0:1]
	v_cmp_ge_u32_e64 s[0:1], v52, v56
	v_cndmask_b32_e64 v54, 0, -1, s[0:1]
	v_cmp_ge_u32_e64 s[0:1], v53, v57
	v_cndmask_b32_e64 v53, 0, -1, s[0:1]
	v_cmp_eq_u32_e64 s[0:1], v52, v56
	v_cndmask_b32_e64 v52, v54, v53, s[0:1]
	v_add_co_u32_e64 v53, s[0:1], 2, v48
	v_addc_co_u32_e64 v54, s[0:1], 0, v49, s[0:1]
	v_add_co_u32_e64 v55, s[0:1], 1, v48
	v_addc_co_u32_e64 v58, s[0:1], 0, v49, s[0:1]
	v_cmp_ne_u32_e64 s[0:1], 0, v52
	v_cndmask_b32_e64 v52, v58, v54, s[0:1]
	v_mov_b32_e32 v54, s31
	v_subb_co_u32_e32 v45, vcc, v54, v45, vcc
	v_cmp_ge_u32_e32 vcc, v45, v56
	v_cndmask_b32_e64 v54, 0, -1, vcc
	v_cmp_ge_u32_e32 vcc, v44, v57
	v_cndmask_b32_e64 v44, 0, -1, vcc
	v_cmp_eq_u32_e32 vcc, v45, v56
	v_cndmask_b32_e32 v44, v54, v44, vcc
	v_cmp_ne_u32_e32 vcc, 0, v44
	v_cndmask_b32_e64 v45, v55, v53, s[0:1]
	v_cndmask_b32_e32 v44, v49, v52, vcc
	v_cndmask_b32_e32 v45, v48, v45, vcc
	v_xor_b32_e32 v48, v44, v3
	v_xor_b32_e32 v44, v45, v3
	v_sub_co_u32_e32 v44, vcc, v44, v3
	v_subb_co_u32_e32 v45, vcc, v48, v3, vcc
                                        ; implicit-def: $vgpr48_vgpr49
.LBB58_35:                              ;   in Loop: Header=BB58_25 Depth=1
	s_andn2_saveexec_b64 s[0:1], s[18:19]
	s_cbranch_execz .LBB58_37
; %bb.36:                               ;   in Loop: Header=BB58_25 Depth=1
	v_cvt_f32_u32_e32 v3, v48
	v_sub_u32_e32 v44, 0, v48
	v_rcp_iflag_f32_e32 v3, v3
	v_mul_f32_e32 v3, 0x4f7ffffe, v3
	v_cvt_u32_f32_e32 v3, v3
	v_mul_lo_u32 v44, v44, v3
	v_mul_hi_u32 v44, v3, v44
	v_add_u32_e32 v3, v3, v44
	v_mul_hi_u32 v3, s8, v3
	v_mul_lo_u32 v44, v3, v48
	v_sub_u32_e32 v44, s8, v44
	v_add_u32_e32 v45, 1, v3
	v_sub_u32_e32 v49, v44, v48
	v_cmp_ge_u32_e32 vcc, v44, v48
	v_cndmask_b32_e32 v44, v44, v49, vcc
	v_cndmask_b32_e32 v3, v3, v45, vcc
	v_add_u32_e32 v45, 1, v3
	v_cmp_ge_u32_e32 vcc, v44, v48
	v_cndmask_b32_e32 v44, v3, v45, vcc
	v_mov_b32_e32 v45, v2
.LBB58_37:                              ;   in Loop: Header=BB58_25 Depth=1
	s_or_b64 exec, exec, s[0:1]
	v_or_b32_e32 v3, s9, v51
	v_cmp_ne_u64_e32 vcc, 0, v[2:3]
                                        ; implicit-def: $vgpr48_vgpr49
	s_and_saveexec_b64 s[0:1], vcc
	s_xor_b64 s[18:19], exec, s[0:1]
	s_cbranch_execz .LBB58_39
; %bb.38:                               ;   in Loop: Header=BB58_25 Depth=1
	v_ashrrev_i32_e32 v3, 31, v51
	v_add_co_u32_e32 v48, vcc, v50, v3
	v_addc_co_u32_e32 v49, vcc, v51, v3, vcc
	v_xor_b32_e32 v56, v49, v3
	v_xor_b32_e32 v57, v48, v3
	v_cvt_f32_u32_e32 v48, v57
	v_cvt_f32_u32_e32 v49, v56
	v_sub_co_u32_e32 v53, vcc, 0, v57
	v_subb_co_u32_e32 v54, vcc, 0, v56, vcc
	v_mac_f32_e32 v48, 0x4f800000, v49
	v_rcp_f32_e32 v48, v48
	s_ashr_i32 s20, s9, 31
	s_mov_b32 s21, s20
	v_xor_b32_e32 v3, s20, v3
	v_mul_f32_e32 v48, 0x5f7ffffc, v48
	v_mul_f32_e32 v49, 0x2f800000, v48
	v_trunc_f32_e32 v49, v49
	v_mac_f32_e32 v48, 0xcf800000, v49
	v_cvt_u32_f32_e32 v52, v48
	v_cvt_u32_f32_e32 v55, v49
	v_mul_lo_u32 v50, v54, v52
	v_mad_u64_u32 v[48:49], s[0:1], v53, v52, 0
	v_mul_lo_u32 v51, v53, v55
	v_add3_u32 v49, v49, v51, v50
	v_mad_u64_u32 v[50:51], s[0:1], v52, v49, 0
	v_mul_hi_u32 v58, v52, v48
	v_add_co_u32_e32 v58, vcc, v58, v50
	v_addc_co_u32_e32 v59, vcc, 0, v51, vcc
	v_mad_u64_u32 v[50:51], s[0:1], v55, v49, 0
	v_mad_u64_u32 v[48:49], s[0:1], v55, v48, 0
	v_add_co_u32_e32 v48, vcc, v58, v48
	v_addc_co_u32_e32 v48, vcc, v59, v49, vcc
	v_addc_co_u32_e32 v49, vcc, 0, v51, vcc
	v_add_co_u32_e32 v48, vcc, v48, v50
	v_addc_co_u32_e32 v49, vcc, 0, v49, vcc
	v_add_co_u32_e32 v58, vcc, v52, v48
	v_addc_co_u32_e32 v59, vcc, v55, v49, vcc
	v_mul_lo_u32 v50, v53, v59
	v_mul_lo_u32 v51, v54, v58
	v_mad_u64_u32 v[48:49], s[0:1], v53, v58, 0
	v_add3_u32 v49, v49, v50, v51
	v_mad_u64_u32 v[52:53], s[0:1], v59, v48, 0
	v_mad_u64_u32 v[54:55], s[0:1], v58, v49, 0
	v_mul_hi_u32 v48, v58, v48
	v_add_co_u32_e32 v48, vcc, v48, v54
	v_mad_u64_u32 v[50:51], s[0:1], v59, v49, 0
	v_addc_co_u32_e32 v49, vcc, 0, v55, vcc
	v_add_co_u32_e32 v48, vcc, v48, v52
	v_addc_co_u32_e32 v48, vcc, v49, v53, vcc
	v_addc_co_u32_e32 v49, vcc, 0, v51, vcc
	v_add_co_u32_e32 v48, vcc, v48, v50
	v_addc_co_u32_e32 v49, vcc, 0, v49, vcc
	s_add_u32 s0, s8, s20
	v_add_co_u32_e32 v50, vcc, v58, v48
	s_addc_u32 s1, s9, s20
	v_addc_co_u32_e32 v51, vcc, v59, v49, vcc
	s_xor_b64 s[30:31], s[0:1], s[20:21]
	v_mad_u64_u32 v[48:49], s[0:1], s30, v51, 0
	v_mul_hi_u32 v52, s30, v50
	v_add_co_u32_e32 v52, vcc, v52, v48
	v_addc_co_u32_e32 v53, vcc, 0, v49, vcc
	v_mad_u64_u32 v[48:49], s[0:1], s31, v51, 0
	v_mad_u64_u32 v[50:51], s[0:1], s31, v50, 0
	v_add_co_u32_e32 v50, vcc, v52, v50
	v_addc_co_u32_e32 v50, vcc, v53, v51, vcc
	v_addc_co_u32_e32 v49, vcc, 0, v49, vcc
	v_add_co_u32_e32 v50, vcc, v50, v48
	v_addc_co_u32_e32 v51, vcc, 0, v49, vcc
	v_mul_lo_u32 v52, v56, v50
	v_mul_lo_u32 v53, v57, v51
	v_mad_u64_u32 v[48:49], s[0:1], v57, v50, 0
	v_add3_u32 v49, v49, v53, v52
	v_sub_u32_e32 v52, s31, v49
	v_sub_co_u32_e32 v48, vcc, s30, v48
	v_subb_co_u32_e64 v52, s[0:1], v52, v56, vcc
	v_sub_co_u32_e64 v53, s[0:1], v48, v57
	v_subbrev_co_u32_e64 v52, s[0:1], 0, v52, s[0:1]
	v_cmp_ge_u32_e64 s[0:1], v52, v56
	v_cndmask_b32_e64 v54, 0, -1, s[0:1]
	v_cmp_ge_u32_e64 s[0:1], v53, v57
	v_cndmask_b32_e64 v53, 0, -1, s[0:1]
	v_cmp_eq_u32_e64 s[0:1], v52, v56
	v_cndmask_b32_e64 v52, v54, v53, s[0:1]
	v_add_co_u32_e64 v53, s[0:1], 2, v50
	v_addc_co_u32_e64 v54, s[0:1], 0, v51, s[0:1]
	v_add_co_u32_e64 v55, s[0:1], 1, v50
	v_addc_co_u32_e64 v58, s[0:1], 0, v51, s[0:1]
	v_cmp_ne_u32_e64 s[0:1], 0, v52
	v_cndmask_b32_e64 v52, v58, v54, s[0:1]
	v_mov_b32_e32 v54, s31
	v_subb_co_u32_e32 v49, vcc, v54, v49, vcc
	v_cmp_ge_u32_e32 vcc, v49, v56
	v_cndmask_b32_e64 v54, 0, -1, vcc
	v_cmp_ge_u32_e32 vcc, v48, v57
	v_cndmask_b32_e64 v48, 0, -1, vcc
	v_cmp_eq_u32_e32 vcc, v49, v56
	v_cndmask_b32_e32 v48, v54, v48, vcc
	v_cmp_ne_u32_e32 vcc, 0, v48
	v_cndmask_b32_e64 v49, v55, v53, s[0:1]
	v_cndmask_b32_e32 v48, v51, v52, vcc
	v_cndmask_b32_e32 v49, v50, v49, vcc
	v_xor_b32_e32 v50, v48, v3
	v_xor_b32_e32 v48, v49, v3
	v_sub_co_u32_e32 v48, vcc, v48, v3
	v_subb_co_u32_e32 v49, vcc, v50, v3, vcc
                                        ; implicit-def: $vgpr50_vgpr51
.LBB58_39:                              ;   in Loop: Header=BB58_25 Depth=1
	s_andn2_saveexec_b64 s[0:1], s[18:19]
	s_cbranch_execz .LBB58_41
; %bb.40:                               ;   in Loop: Header=BB58_25 Depth=1
	v_cvt_f32_u32_e32 v3, v50
	v_sub_u32_e32 v48, 0, v50
	v_rcp_iflag_f32_e32 v3, v3
	v_mul_f32_e32 v3, 0x4f7ffffe, v3
	v_cvt_u32_f32_e32 v3, v3
	v_mul_lo_u32 v48, v48, v3
	v_mul_hi_u32 v48, v3, v48
	v_add_u32_e32 v3, v3, v48
	v_mul_hi_u32 v3, s8, v3
	v_mul_lo_u32 v48, v3, v50
	v_sub_u32_e32 v48, s8, v48
	v_add_u32_e32 v49, 1, v3
	v_sub_u32_e32 v51, v48, v50
	v_cmp_ge_u32_e32 vcc, v48, v50
	v_cndmask_b32_e32 v48, v48, v51, vcc
	v_cndmask_b32_e32 v3, v3, v49, vcc
	v_add_u32_e32 v49, 1, v3
	v_cmp_ge_u32_e32 vcc, v48, v50
	v_cndmask_b32_e32 v48, v3, v49, vcc
	v_mov_b32_e32 v49, v2
.LBB58_41:                              ;   in Loop: Header=BB58_25 Depth=1
	s_or_b64 exec, exec, s[0:1]
	v_or_b32_e32 v3, s9, v47
	v_cmp_ne_u64_e32 vcc, 0, v[2:3]
                                        ; implicit-def: $vgpr50_vgpr51
	s_and_saveexec_b64 s[0:1], vcc
	s_xor_b64 s[18:19], exec, s[0:1]
	s_cbranch_execnz .LBB58_47
; %bb.42:                               ;   in Loop: Header=BB58_25 Depth=1
	s_andn2_saveexec_b64 s[0:1], s[18:19]
	s_cbranch_execnz .LBB58_48
.LBB58_43:                              ;   in Loop: Header=BB58_25 Depth=1
	s_or_b64 exec, exec, s[0:1]
	v_cmp_gt_u64_e32 vcc, s[12:13], v[0:1]
	s_and_saveexec_b64 s[18:19], vcc
	s_cbranch_execnz .LBB58_49
.LBB58_44:                              ;   in Loop: Header=BB58_25 Depth=1
	s_or_b64 exec, exec, s[18:19]
	v_cmp_gt_u64_e32 vcc, s[12:13], v[30:31]
	s_and_saveexec_b64 s[0:1], vcc
	s_cbranch_execnz .LBB58_54
.LBB58_45:                              ;   in Loop: Header=BB58_25 Depth=1
	s_or_b64 exec, exec, s[0:1]
	v_cmp_gt_u64_e32 vcc, s[12:13], v[34:35]
	s_and_saveexec_b64 s[0:1], vcc
	s_cbranch_execnz .LBB58_55
.LBB58_46:                              ;   in Loop: Header=BB58_25 Depth=1
	s_or_b64 exec, exec, s[0:1]
	v_cmp_gt_u64_e32 vcc, s[12:13], v[38:39]
	s_and_saveexec_b64 s[0:1], vcc
	s_cbranch_execz .LBB58_24
	s_branch .LBB58_56
.LBB58_47:                              ;   in Loop: Header=BB58_25 Depth=1
	v_ashrrev_i32_e32 v3, 31, v47
	v_add_co_u32_e32 v46, vcc, v46, v3
	v_addc_co_u32_e32 v47, vcc, v47, v3, vcc
	v_xor_b32_e32 v56, v47, v3
	v_xor_b32_e32 v57, v46, v3
	v_cvt_f32_u32_e32 v46, v57
	v_cvt_f32_u32_e32 v47, v56
	v_sub_co_u32_e32 v53, vcc, 0, v57
	v_subb_co_u32_e32 v54, vcc, 0, v56, vcc
	v_mac_f32_e32 v46, 0x4f800000, v47
	v_rcp_f32_e32 v46, v46
	s_ashr_i32 s20, s9, 31
	s_mov_b32 s21, s20
	v_xor_b32_e32 v3, s20, v3
	v_mul_f32_e32 v46, 0x5f7ffffc, v46
	v_mul_f32_e32 v47, 0x2f800000, v46
	v_trunc_f32_e32 v47, v47
	v_mac_f32_e32 v46, 0xcf800000, v47
	v_cvt_u32_f32_e32 v52, v46
	v_cvt_u32_f32_e32 v55, v47
	v_mul_lo_u32 v50, v54, v52
	v_mad_u64_u32 v[46:47], s[0:1], v53, v52, 0
	v_mul_lo_u32 v51, v53, v55
	v_add3_u32 v47, v47, v51, v50
	v_mad_u64_u32 v[50:51], s[0:1], v52, v47, 0
	v_mul_hi_u32 v58, v52, v46
	v_add_co_u32_e32 v58, vcc, v58, v50
	v_addc_co_u32_e32 v59, vcc, 0, v51, vcc
	v_mad_u64_u32 v[50:51], s[0:1], v55, v47, 0
	v_mad_u64_u32 v[46:47], s[0:1], v55, v46, 0
	v_add_co_u32_e32 v46, vcc, v58, v46
	v_addc_co_u32_e32 v46, vcc, v59, v47, vcc
	v_addc_co_u32_e32 v47, vcc, 0, v51, vcc
	v_add_co_u32_e32 v46, vcc, v46, v50
	v_addc_co_u32_e32 v47, vcc, 0, v47, vcc
	v_add_co_u32_e32 v58, vcc, v52, v46
	v_addc_co_u32_e32 v59, vcc, v55, v47, vcc
	v_mul_lo_u32 v50, v53, v59
	v_mul_lo_u32 v51, v54, v58
	v_mad_u64_u32 v[46:47], s[0:1], v53, v58, 0
	v_add3_u32 v47, v47, v50, v51
	v_mad_u64_u32 v[52:53], s[0:1], v59, v46, 0
	v_mad_u64_u32 v[54:55], s[0:1], v58, v47, 0
	v_mul_hi_u32 v46, v58, v46
	v_add_co_u32_e32 v46, vcc, v46, v54
	v_mad_u64_u32 v[50:51], s[0:1], v59, v47, 0
	v_addc_co_u32_e32 v47, vcc, 0, v55, vcc
	v_add_co_u32_e32 v46, vcc, v46, v52
	v_addc_co_u32_e32 v46, vcc, v47, v53, vcc
	v_addc_co_u32_e32 v47, vcc, 0, v51, vcc
	v_add_co_u32_e32 v46, vcc, v46, v50
	v_addc_co_u32_e32 v47, vcc, 0, v47, vcc
	s_add_u32 s0, s8, s20
	v_add_co_u32_e32 v50, vcc, v58, v46
	s_addc_u32 s1, s9, s20
	v_addc_co_u32_e32 v51, vcc, v59, v47, vcc
	s_xor_b64 s[30:31], s[0:1], s[20:21]
	v_mad_u64_u32 v[46:47], s[0:1], s30, v51, 0
	v_mul_hi_u32 v52, s30, v50
	v_add_co_u32_e32 v52, vcc, v52, v46
	v_addc_co_u32_e32 v53, vcc, 0, v47, vcc
	v_mad_u64_u32 v[46:47], s[0:1], s31, v51, 0
	v_mad_u64_u32 v[50:51], s[0:1], s31, v50, 0
	v_add_co_u32_e32 v50, vcc, v52, v50
	v_addc_co_u32_e32 v50, vcc, v53, v51, vcc
	v_addc_co_u32_e32 v47, vcc, 0, v47, vcc
	v_add_co_u32_e32 v50, vcc, v50, v46
	v_addc_co_u32_e32 v51, vcc, 0, v47, vcc
	v_mul_lo_u32 v52, v56, v50
	v_mul_lo_u32 v53, v57, v51
	v_mad_u64_u32 v[46:47], s[0:1], v57, v50, 0
	v_add3_u32 v47, v47, v53, v52
	v_sub_u32_e32 v52, s31, v47
	v_sub_co_u32_e32 v46, vcc, s30, v46
	v_subb_co_u32_e64 v52, s[0:1], v52, v56, vcc
	v_sub_co_u32_e64 v53, s[0:1], v46, v57
	v_subbrev_co_u32_e64 v52, s[0:1], 0, v52, s[0:1]
	v_cmp_ge_u32_e64 s[0:1], v52, v56
	v_cndmask_b32_e64 v54, 0, -1, s[0:1]
	v_cmp_ge_u32_e64 s[0:1], v53, v57
	v_cndmask_b32_e64 v53, 0, -1, s[0:1]
	v_cmp_eq_u32_e64 s[0:1], v52, v56
	v_cndmask_b32_e64 v52, v54, v53, s[0:1]
	v_add_co_u32_e64 v53, s[0:1], 2, v50
	v_addc_co_u32_e64 v54, s[0:1], 0, v51, s[0:1]
	v_add_co_u32_e64 v55, s[0:1], 1, v50
	v_addc_co_u32_e64 v58, s[0:1], 0, v51, s[0:1]
	v_cmp_ne_u32_e64 s[0:1], 0, v52
	v_cndmask_b32_e64 v52, v58, v54, s[0:1]
	v_mov_b32_e32 v54, s31
	v_subb_co_u32_e32 v47, vcc, v54, v47, vcc
	v_cmp_ge_u32_e32 vcc, v47, v56
	v_cndmask_b32_e64 v54, 0, -1, vcc
	v_cmp_ge_u32_e32 vcc, v46, v57
	v_cndmask_b32_e64 v46, 0, -1, vcc
	v_cmp_eq_u32_e32 vcc, v47, v56
	v_cndmask_b32_e32 v46, v54, v46, vcc
	v_cmp_ne_u32_e32 vcc, 0, v46
	v_cndmask_b32_e64 v47, v55, v53, s[0:1]
	v_cndmask_b32_e32 v47, v50, v47, vcc
	v_cndmask_b32_e32 v46, v51, v52, vcc
	v_xor_b32_e32 v47, v47, v3
	v_xor_b32_e32 v46, v46, v3
	v_sub_co_u32_e32 v50, vcc, v47, v3
	v_subb_co_u32_e32 v51, vcc, v46, v3, vcc
                                        ; implicit-def: $vgpr46_vgpr47
	s_andn2_saveexec_b64 s[0:1], s[18:19]
	s_cbranch_execz .LBB58_43
.LBB58_48:                              ;   in Loop: Header=BB58_25 Depth=1
	v_cvt_f32_u32_e32 v3, v46
	v_sub_u32_e32 v47, 0, v46
	v_rcp_iflag_f32_e32 v3, v3
	v_mul_f32_e32 v3, 0x4f7ffffe, v3
	v_cvt_u32_f32_e32 v3, v3
	v_mul_lo_u32 v47, v47, v3
	v_mul_hi_u32 v47, v3, v47
	v_add_u32_e32 v3, v3, v47
	v_mul_hi_u32 v3, s8, v3
	v_mul_lo_u32 v47, v3, v46
	v_sub_u32_e32 v47, s8, v47
	v_add_u32_e32 v50, 1, v3
	v_sub_u32_e32 v51, v47, v46
	v_cmp_ge_u32_e32 vcc, v47, v46
	v_cndmask_b32_e32 v47, v47, v51, vcc
	v_cndmask_b32_e32 v3, v3, v50, vcc
	v_add_u32_e32 v50, 1, v3
	v_cmp_ge_u32_e32 vcc, v47, v46
	v_cndmask_b32_e32 v50, v3, v50, vcc
	v_mov_b32_e32 v51, v2
	s_or_b64 exec, exec, s[0:1]
	v_cmp_gt_u64_e32 vcc, s[12:13], v[0:1]
	s_and_saveexec_b64 s[18:19], vcc
	s_cbranch_execz .LBB58_44
.LBB58_49:                              ;   in Loop: Header=BB58_25 Depth=1
	v_or_b32_e32 v3, s9, v43
	v_cmp_ne_u64_e32 vcc, 0, v[2:3]
                                        ; implicit-def: $vgpr46_vgpr47
	s_and_saveexec_b64 s[0:1], vcc
	s_xor_b64 s[20:21], exec, s[0:1]
	s_cbranch_execz .LBB58_51
; %bb.50:                               ;   in Loop: Header=BB58_25 Depth=1
	v_ashrrev_i32_e32 v3, 31, v43
	v_add_co_u32_e32 v42, vcc, v42, v3
	v_addc_co_u32_e32 v43, vcc, v43, v3, vcc
	v_xor_b32_e32 v56, v43, v3
	v_xor_b32_e32 v57, v42, v3
	v_cvt_f32_u32_e32 v42, v57
	v_cvt_f32_u32_e32 v43, v56
	v_sub_co_u32_e32 v53, vcc, 0, v57
	v_subb_co_u32_e32 v54, vcc, 0, v56, vcc
	v_mac_f32_e32 v42, 0x4f800000, v43
	v_rcp_f32_e32 v42, v42
	s_ashr_i32 s30, s9, 31
	s_mov_b32 s31, s30
	v_xor_b32_e32 v3, s30, v3
	v_mul_f32_e32 v42, 0x5f7ffffc, v42
	v_mul_f32_e32 v43, 0x2f800000, v42
	v_trunc_f32_e32 v43, v43
	v_mac_f32_e32 v42, 0xcf800000, v43
	v_cvt_u32_f32_e32 v52, v42
	v_cvt_u32_f32_e32 v55, v43
	v_mul_lo_u32 v46, v54, v52
	v_mad_u64_u32 v[42:43], s[0:1], v53, v52, 0
	v_mul_lo_u32 v47, v53, v55
	v_add3_u32 v43, v43, v47, v46
	v_mad_u64_u32 v[46:47], s[0:1], v52, v43, 0
	v_mul_hi_u32 v58, v52, v42
	v_add_co_u32_e32 v58, vcc, v58, v46
	v_addc_co_u32_e32 v59, vcc, 0, v47, vcc
	v_mad_u64_u32 v[46:47], s[0:1], v55, v43, 0
	v_mad_u64_u32 v[42:43], s[0:1], v55, v42, 0
	v_add_co_u32_e32 v42, vcc, v58, v42
	v_addc_co_u32_e32 v42, vcc, v59, v43, vcc
	v_addc_co_u32_e32 v43, vcc, 0, v47, vcc
	v_add_co_u32_e32 v42, vcc, v42, v46
	v_addc_co_u32_e32 v43, vcc, 0, v43, vcc
	v_add_co_u32_e32 v58, vcc, v52, v42
	v_addc_co_u32_e32 v59, vcc, v55, v43, vcc
	v_mul_lo_u32 v46, v53, v59
	v_mul_lo_u32 v47, v54, v58
	v_mad_u64_u32 v[42:43], s[0:1], v53, v58, 0
	v_add3_u32 v43, v43, v46, v47
	v_mad_u64_u32 v[52:53], s[0:1], v59, v42, 0
	v_mad_u64_u32 v[54:55], s[0:1], v58, v43, 0
	v_mul_hi_u32 v42, v58, v42
	v_add_co_u32_e32 v42, vcc, v42, v54
	v_mad_u64_u32 v[46:47], s[0:1], v59, v43, 0
	v_addc_co_u32_e32 v43, vcc, 0, v55, vcc
	v_add_co_u32_e32 v42, vcc, v42, v52
	v_addc_co_u32_e32 v42, vcc, v43, v53, vcc
	v_addc_co_u32_e32 v43, vcc, 0, v47, vcc
	v_add_co_u32_e32 v42, vcc, v42, v46
	v_addc_co_u32_e32 v43, vcc, 0, v43, vcc
	s_add_u32 s0, s8, s30
	v_add_co_u32_e32 v46, vcc, v58, v42
	s_addc_u32 s1, s9, s30
	v_addc_co_u32_e32 v47, vcc, v59, v43, vcc
	s_xor_b64 s[34:35], s[0:1], s[30:31]
	v_mad_u64_u32 v[42:43], s[0:1], s34, v47, 0
	v_mul_hi_u32 v52, s34, v46
	v_add_co_u32_e32 v52, vcc, v52, v42
	v_addc_co_u32_e32 v53, vcc, 0, v43, vcc
	v_mad_u64_u32 v[42:43], s[0:1], s35, v47, 0
	v_mad_u64_u32 v[46:47], s[0:1], s35, v46, 0
	v_add_co_u32_e32 v46, vcc, v52, v46
	v_addc_co_u32_e32 v46, vcc, v53, v47, vcc
	v_addc_co_u32_e32 v43, vcc, 0, v43, vcc
	v_add_co_u32_e32 v46, vcc, v46, v42
	v_addc_co_u32_e32 v47, vcc, 0, v43, vcc
	v_mul_lo_u32 v52, v56, v46
	v_mul_lo_u32 v53, v57, v47
	v_mad_u64_u32 v[42:43], s[0:1], v57, v46, 0
	v_add3_u32 v43, v43, v53, v52
	v_sub_u32_e32 v52, s35, v43
	v_sub_co_u32_e32 v42, vcc, s34, v42
	v_subb_co_u32_e64 v52, s[0:1], v52, v56, vcc
	v_sub_co_u32_e64 v53, s[0:1], v42, v57
	v_subbrev_co_u32_e64 v52, s[0:1], 0, v52, s[0:1]
	v_cmp_ge_u32_e64 s[0:1], v52, v56
	v_cndmask_b32_e64 v54, 0, -1, s[0:1]
	v_cmp_ge_u32_e64 s[0:1], v53, v57
	v_cndmask_b32_e64 v53, 0, -1, s[0:1]
	v_cmp_eq_u32_e64 s[0:1], v52, v56
	v_cndmask_b32_e64 v52, v54, v53, s[0:1]
	v_add_co_u32_e64 v53, s[0:1], 2, v46
	v_addc_co_u32_e64 v54, s[0:1], 0, v47, s[0:1]
	v_add_co_u32_e64 v55, s[0:1], 1, v46
	v_addc_co_u32_e64 v58, s[0:1], 0, v47, s[0:1]
	v_cmp_ne_u32_e64 s[0:1], 0, v52
	v_cndmask_b32_e64 v52, v58, v54, s[0:1]
	v_mov_b32_e32 v54, s35
	v_subb_co_u32_e32 v43, vcc, v54, v43, vcc
	v_cmp_ge_u32_e32 vcc, v43, v56
	v_cndmask_b32_e64 v54, 0, -1, vcc
	v_cmp_ge_u32_e32 vcc, v42, v57
	v_cndmask_b32_e64 v42, 0, -1, vcc
	v_cmp_eq_u32_e32 vcc, v43, v56
	v_cndmask_b32_e32 v42, v54, v42, vcc
	v_cmp_ne_u32_e32 vcc, 0, v42
	v_cndmask_b32_e64 v43, v55, v53, s[0:1]
	v_cndmask_b32_e32 v43, v46, v43, vcc
	v_cndmask_b32_e32 v42, v47, v52, vcc
	v_xor_b32_e32 v43, v43, v3
	v_xor_b32_e32 v42, v42, v3
	v_sub_co_u32_e32 v46, vcc, v43, v3
	v_subb_co_u32_e32 v47, vcc, v42, v3, vcc
                                        ; implicit-def: $vgpr42_vgpr43
.LBB58_51:                              ;   in Loop: Header=BB58_25 Depth=1
	s_andn2_saveexec_b64 s[0:1], s[20:21]
	s_cbranch_execz .LBB58_53
; %bb.52:                               ;   in Loop: Header=BB58_25 Depth=1
	v_cvt_f32_u32_e32 v3, v42
	v_sub_u32_e32 v43, 0, v42
	v_rcp_iflag_f32_e32 v3, v3
	v_mul_f32_e32 v3, 0x4f7ffffe, v3
	v_cvt_u32_f32_e32 v3, v3
	v_mul_lo_u32 v43, v43, v3
	v_mul_hi_u32 v43, v3, v43
	v_add_u32_e32 v3, v3, v43
	v_mul_hi_u32 v3, s8, v3
	v_mul_lo_u32 v43, v3, v42
	v_sub_u32_e32 v43, s8, v43
	v_add_u32_e32 v46, 1, v3
	v_sub_u32_e32 v47, v43, v42
	v_cmp_ge_u32_e32 vcc, v43, v42
	v_cndmask_b32_e32 v43, v43, v47, vcc
	v_cndmask_b32_e32 v3, v3, v46, vcc
	v_add_u32_e32 v46, 1, v3
	v_cmp_ge_u32_e32 vcc, v43, v42
	v_cndmask_b32_e32 v46, v3, v46, vcc
	v_mov_b32_e32 v47, v2
.LBB58_53:                              ;   in Loop: Header=BB58_25 Depth=1
	s_or_b64 exec, exec, s[0:1]
	v_mov_b32_e32 v3, s3
	v_add_co_u32_e32 v42, vcc, s2, v8
	v_addc_co_u32_e32 v43, vcc, v9, v3, vcc
	v_mad_u64_u32 v[28:29], s[0:1], v46, s6, v[28:29]
	v_mul_lo_u32 v3, v46, s7
	v_mul_lo_u32 v46, v47, s6
	v_add3_u32 v29, v46, v29, v3
	global_store_dwordx2 v[42:43], v[28:29], off
	s_or_b64 exec, exec, s[18:19]
	v_cmp_gt_u64_e32 vcc, s[12:13], v[30:31]
	s_and_saveexec_b64 s[0:1], vcc
	s_cbranch_execz .LBB58_45
.LBB58_54:                              ;   in Loop: Header=BB58_25 Depth=1
	v_mad_u64_u32 v[28:29], s[18:19], v44, s6, v[32:33]
	v_mul_lo_u32 v3, v44, s7
	v_mul_lo_u32 v30, v45, s6
	v_add3_u32 v29, v30, v29, v3
	v_mov_b32_e32 v3, s3
	v_add_co_u32_e32 v30, vcc, s2, v26
	v_addc_co_u32_e32 v31, vcc, v27, v3, vcc
	global_store_dwordx2 v[30:31], v[28:29], off
	s_or_b64 exec, exec, s[0:1]
	v_cmp_gt_u64_e32 vcc, s[12:13], v[34:35]
	s_and_saveexec_b64 s[0:1], vcc
	s_cbranch_execz .LBB58_46
.LBB58_55:                              ;   in Loop: Header=BB58_25 Depth=1
	v_mad_u64_u32 v[28:29], s[18:19], v48, s6, v[36:37]
	v_mul_lo_u32 v3, v48, s7
	v_mul_lo_u32 v30, v49, s6
	v_add3_u32 v29, v30, v29, v3
	v_mov_b32_e32 v3, s3
	v_add_co_u32_e32 v30, vcc, s2, v20
	v_addc_co_u32_e32 v31, vcc, v21, v3, vcc
	global_store_dwordx2 v[30:31], v[28:29], off
	s_or_b64 exec, exec, s[0:1]
	v_cmp_gt_u64_e32 vcc, s[12:13], v[38:39]
	s_and_saveexec_b64 s[0:1], vcc
	s_cbranch_execz .LBB58_24
.LBB58_56:                              ;   in Loop: Header=BB58_25 Depth=1
	v_mad_u64_u32 v[28:29], s[18:19], v50, s6, v[40:41]
	v_mul_lo_u32 v3, v50, s7
	v_mul_lo_u32 v30, v51, s6
	v_add3_u32 v29, v30, v29, v3
	v_mov_b32_e32 v3, s3
	v_add_co_u32_e32 v30, vcc, s2, v14
	v_addc_co_u32_e32 v31, vcc, v15, v3, vcc
	global_store_dwordx2 v[30:31], v[28:29], off
	s_branch .LBB58_24
.LBB58_57:
	s_endpgm
	.section	.rodata,"a",@progbits
	.p2align	6, 0x0
	.amdhsa_kernel _ZN2at6native12_GLOBAL__N_125multi_tensor_apply_kernelINS1_18TensorListMetadataILi4EEENS1_32PointwiseOpScalar0dTensorFunctorIlLi4ELi2ELi3EEEJSt7dividesIlElEEEvT_T0_DpT1_
		.amdhsa_group_segment_fixed_size 0
		.amdhsa_private_segment_fixed_size 0
		.amdhsa_kernarg_size 3320
		.amdhsa_user_sgpr_count 6
		.amdhsa_user_sgpr_private_segment_buffer 1
		.amdhsa_user_sgpr_dispatch_ptr 0
		.amdhsa_user_sgpr_queue_ptr 0
		.amdhsa_user_sgpr_kernarg_segment_ptr 1
		.amdhsa_user_sgpr_dispatch_id 0
		.amdhsa_user_sgpr_flat_scratch_init 0
		.amdhsa_user_sgpr_kernarg_preload_length 0
		.amdhsa_user_sgpr_kernarg_preload_offset 0
		.amdhsa_user_sgpr_private_segment_size 0
		.amdhsa_uses_dynamic_stack 0
		.amdhsa_system_sgpr_private_segment_wavefront_offset 0
		.amdhsa_system_sgpr_workgroup_id_x 1
		.amdhsa_system_sgpr_workgroup_id_y 0
		.amdhsa_system_sgpr_workgroup_id_z 0
		.amdhsa_system_sgpr_workgroup_info 0
		.amdhsa_system_vgpr_workitem_id 0
		.amdhsa_next_free_vgpr 60
		.amdhsa_next_free_sgpr 40
		.amdhsa_accum_offset 60
		.amdhsa_reserve_vcc 1
		.amdhsa_reserve_flat_scratch 0
		.amdhsa_float_round_mode_32 0
		.amdhsa_float_round_mode_16_64 0
		.amdhsa_float_denorm_mode_32 3
		.amdhsa_float_denorm_mode_16_64 3
		.amdhsa_dx10_clamp 1
		.amdhsa_ieee_mode 1
		.amdhsa_fp16_overflow 0
		.amdhsa_tg_split 0
		.amdhsa_exception_fp_ieee_invalid_op 0
		.amdhsa_exception_fp_denorm_src 0
		.amdhsa_exception_fp_ieee_div_zero 0
		.amdhsa_exception_fp_ieee_overflow 0
		.amdhsa_exception_fp_ieee_underflow 0
		.amdhsa_exception_fp_ieee_inexact 0
		.amdhsa_exception_int_div_zero 0
	.end_amdhsa_kernel
	.section	.text._ZN2at6native12_GLOBAL__N_125multi_tensor_apply_kernelINS1_18TensorListMetadataILi4EEENS1_32PointwiseOpScalar0dTensorFunctorIlLi4ELi2ELi3EEEJSt7dividesIlElEEEvT_T0_DpT1_,"axG",@progbits,_ZN2at6native12_GLOBAL__N_125multi_tensor_apply_kernelINS1_18TensorListMetadataILi4EEENS1_32PointwiseOpScalar0dTensorFunctorIlLi4ELi2ELi3EEEJSt7dividesIlElEEEvT_T0_DpT1_,comdat
.Lfunc_end58:
	.size	_ZN2at6native12_GLOBAL__N_125multi_tensor_apply_kernelINS1_18TensorListMetadataILi4EEENS1_32PointwiseOpScalar0dTensorFunctorIlLi4ELi2ELi3EEEJSt7dividesIlElEEEvT_T0_DpT1_, .Lfunc_end58-_ZN2at6native12_GLOBAL__N_125multi_tensor_apply_kernelINS1_18TensorListMetadataILi4EEENS1_32PointwiseOpScalar0dTensorFunctorIlLi4ELi2ELi3EEEJSt7dividesIlElEEEvT_T0_DpT1_
                                        ; -- End function
	.section	.AMDGPU.csdata,"",@progbits
; Kernel info:
; codeLenInByte = 7676
; NumSgprs: 44
; NumVgprs: 60
; NumAgprs: 0
; TotalNumVgprs: 60
; ScratchSize: 0
; MemoryBound: 0
; FloatMode: 240
; IeeeMode: 1
; LDSByteSize: 0 bytes/workgroup (compile time only)
; SGPRBlocks: 5
; VGPRBlocks: 7
; NumSGPRsForWavesPerEU: 44
; NumVGPRsForWavesPerEU: 60
; AccumOffset: 60
; Occupancy: 8
; WaveLimiterHint : 0
; COMPUTE_PGM_RSRC2:SCRATCH_EN: 0
; COMPUTE_PGM_RSRC2:USER_SGPR: 6
; COMPUTE_PGM_RSRC2:TRAP_HANDLER: 0
; COMPUTE_PGM_RSRC2:TGID_X_EN: 1
; COMPUTE_PGM_RSRC2:TGID_Y_EN: 0
; COMPUTE_PGM_RSRC2:TGID_Z_EN: 0
; COMPUTE_PGM_RSRC2:TIDIG_COMP_CNT: 0
; COMPUTE_PGM_RSRC3_GFX90A:ACCUM_OFFSET: 14
; COMPUTE_PGM_RSRC3_GFX90A:TG_SPLIT: 0
	.section	.text._ZN2at6native12_GLOBAL__N_125multi_tensor_apply_kernelINS1_18TensorListMetadataILi4EEENS1_32PointwiseOpScalar0dTensorFunctorIsLi4ELi2ELi3EEEJSt7dividesIsEsEEEvT_T0_DpT1_,"axG",@progbits,_ZN2at6native12_GLOBAL__N_125multi_tensor_apply_kernelINS1_18TensorListMetadataILi4EEENS1_32PointwiseOpScalar0dTensorFunctorIsLi4ELi2ELi3EEEJSt7dividesIsEsEEEvT_T0_DpT1_,comdat
	.globl	_ZN2at6native12_GLOBAL__N_125multi_tensor_apply_kernelINS1_18TensorListMetadataILi4EEENS1_32PointwiseOpScalar0dTensorFunctorIsLi4ELi2ELi3EEEJSt7dividesIsEsEEEvT_T0_DpT1_ ; -- Begin function _ZN2at6native12_GLOBAL__N_125multi_tensor_apply_kernelINS1_18TensorListMetadataILi4EEENS1_32PointwiseOpScalar0dTensorFunctorIsLi4ELi2ELi3EEEJSt7dividesIsEsEEEvT_T0_DpT1_
	.p2align	8
	.type	_ZN2at6native12_GLOBAL__N_125multi_tensor_apply_kernelINS1_18TensorListMetadataILi4EEENS1_32PointwiseOpScalar0dTensorFunctorIsLi4ELi2ELi3EEEJSt7dividesIsEsEEEvT_T0_DpT1_,@function
_ZN2at6native12_GLOBAL__N_125multi_tensor_apply_kernelINS1_18TensorListMetadataILi4EEENS1_32PointwiseOpScalar0dTensorFunctorIsLi4ELi2ELi3EEEJSt7dividesIsEsEEEvT_T0_DpT1_: ; @_ZN2at6native12_GLOBAL__N_125multi_tensor_apply_kernelINS1_18TensorListMetadataILi4EEENS1_32PointwiseOpScalar0dTensorFunctorIsLi4ELi2ELi3EEEJSt7dividesIsEsEEEvT_T0_DpT1_
; %bb.0:
	v_mov_b32_e32 v1, s6
	global_load_ubyte v1, v1, s[4:5] offset:1440
	s_load_dword s0, s[4:5], 0xbe8
	s_mul_hi_u32 s2, s6, 3
	v_mov_b32_e32 v3, 0
	s_waitcnt lgkmcnt(0)
	s_lshr_b32 s22, s0, 16
	s_add_u32 s0, s4, s6
	s_addc_u32 s1, s5, 0
	s_mul_i32 s6, s6, 3
	s_add_u32 s0, s0, s6
	s_addc_u32 s1, s1, s2
	s_waitcnt vmcnt(0)
	v_readfirstlane_b32 s2, v1
	s_lshl_b32 s6, s2, 3
	s_load_dwordx2 s[2:3], s[4:5], s6 offset:0x120
	s_load_dwordx2 s[14:15], s[4:5], s6 offset:0x240
	;; [unrolled: 1-line block ×3, first 2 shown]
	s_waitcnt lgkmcnt(0)
	global_load_sshort v36, v3, s[2:3]
	s_load_dword s8, s[0:1], 0x6e0
	s_load_dwordx2 s[16:17], s[4:5], s6 offset:0x0
	s_load_dwordx2 s[10:11], s[4:5], s6 offset:0x480
	s_mov_b32 s1, 0
	s_mov_b32 s3, s1
	s_waitcnt lgkmcnt(0)
	s_ashr_i32 s9, s8, 31
	s_lshl_b64 s[6:7], s[8:9], 17
	s_add_u32 s2, s2, s6
	s_and_b32 s0, s16, 7
	s_and_b32 s2, s2, 7
	s_cmp_lg_u64 s[2:3], 0
	s_cselect_b64 s[2:3], -1, 0
	s_add_u32 s18, s14, s6
	s_or_b32 s18, s12, s18
	s_and_b32 s18, s18, 7
	s_cmp_lg_u32 s18, 0
	s_cselect_b64 s[18:19], -1, 0
	s_or_b64 s[2:3], s[18:19], s[2:3]
	s_lshl_b64 s[8:9], s[8:9], 16
	s_sub_u32 s8, s10, s8
	s_subb_u32 s9, s11, s9
	s_and_b32 s10, s10, 3
	s_mov_b32 s11, s1
	s_or_b64 s[10:11], s[0:1], s[10:11]
	s_cmp_lg_u64 s[10:11], 0
	s_cselect_b64 s[10:11], -1, 0
	s_or_b64 s[2:3], s[2:3], s[10:11]
	s_andn2_b64 vcc, exec, s[2:3]
	s_mov_b64 s[2:3], -1
	s_cbranch_vccz .LBB59_5
; %bb.1:
	v_lshlrev_b32_e32 v2, 2, v0
	v_cmp_gt_i64_e32 vcc, s[8:9], v[2:3]
	s_and_saveexec_b64 s[10:11], vcc
	s_cbranch_execz .LBB59_4
; %bb.2:
	s_load_dword s0, s[4:5], 0xbfc
	s_waitcnt vmcnt(0)
	v_cvt_f32_i32_e32 v5, v36
	v_lshlrev_b32_e32 v1, 3, v0
	v_mov_b32_e32 v2, s7
	v_add_co_u32_e32 v4, vcc, s6, v1
	s_waitcnt lgkmcnt(0)
	s_and_b32 s0, s0, 0xffff
	v_mov_b32_e32 v3, 0
	v_addc_co_u32_e32 v1, vcc, 0, v2, vcc
	s_lshl_b32 s23, s0, 3
	v_add_lshl_u32 v2, v0, s0, 2
	s_lshl_b32 s24, s0, 2
	s_mov_b64 s[18:19], 0
	v_mov_b32_e32 v6, s17
	v_mov_b32_e32 v7, s15
	;; [unrolled: 1-line block ×3, first 2 shown]
	s_mov_b64 s[20:21], 0xffff
	v_mov_b32_e32 v9, s1
	v_mov_b32_e32 v10, s1
.LBB59_3:                               ; =>This Inner Loop Header: Depth=1
	v_add_co_u32_e32 v12, vcc, s16, v4
	v_addc_co_u32_e32 v13, vcc, v6, v1, vcc
	v_add_co_u32_e32 v14, vcc, s14, v4
	v_addc_co_u32_e32 v15, vcc, v7, v1, vcc
	global_load_dwordx2 v[16:17], v[14:15], off
	global_load_dwordx2 v[18:19], v[12:13], off
	v_add_co_u32_e32 v12, vcc, s12, v4
	v_addc_co_u32_e32 v13, vcc, v8, v1, vcc
	v_cmp_le_i64_e32 vcc, s[8:9], v[2:3]
	v_cmp_lt_u64_e64 s[0:1], s[20:21], v[2:3]
	s_or_b64 s[0:1], vcc, s[0:1]
	v_add_co_u32_e64 v4, s[2:3], s23, v4
	v_addc_co_u32_e64 v1, s[2:3], v1, v9, s[2:3]
	v_add_co_u32_e64 v2, s[2:3], s24, v2
	s_and_b64 s[0:1], exec, s[0:1]
	v_addc_co_u32_e64 v3, s[2:3], v3, v10, s[2:3]
	s_or_b64 s[18:19], s[0:1], s[18:19]
	s_waitcnt vmcnt(1)
	v_cvt_f32_i32_sdwa v14, sext(v16) dst_sel:DWORD dst_unused:UNUSED_PAD src0_sel:WORD_0
	v_cvt_f32_i32_sdwa v21, sext(v16) dst_sel:DWORD dst_unused:UNUSED_PAD src0_sel:WORD_1
	v_xor_b32_sdwa v11, v36, sext(v16) dst_sel:DWORD dst_unused:UNUSED_PAD src0_sel:DWORD src1_sel:WORD_0
	v_xor_b32_sdwa v20, v36, sext(v16) dst_sel:DWORD dst_unused:UNUSED_PAD src0_sel:DWORD src1_sel:WORD_1
	v_alignbit_b32 v16, v17, v16, 16
	v_xor_b32_sdwa v23, v36, sext(v17) dst_sel:DWORD dst_unused:UNUSED_PAD src0_sel:DWORD src1_sel:WORD_1
	v_cvt_f32_i32_sdwa v17, sext(v17) dst_sel:DWORD dst_unused:UNUSED_PAD src0_sel:WORD_1
	v_xor_b32_sdwa v24, v36, sext(v16) dst_sel:DWORD dst_unused:UNUSED_PAD src0_sel:DWORD src1_sel:WORD_1
	v_cvt_f32_i32_sdwa v16, sext(v16) dst_sel:DWORD dst_unused:UNUSED_PAD src0_sel:WORD_1
	v_rcp_iflag_f32_e32 v25, v14
	v_rcp_iflag_f32_e32 v26, v21
	;; [unrolled: 1-line block ×4, first 2 shown]
	v_mul_f32_e32 v25, v5, v25
	v_mul_f32_e32 v26, v5, v26
	;; [unrolled: 1-line block ×3, first 2 shown]
	v_trunc_f32_e32 v25, v25
	v_trunc_f32_e32 v26, v26
	v_ashrrev_i32_e32 v11, 30, v11
	v_mul_f32_e32 v28, v5, v28
	v_trunc_f32_e32 v27, v27
	v_mad_f32 v29, -v25, v14, v5
	v_cvt_i32_f32_e32 v25, v25
	v_mad_f32 v30, -v26, v21, v5
	v_cvt_i32_f32_e32 v26, v26
	v_ashrrev_i32_e32 v20, 30, v20
	v_or_b32_e32 v11, 1, v11
	v_trunc_f32_e32 v28, v28
	v_mad_f32 v31, -v27, v17, v5
	v_cvt_i32_f32_e32 v27, v27
	v_cmp_ge_f32_e64 vcc, |v29|, |v14|
	v_ashrrev_i32_e32 v23, 30, v23
	v_or_b32_e32 v20, 1, v20
	v_cndmask_b32_e32 v11, 0, v11, vcc
	v_cmp_ge_f32_e64 vcc, |v30|, |v21|
	v_cvt_i32_f32_e32 v21, v28
	v_ashrrev_i32_e32 v24, 30, v24
	v_or_b32_e32 v23, 1, v23
	v_cndmask_b32_e32 v14, 0, v20, vcc
	v_mad_f32 v20, -v28, v16, v5
	v_cmp_ge_f32_e64 vcc, |v31|, |v17|
	s_waitcnt vmcnt(0)
	v_lshrrev_b32_e32 v15, 16, v18
	v_or_b32_e32 v24, 1, v24
	v_cndmask_b32_e32 v17, 0, v23, vcc
	v_cmp_ge_f32_e64 vcc, |v20|, |v16|
	v_add_u32_e32 v11, v25, v11
	v_add_u32_e32 v14, v26, v14
	v_lshrrev_b32_e32 v22, 16, v19
	v_cndmask_b32_e32 v16, 0, v24, vcc
	v_add_u32_e32 v17, v27, v17
	v_mul_lo_u16_e32 v11, s22, v11
	v_mad_legacy_u16 v14, v14, s22, v15
	v_add_u32_e32 v15, v21, v16
	v_mad_legacy_u16 v16, v17, s22, v22
	v_add_u16_e32 v11, v11, v18
	v_lshlrev_b32_e32 v14, 16, v14
	v_mad_legacy_u16 v15, v15, s22, v19
	v_lshlrev_b32_e32 v16, 16, v16
	v_or_b32_e32 v11, v14, v11
	v_or3_b32 v15, 0, v15, v16
	v_or3_b32 v14, v11, 0, 0
	global_store_dwordx2 v[12:13], v[14:15], off
	s_andn2_b64 exec, exec, s[18:19]
	s_cbranch_execnz .LBB59_3
.LBB59_4:
	s_or_b64 exec, exec, s[10:11]
	s_mov_b64 s[2:3], 0
.LBB59_5:
	s_andn2_b64 vcc, exec, s[2:3]
	s_cbranch_vccnz .LBB59_25
; %bb.6:
	v_cmp_lt_i64_e64 s[0:1], s[8:9], 1
	s_and_b64 vcc, exec, s[0:1]
	s_cbranch_vccnz .LBB59_25
; %bb.7:
	s_load_dword s0, s[4:5], 0xbfc
	v_mov_b32_e32 v2, 0x10000
	v_mov_b32_e32 v3, 0
	v_cmp_lt_u64_e32 vcc, s[8:9], v[2:3]
	v_lshlrev_b32_e32 v14, 1, v0
	s_waitcnt lgkmcnt(0)
	s_and_b32 s19, s0, 0xffff
	s_and_b64 s[0:1], vcc, exec
	v_mov_b32_e32 v21, s17
	v_add_co_u32_e32 v2, vcc, s16, v14
	v_addc_co_u32_e32 v3, vcc, 0, v21, vcc
	v_mov_b32_e32 v23, s15
	v_add_co_u32_e32 v4, vcc, s14, v14
	v_mov_b32_e32 v1, 0
	v_addc_co_u32_e32 v5, vcc, 0, v23, vcc
	v_mov_b32_e32 v15, v1
	v_mov_b32_e32 v25, s13
	v_add_co_u32_e32 v6, vcc, s12, v14
	v_addc_co_u32_e32 v7, vcc, 0, v25, vcc
	v_mad_u64_u32 v[12:13], s[0:1], s19, 6, v[14:15]
	v_add_co_u32_e32 v8, vcc, s16, v12
	v_addc_co_u32_e32 v9, vcc, v21, v13, vcc
	v_add_co_u32_e32 v10, vcc, s14, v12
	v_addc_co_u32_e32 v11, vcc, v23, v13, vcc
	v_add_co_u32_e32 v12, vcc, s12, v12
	s_cselect_b32 s5, s9, 0
	s_cselect_b32 s4, s8, 0x10000
	s_lshl_b32 s10, s19, 2
	v_addc_co_u32_e32 v13, vcc, v25, v13, vcc
	v_add_co_u32_e32 v18, vcc, s10, v14
	v_addc_co_u32_e64 v19, s[0:1], 0, 0, vcc
	v_add_co_u32_e32 v14, vcc, s16, v18
	v_addc_co_u32_e32 v15, vcc, v21, v19, vcc
	v_add_co_u32_e32 v16, vcc, s14, v18
	v_addc_co_u32_e32 v17, vcc, v23, v19, vcc
	v_add_co_u32_e32 v18, vcc, s12, v18
	v_addc_co_u32_e32 v19, vcc, v25, v19, vcc
	v_add_lshl_u32 v24, v0, s19, 1
	v_add_co_u32_e32 v20, vcc, s16, v24
	v_addc_co_u32_e32 v21, vcc, 0, v21, vcc
	s_waitcnt vmcnt(0)
	v_cvt_f32_i32_e32 v37, v36
	v_add_co_u32_e32 v22, vcc, s14, v24
	s_mov_b32 s18, 0
	v_addc_co_u32_e32 v23, vcc, 0, v23, vcc
	s_mov_b32 s11, s18
	v_add_co_u32_e32 v24, vcc, s12, v24
	s_mov_b64 s[2:3], 0x10000
	s_lshl_b32 s20, s19, 1
	s_mov_b32 s21, s18
	s_mul_i32 s23, s19, 3
	s_mov_b32 s24, s18
	s_lshl_b32 s17, s19, 3
	s_mov_b32 s25, s18
	v_addc_co_u32_e32 v25, vcc, 0, v25, vcc
	s_mov_b64 s[12:13], s[10:11]
	s_branch .LBB59_9
.LBB59_8:                               ;   in Loop: Header=BB59_9 Depth=1
	s_or_b64 exec, exec, s[0:1]
	v_pk_mov_b32 v[26:27], s[8:9], s[8:9] op_sel:[0,1]
	v_cmp_ge_i64_e32 vcc, s[12:13], v[26:27]
	v_mov_b32_e32 v26, 0xffff
	v_mov_b32_e32 v27, 0
	v_cmp_gt_u64_e64 s[0:1], s[12:13], v[26:27]
	s_or_b64 s[0:1], vcc, s[0:1]
	v_mov_b32_e32 v26, s25
	v_add_co_u32_e32 v2, vcc, s17, v2
	v_addc_co_u32_e32 v3, vcc, v3, v26, vcc
	v_add_co_u32_e32 v4, vcc, s17, v4
	v_addc_co_u32_e32 v5, vcc, v5, v26, vcc
	;; [unrolled: 2-line block ×3, first 2 shown]
	v_mov_b32_e32 v27, s11
	v_add_co_u32_e32 v0, vcc, s10, v0
	v_addc_co_u32_e32 v1, vcc, v1, v27, vcc
	v_add_co_u32_e32 v8, vcc, s17, v8
	v_addc_co_u32_e32 v9, vcc, v9, v26, vcc
	;; [unrolled: 2-line block ×9, first 2 shown]
	v_add_co_u32_e32 v24, vcc, s17, v24
	s_add_u32 s12, s12, s10
	v_addc_co_u32_e32 v25, vcc, v25, v26, vcc
	s_addc_u32 s13, s13, 0
	s_and_b64 vcc, exec, s[0:1]
	s_cbranch_vccnz .LBB59_25
.LBB59_9:                               ; =>This Inner Loop Header: Depth=1
	v_cmp_gt_i64_e32 vcc, s[8:9], v[0:1]
	v_cmp_gt_u64_e64 s[0:1], s[2:3], v[0:1]
	v_pk_mov_b32 v[28:29], 0, 0
	s_and_b64 s[14:15], vcc, s[0:1]
	v_pk_mov_b32 v[26:27], v[28:29], v[28:29] op_sel:[0,1]
	s_and_saveexec_b64 s[0:1], s[14:15]
	s_cbranch_execz .LBB59_11
; %bb.10:                               ;   in Loop: Header=BB59_9 Depth=1
	v_mov_b32_e32 v29, s7
	v_add_co_u32_e32 v26, vcc, s6, v2
	v_addc_co_u32_e32 v27, vcc, v3, v29, vcc
	v_add_co_u32_e32 v28, vcc, s6, v4
	v_addc_co_u32_e32 v29, vcc, v5, v29, vcc
	global_load_ushort v30, v[26:27], off
	global_load_ushort v31, v[28:29], off
	v_mov_b32_e32 v27, s18
	v_mov_b32_e32 v29, s18
	s_waitcnt vmcnt(1)
	v_and_b32_e32 v26, 0xffff, v30
	s_waitcnt vmcnt(0)
	v_and_b32_e32 v28, 0xffff, v31
.LBB59_11:                              ;   in Loop: Header=BB59_9 Depth=1
	s_or_b64 exec, exec, s[0:1]
	v_mov_b32_e32 v31, s18
	v_add_co_u32_e32 v30, vcc, s19, v0
	v_addc_co_u32_e32 v31, vcc, v31, v1, vcc
	v_cmp_gt_i64_e32 vcc, s[8:9], v[30:31]
	v_cmp_gt_u64_e64 s[0:1], s[2:3], v[30:31]
	s_and_b64 s[14:15], vcc, s[0:1]
	s_and_saveexec_b64 s[0:1], s[14:15]
	s_cbranch_execz .LBB59_13
; %bb.12:                               ;   in Loop: Header=BB59_9 Depth=1
	v_mov_b32_e32 v35, s7
	v_add_co_u32_e32 v32, vcc, s6, v22
	v_addc_co_u32_e32 v33, vcc, v23, v35, vcc
	v_add_co_u32_e32 v34, vcc, s6, v20
	v_addc_co_u32_e32 v35, vcc, v21, v35, vcc
	global_load_ushort v38, v[34:35], off
	global_load_ushort v39, v[32:33], off
	s_waitcnt vmcnt(1)
	v_lshl_or_b32 v26, v38, 16, v26
	s_waitcnt vmcnt(0)
	v_lshl_or_b32 v28, v39, 16, v28
.LBB59_13:                              ;   in Loop: Header=BB59_9 Depth=1
	s_or_b64 exec, exec, s[0:1]
	v_mov_b32_e32 v33, s21
	v_add_co_u32_e32 v32, vcc, s20, v0
	v_addc_co_u32_e32 v33, vcc, v33, v1, vcc
	v_cmp_gt_i64_e32 vcc, s[8:9], v[32:33]
	v_cmp_gt_u64_e64 s[0:1], s[2:3], v[32:33]
	s_and_b64 s[14:15], vcc, s[0:1]
	s_and_saveexec_b64 s[0:1], s[14:15]
	s_cbranch_execz .LBB59_15
; %bb.14:                               ;   in Loop: Header=BB59_9 Depth=1
	v_mov_b32_e32 v39, s7
	v_add_co_u32_e32 v34, vcc, s6, v16
	v_addc_co_u32_e32 v35, vcc, v17, v39, vcc
	v_add_co_u32_e32 v38, vcc, s6, v14
	v_addc_co_u32_e32 v39, vcc, v15, v39, vcc
	global_load_ushort v40, v[38:39], off
	global_load_ushort v41, v[34:35], off
	s_waitcnt vmcnt(1)
	v_or_b32_e32 v27, v40, v27
	s_waitcnt vmcnt(0)
	v_or_b32_e32 v29, v41, v29
.LBB59_15:                              ;   in Loop: Header=BB59_9 Depth=1
	s_or_b64 exec, exec, s[0:1]
	v_mov_b32_e32 v35, s24
	v_add_co_u32_e32 v34, vcc, s23, v0
	v_addc_co_u32_e32 v35, vcc, v35, v1, vcc
	v_cmp_gt_i64_e32 vcc, s[8:9], v[34:35]
	v_cmp_gt_u64_e64 s[0:1], s[2:3], v[34:35]
	s_and_b64 s[14:15], vcc, s[0:1]
	s_and_saveexec_b64 s[0:1], s[14:15]
	s_cbranch_execnz .LBB59_20
; %bb.16:                               ;   in Loop: Header=BB59_9 Depth=1
	s_or_b64 exec, exec, s[0:1]
	v_cmp_gt_u64_e32 vcc, s[4:5], v[0:1]
	s_and_saveexec_b64 s[0:1], vcc
	s_cbranch_execnz .LBB59_21
.LBB59_17:                              ;   in Loop: Header=BB59_9 Depth=1
	s_or_b64 exec, exec, s[0:1]
	v_cmp_gt_u64_e32 vcc, s[4:5], v[30:31]
	s_and_saveexec_b64 s[0:1], vcc
	s_cbranch_execnz .LBB59_22
.LBB59_18:                              ;   in Loop: Header=BB59_9 Depth=1
	s_or_b64 exec, exec, s[0:1]
	v_cmp_gt_u64_e32 vcc, s[4:5], v[32:33]
	s_and_saveexec_b64 s[0:1], vcc
	s_cbranch_execnz .LBB59_23
.LBB59_19:                              ;   in Loop: Header=BB59_9 Depth=1
	s_or_b64 exec, exec, s[0:1]
	v_cmp_gt_u64_e32 vcc, s[4:5], v[34:35]
	s_and_saveexec_b64 s[0:1], vcc
	s_cbranch_execz .LBB59_8
	s_branch .LBB59_24
.LBB59_20:                              ;   in Loop: Header=BB59_9 Depth=1
	v_mov_b32_e32 v41, s7
	v_add_co_u32_e32 v38, vcc, s6, v10
	v_addc_co_u32_e32 v39, vcc, v11, v41, vcc
	v_add_co_u32_e32 v40, vcc, s6, v8
	v_addc_co_u32_e32 v41, vcc, v9, v41, vcc
	global_load_ushort v42, v[40:41], off
	global_load_ushort v43, v[38:39], off
	s_waitcnt vmcnt(1)
	v_lshlrev_b32_e32 v38, 16, v42
	s_waitcnt vmcnt(0)
	v_lshlrev_b32_e32 v39, 16, v43
	v_or_b32_e32 v27, v38, v27
	v_or_b32_e32 v29, v39, v29
	s_or_b64 exec, exec, s[0:1]
	v_cmp_gt_u64_e32 vcc, s[4:5], v[0:1]
	s_and_saveexec_b64 s[0:1], vcc
	s_cbranch_execz .LBB59_17
.LBB59_21:                              ;   in Loop: Header=BB59_9 Depth=1
	v_cvt_f32_i32_sdwa v38, sext(v28) dst_sel:DWORD dst_unused:UNUSED_PAD src0_sel:WORD_0
	v_xor_b32_sdwa v39, v36, sext(v28) dst_sel:DWORD dst_unused:UNUSED_PAD src0_sel:DWORD src1_sel:WORD_0
	v_ashrrev_i32_e32 v39, 30, v39
	v_or_b32_e32 v39, 1, v39
	v_rcp_iflag_f32_e32 v40, v38
	v_mov_b32_e32 v41, s7
	v_mul_f32_e32 v40, v37, v40
	v_trunc_f32_e32 v40, v40
	v_cvt_i32_f32_e32 v42, v40
	v_mad_f32 v40, -v40, v38, v37
	v_cmp_ge_f32_e64 vcc, |v40|, |v38|
	v_cndmask_b32_e32 v38, 0, v39, vcc
	v_add_u32_e32 v38, v42, v38
	v_mad_legacy_u16 v40, v38, s22, v26
	v_add_co_u32_e32 v38, vcc, s6, v6
	v_addc_co_u32_e32 v39, vcc, v7, v41, vcc
	global_store_short v[38:39], v40, off
	s_or_b64 exec, exec, s[0:1]
	v_cmp_gt_u64_e32 vcc, s[4:5], v[30:31]
	s_and_saveexec_b64 s[0:1], vcc
	s_cbranch_execz .LBB59_18
.LBB59_22:                              ;   in Loop: Header=BB59_9 Depth=1
	v_cvt_f32_i32_sdwa v30, sext(v28) dst_sel:DWORD dst_unused:UNUSED_PAD src0_sel:WORD_1
	v_xor_b32_sdwa v31, v36, sext(v28) dst_sel:DWORD dst_unused:UNUSED_PAD src0_sel:DWORD src1_sel:WORD_1
	v_ashrrev_i32_e32 v31, 30, v31
	v_or_b32_e32 v31, 1, v31
	v_rcp_iflag_f32_e32 v38, v30
	v_lshrrev_b32_e32 v26, 16, v26
	v_mov_b32_e32 v39, s7
	v_mul_f32_e32 v38, v37, v38
	v_trunc_f32_e32 v38, v38
	v_cvt_i32_f32_e32 v40, v38
	v_mad_f32 v38, -v38, v30, v37
	v_cmp_ge_f32_e64 vcc, |v38|, |v30|
	v_cndmask_b32_e32 v30, 0, v31, vcc
	v_add_u32_e32 v30, v40, v30
	v_mad_legacy_u16 v26, v30, s22, v26
	v_add_co_u32_e32 v30, vcc, s6, v24
	v_addc_co_u32_e32 v31, vcc, v25, v39, vcc
	global_store_short v[30:31], v26, off
	s_or_b64 exec, exec, s[0:1]
	v_cmp_gt_u64_e32 vcc, s[4:5], v[32:33]
	s_and_saveexec_b64 s[0:1], vcc
	s_cbranch_execz .LBB59_19
.LBB59_23:                              ;   in Loop: Header=BB59_9 Depth=1
	v_alignbit_b32 v26, v29, v28, 16
	v_cvt_f32_i32_sdwa v30, sext(v26) dst_sel:DWORD dst_unused:UNUSED_PAD src0_sel:WORD_1
	v_xor_b32_sdwa v26, v36, sext(v26) dst_sel:DWORD dst_unused:UNUSED_PAD src0_sel:DWORD src1_sel:WORD_1
	v_ashrrev_i32_e32 v26, 30, v26
	v_or_b32_e32 v26, 1, v26
	v_rcp_iflag_f32_e32 v32, v30
	v_mov_b32_e32 v31, s7
	v_mul_f32_e32 v32, v37, v32
	v_trunc_f32_e32 v32, v32
	v_cvt_i32_f32_e32 v33, v32
	v_mad_f32 v32, -v32, v30, v37
	v_cmp_ge_f32_e64 vcc, |v32|, |v30|
	v_cndmask_b32_e32 v26, 0, v26, vcc
	v_add_u32_e32 v26, v33, v26
	v_add_co_u32_e32 v30, vcc, s6, v18
	v_mad_legacy_u16 v26, v26, s22, v27
	v_addc_co_u32_e32 v31, vcc, v19, v31, vcc
	global_store_short v[30:31], v26, off
	s_or_b64 exec, exec, s[0:1]
	v_cmp_gt_u64_e32 vcc, s[4:5], v[34:35]
	s_and_saveexec_b64 s[0:1], vcc
	s_cbranch_execz .LBB59_8
.LBB59_24:                              ;   in Loop: Header=BB59_9 Depth=1
	v_ashrrev_i64 v[28:29], 48, v[28:29]
	v_cvt_f32_i32_e32 v26, v28
	v_xor_b32_e32 v28, v36, v28
	v_ashrrev_i32_e32 v28, 30, v28
	v_or_b32_e32 v28, 1, v28
	v_rcp_iflag_f32_e32 v30, v26
	v_lshrrev_b32_e32 v27, 16, v27
	v_mov_b32_e32 v29, s7
	v_mul_f32_e32 v30, v37, v30
	v_trunc_f32_e32 v30, v30
	v_cvt_i32_f32_e32 v31, v30
	v_mad_f32 v30, -v30, v26, v37
	v_cmp_ge_f32_e64 vcc, |v30|, |v26|
	v_cndmask_b32_e32 v26, 0, v28, vcc
	v_add_u32_e32 v26, v31, v26
	v_mad_legacy_u16 v28, v26, s22, v27
	v_add_co_u32_e32 v26, vcc, s6, v12
	v_addc_co_u32_e32 v27, vcc, v13, v29, vcc
	global_store_short v[26:27], v28, off
	s_branch .LBB59_8
.LBB59_25:
	s_endpgm
	.section	.rodata,"a",@progbits
	.p2align	6, 0x0
	.amdhsa_kernel _ZN2at6native12_GLOBAL__N_125multi_tensor_apply_kernelINS1_18TensorListMetadataILi4EEENS1_32PointwiseOpScalar0dTensorFunctorIsLi4ELi2ELi3EEEJSt7dividesIsEsEEEvT_T0_DpT1_
		.amdhsa_group_segment_fixed_size 0
		.amdhsa_private_segment_fixed_size 0
		.amdhsa_kernarg_size 3312
		.amdhsa_user_sgpr_count 6
		.amdhsa_user_sgpr_private_segment_buffer 1
		.amdhsa_user_sgpr_dispatch_ptr 0
		.amdhsa_user_sgpr_queue_ptr 0
		.amdhsa_user_sgpr_kernarg_segment_ptr 1
		.amdhsa_user_sgpr_dispatch_id 0
		.amdhsa_user_sgpr_flat_scratch_init 0
		.amdhsa_user_sgpr_kernarg_preload_length 0
		.amdhsa_user_sgpr_kernarg_preload_offset 0
		.amdhsa_user_sgpr_private_segment_size 0
		.amdhsa_uses_dynamic_stack 0
		.amdhsa_system_sgpr_private_segment_wavefront_offset 0
		.amdhsa_system_sgpr_workgroup_id_x 1
		.amdhsa_system_sgpr_workgroup_id_y 0
		.amdhsa_system_sgpr_workgroup_id_z 0
		.amdhsa_system_sgpr_workgroup_info 0
		.amdhsa_system_vgpr_workitem_id 0
		.amdhsa_next_free_vgpr 44
		.amdhsa_next_free_sgpr 26
		.amdhsa_accum_offset 44
		.amdhsa_reserve_vcc 1
		.amdhsa_reserve_flat_scratch 0
		.amdhsa_float_round_mode_32 0
		.amdhsa_float_round_mode_16_64 0
		.amdhsa_float_denorm_mode_32 3
		.amdhsa_float_denorm_mode_16_64 3
		.amdhsa_dx10_clamp 1
		.amdhsa_ieee_mode 1
		.amdhsa_fp16_overflow 0
		.amdhsa_tg_split 0
		.amdhsa_exception_fp_ieee_invalid_op 0
		.amdhsa_exception_fp_denorm_src 0
		.amdhsa_exception_fp_ieee_div_zero 0
		.amdhsa_exception_fp_ieee_overflow 0
		.amdhsa_exception_fp_ieee_underflow 0
		.amdhsa_exception_fp_ieee_inexact 0
		.amdhsa_exception_int_div_zero 0
	.end_amdhsa_kernel
	.section	.text._ZN2at6native12_GLOBAL__N_125multi_tensor_apply_kernelINS1_18TensorListMetadataILi4EEENS1_32PointwiseOpScalar0dTensorFunctorIsLi4ELi2ELi3EEEJSt7dividesIsEsEEEvT_T0_DpT1_,"axG",@progbits,_ZN2at6native12_GLOBAL__N_125multi_tensor_apply_kernelINS1_18TensorListMetadataILi4EEENS1_32PointwiseOpScalar0dTensorFunctorIsLi4ELi2ELi3EEEJSt7dividesIsEsEEEvT_T0_DpT1_,comdat
.Lfunc_end59:
	.size	_ZN2at6native12_GLOBAL__N_125multi_tensor_apply_kernelINS1_18TensorListMetadataILi4EEENS1_32PointwiseOpScalar0dTensorFunctorIsLi4ELi2ELi3EEEJSt7dividesIsEsEEEvT_T0_DpT1_, .Lfunc_end59-_ZN2at6native12_GLOBAL__N_125multi_tensor_apply_kernelINS1_18TensorListMetadataILi4EEENS1_32PointwiseOpScalar0dTensorFunctorIsLi4ELi2ELi3EEEJSt7dividesIsEsEEEvT_T0_DpT1_
                                        ; -- End function
	.section	.AMDGPU.csdata,"",@progbits
; Kernel info:
; codeLenInByte = 2188
; NumSgprs: 30
; NumVgprs: 44
; NumAgprs: 0
; TotalNumVgprs: 44
; ScratchSize: 0
; MemoryBound: 0
; FloatMode: 240
; IeeeMode: 1
; LDSByteSize: 0 bytes/workgroup (compile time only)
; SGPRBlocks: 3
; VGPRBlocks: 5
; NumSGPRsForWavesPerEU: 30
; NumVGPRsForWavesPerEU: 44
; AccumOffset: 44
; Occupancy: 8
; WaveLimiterHint : 0
; COMPUTE_PGM_RSRC2:SCRATCH_EN: 0
; COMPUTE_PGM_RSRC2:USER_SGPR: 6
; COMPUTE_PGM_RSRC2:TRAP_HANDLER: 0
; COMPUTE_PGM_RSRC2:TGID_X_EN: 1
; COMPUTE_PGM_RSRC2:TGID_Y_EN: 0
; COMPUTE_PGM_RSRC2:TGID_Z_EN: 0
; COMPUTE_PGM_RSRC2:TIDIG_COMP_CNT: 0
; COMPUTE_PGM_RSRC3_GFX90A:ACCUM_OFFSET: 10
; COMPUTE_PGM_RSRC3_GFX90A:TG_SPLIT: 0
	.section	.text._ZN2at6native12_GLOBAL__N_125multi_tensor_apply_kernelINS1_18TensorListMetadataILi4EEENS1_32PointwiseOpScalar0dTensorFunctorIdLi4ELi2ELi3EEEJSt7dividesIdEdEEEvT_T0_DpT1_,"axG",@progbits,_ZN2at6native12_GLOBAL__N_125multi_tensor_apply_kernelINS1_18TensorListMetadataILi4EEENS1_32PointwiseOpScalar0dTensorFunctorIdLi4ELi2ELi3EEEJSt7dividesIdEdEEEvT_T0_DpT1_,comdat
	.globl	_ZN2at6native12_GLOBAL__N_125multi_tensor_apply_kernelINS1_18TensorListMetadataILi4EEENS1_32PointwiseOpScalar0dTensorFunctorIdLi4ELi2ELi3EEEJSt7dividesIdEdEEEvT_T0_DpT1_ ; -- Begin function _ZN2at6native12_GLOBAL__N_125multi_tensor_apply_kernelINS1_18TensorListMetadataILi4EEENS1_32PointwiseOpScalar0dTensorFunctorIdLi4ELi2ELi3EEEJSt7dividesIdEdEEEvT_T0_DpT1_
	.p2align	8
	.type	_ZN2at6native12_GLOBAL__N_125multi_tensor_apply_kernelINS1_18TensorListMetadataILi4EEENS1_32PointwiseOpScalar0dTensorFunctorIdLi4ELi2ELi3EEEJSt7dividesIdEdEEEvT_T0_DpT1_,@function
_ZN2at6native12_GLOBAL__N_125multi_tensor_apply_kernelINS1_18TensorListMetadataILi4EEENS1_32PointwiseOpScalar0dTensorFunctorIdLi4ELi2ELi3EEEJSt7dividesIdEdEEEvT_T0_DpT1_: ; @_ZN2at6native12_GLOBAL__N_125multi_tensor_apply_kernelINS1_18TensorListMetadataILi4EEENS1_32PointwiseOpScalar0dTensorFunctorIdLi4ELi2ELi3EEEJSt7dividesIdEdEEEvT_T0_DpT1_
; %bb.0:
	v_mov_b32_e32 v1, s6
	global_load_ubyte v1, v1, s[4:5] offset:1440
	s_add_u32 s0, s4, s6
	s_mul_hi_u32 s1, s6, 3
	s_mul_i32 s6, s6, 3
	s_addc_u32 s2, s5, 0
	s_add_u32 s0, s0, s6
	s_addc_u32 s1, s2, s1
	s_load_dword s0, s[0:1], 0x6e0
	s_mov_b32 s3, 0
	s_mov_b32 s7, s3
	;; [unrolled: 1-line block ×3, first 2 shown]
	s_waitcnt lgkmcnt(0)
	s_ashr_i32 s1, s0, 31
	s_lshl_b64 s[12:13], s[0:1], 19
	s_waitcnt vmcnt(0)
	v_readfirstlane_b32 s2, v1
	s_lshl_b32 s2, s2, 3
	s_load_dwordx2 s[22:23], s[4:5], s2 offset:0x0
	s_load_dwordx2 s[10:11], s[4:5], s2 offset:0x120
	s_load_dwordx2 s[14:15], s[4:5], 0xbf0
	s_load_dwordx2 s[26:27], s[4:5], s2 offset:0x480
	s_load_dwordx2 s[24:25], s[4:5], s2 offset:0x240
	;; [unrolled: 1-line block ×3, first 2 shown]
	s_waitcnt lgkmcnt(0)
	s_add_u32 s33, s22, s12
	s_addc_u32 s34, s23, s13
	s_add_u32 s6, s10, s12
	s_and_b32 s2, s33, 31
	s_and_b32 s6, s6, 31
	s_cmp_lg_u64 s[6:7], 0
	s_cselect_b64 s[6:7], -1, 0
	s_add_u32 s35, s24, s12
	s_addc_u32 s36, s25, s13
	s_add_u32 s37, s20, s12
	s_addc_u32 s38, s21, s13
	s_or_b32 s8, s37, s35
	s_and_b32 s8, s8, 31
	s_cmp_lg_u32 s8, 0
	s_load_dwordx2 s[16:17], s[10:11], 0x0
	s_cselect_b64 s[10:11], -1, 0
	s_lshl_b64 s[0:1], s[0:1], 16
	s_or_b64 s[6:7], s[10:11], s[6:7]
	s_sub_u32 s18, s26, s0
	s_subb_u32 s19, s27, s1
	s_and_b32 s8, s26, 3
	s_or_b64 s[0:1], s[2:3], s[8:9]
	s_cmp_lg_u64 s[0:1], 0
	s_cselect_b64 s[0:1], -1, 0
	s_or_b64 s[0:1], s[6:7], s[0:1]
	s_andn2_b64 vcc, exec, s[0:1]
	s_mov_b64 s[0:1], -1
	s_cbranch_vccz .LBB60_5
; %bb.1:
	v_mov_b32_e32 v3, 0
	v_lshlrev_b32_e32 v2, 2, v0
	v_cmp_gt_i64_e32 vcc, s[18:19], v[2:3]
	s_and_saveexec_b64 s[26:27], vcc
	s_cbranch_execz .LBB60_4
; %bb.2:
	s_load_dword s2, s[4:5], 0xc04
	v_cmp_eq_f64_e64 s[0:1], s[14:15], 1.0
	v_lshlrev_b32_e32 v4, 5, v0
	s_mov_b64 s[28:29], 0
	s_mov_b64 s[30:31], 0xffff
	s_waitcnt lgkmcnt(0)
	s_and_b32 s2, s2, 0xffff
	v_add_lshl_u32 v2, v0, s2, 2
	s_lshl_b32 s39, s2, 2
	s_lshl_b32 s40, s2, 5
	v_mov_b32_e32 v1, s3
.LBB60_3:                               ; =>This Inner Loop Header: Depth=1
	v_cmp_le_i64_e64 s[6:7], s[18:19], v[2:3]
	v_cmp_lt_u64_e64 s[8:9], s[30:31], v[2:3]
	v_add_co_u32_e64 v2, s[10:11], s39, v2
	v_mov_b32_e32 v6, s36
	v_add_co_u32_e32 v22, vcc, s35, v4
	v_addc_co_u32_e64 v3, s[10:11], v3, v1, s[10:11]
	v_mov_b32_e32 v5, s34
	v_mov_b32_e32 v7, s38
	v_add_co_u32_e64 v24, s[2:3], s37, v4
	v_add_co_u32_e64 v26, s[10:11], s33, v4
	v_addc_co_u32_e32 v23, vcc, 0, v6, vcc
	v_addc_co_u32_e64 v27, s[10:11], 0, v5, s[10:11]
	v_addc_co_u32_e64 v25, vcc, 0, v7, s[2:3]
	global_load_dwordx4 v[6:9], v[22:23], off
	global_load_dwordx4 v[10:13], v[22:23], off offset:16
	global_load_dwordx4 v[14:17], v[26:27], off
	global_load_dwordx4 v[18:21], v[26:27], off offset:16
	s_or_b64 s[2:3], s[6:7], s[8:9]
	s_add_u32 s33, s33, s40
	s_addc_u32 s34, s34, 0
	s_add_u32 s37, s37, s40
	s_addc_u32 s38, s38, 0
	;; [unrolled: 2-line block ×3, first 2 shown]
	s_and_b64 s[2:3], exec, s[2:3]
	s_or_b64 s[28:29], s[2:3], s[28:29]
	s_waitcnt vmcnt(3)
	v_div_scale_f64 v[22:23], s[2:3], v[6:7], v[6:7], s[16:17]
	v_div_scale_f64 v[28:29], s[2:3], v[8:9], v[8:9], s[16:17]
	v_rcp_f64_e32 v[40:41], v[22:23]
	s_waitcnt vmcnt(2)
	v_div_scale_f64 v[32:33], s[6:7], v[10:11], v[10:11], s[16:17]
	v_rcp_f64_e32 v[42:43], v[28:29]
	v_div_scale_f64 v[36:37], s[8:9], v[12:13], v[12:13], s[16:17]
	v_rcp_f64_e32 v[44:45], v[32:33]
	v_rcp_f64_e32 v[46:47], v[36:37]
	v_fma_f64 v[48:49], -v[22:23], v[40:41], 1.0
	v_fma_f64 v[50:51], -v[28:29], v[42:43], 1.0
	v_fmac_f64_e32 v[40:41], v[40:41], v[48:49]
	v_fma_f64 v[52:53], -v[32:33], v[44:45], 1.0
	v_fmac_f64_e32 v[42:43], v[42:43], v[50:51]
	v_fma_f64 v[48:49], -v[22:23], v[40:41], 1.0
	v_div_scale_f64 v[26:27], vcc, s[16:17], v[6:7], s[16:17]
	v_fma_f64 v[54:55], -v[36:37], v[46:47], 1.0
	v_fmac_f64_e32 v[44:45], v[44:45], v[52:53]
	v_fma_f64 v[50:51], -v[28:29], v[42:43], 1.0
	v_fmac_f64_e32 v[40:41], v[40:41], v[48:49]
	v_div_scale_f64 v[30:31], s[2:3], s[16:17], v[8:9], s[16:17]
	v_fmac_f64_e32 v[46:47], v[46:47], v[54:55]
	v_fma_f64 v[52:53], -v[32:33], v[44:45], 1.0
	v_fmac_f64_e32 v[42:43], v[42:43], v[50:51]
	v_mul_f64 v[48:49], v[26:27], v[40:41]
	v_div_scale_f64 v[34:35], s[6:7], s[16:17], v[10:11], s[16:17]
	v_fma_f64 v[54:55], -v[36:37], v[46:47], 1.0
	v_fmac_f64_e32 v[44:45], v[44:45], v[52:53]
	v_mul_f64 v[50:51], v[30:31], v[42:43]
	v_fma_f64 v[22:23], -v[22:23], v[48:49], v[26:27]
	v_div_scale_f64 v[38:39], s[8:9], s[16:17], v[12:13], s[16:17]
	v_fmac_f64_e32 v[46:47], v[46:47], v[54:55]
	v_mul_f64 v[52:53], v[34:35], v[44:45]
	v_fma_f64 v[26:27], -v[28:29], v[50:51], v[30:31]
	v_div_fmas_f64 v[22:23], v[22:23], v[40:41], v[48:49]
	s_mov_b64 vcc, s[2:3]
	v_mul_f64 v[54:55], v[38:39], v[46:47]
	v_fma_f64 v[28:29], -v[32:33], v[52:53], v[34:35]
	v_div_fixup_f64 v[6:7], v[22:23], v[6:7], s[16:17]
	v_div_fmas_f64 v[22:23], v[26:27], v[42:43], v[50:51]
	s_mov_b64 vcc, s[6:7]
	v_fma_f64 v[30:31], -v[36:37], v[54:55], v[38:39]
	s_waitcnt vmcnt(1)
	v_add_f64 v[26:27], v[14:15], v[6:7]
	v_fmac_f64_e32 v[14:15], s[14:15], v[6:7]
	v_div_fixup_f64 v[8:9], v[22:23], v[8:9], s[16:17]
	v_div_fmas_f64 v[22:23], v[28:29], v[44:45], v[52:53]
	s_mov_b64 vcc, s[8:9]
	v_cndmask_b32_e64 v7, v15, v27, s[0:1]
	v_cndmask_b32_e64 v6, v14, v26, s[0:1]
	v_add_f64 v[14:15], v[16:17], v[8:9]
	v_fmac_f64_e32 v[16:17], s[14:15], v[8:9]
	v_div_fixup_f64 v[10:11], v[22:23], v[10:11], s[16:17]
	v_div_fmas_f64 v[22:23], v[30:31], v[46:47], v[54:55]
	v_cndmask_b32_e64 v9, v17, v15, s[0:1]
	v_cndmask_b32_e64 v8, v16, v14, s[0:1]
	s_waitcnt vmcnt(0)
	v_add_f64 v[14:15], v[18:19], v[10:11]
	v_fmac_f64_e32 v[18:19], s[14:15], v[10:11]
	v_div_fixup_f64 v[12:13], v[22:23], v[12:13], s[16:17]
	v_cndmask_b32_e64 v11, v19, v15, s[0:1]
	v_cndmask_b32_e64 v10, v18, v14, s[0:1]
	v_add_f64 v[14:15], v[20:21], v[12:13]
	v_fmac_f64_e32 v[20:21], s[14:15], v[12:13]
	v_cndmask_b32_e64 v13, v21, v15, s[0:1]
	v_cndmask_b32_e64 v12, v20, v14, s[0:1]
	global_store_dwordx4 v[24:25], v[6:9], off
	global_store_dwordx4 v[24:25], v[10:13], off offset:16
	s_andn2_b64 exec, exec, s[28:29]
	s_cbranch_execnz .LBB60_3
.LBB60_4:
	s_or_b64 exec, exec, s[26:27]
	s_mov_b64 s[0:1], 0
.LBB60_5:
	s_andn2_b64 vcc, exec, s[0:1]
	s_cbranch_vccnz .LBB60_25
; %bb.6:
	v_cmp_lt_i64_e64 s[0:1], s[18:19], 1
	s_and_b64 vcc, exec, s[0:1]
	s_cbranch_vccnz .LBB60_25
; %bb.7:
	s_load_dword s2, s[4:5], 0xc04
	v_mov_b32_e32 v2, 0x10000
	v_mov_b32_e32 v3, 0
	v_cmp_lt_u64_e32 vcc, s[18:19], v[2:3]
	v_lshlrev_b32_e32 v14, 3, v0
	s_waitcnt lgkmcnt(0)
	s_and_b32 s27, s2, 0xffff
	s_and_b64 s[2:3], vcc, exec
	v_mov_b32_e32 v21, s23
	v_add_co_u32_e32 v2, vcc, s22, v14
	v_addc_co_u32_e32 v3, vcc, 0, v21, vcc
	v_mov_b32_e32 v23, s25
	v_add_co_u32_e32 v4, vcc, s24, v14
	v_mov_b32_e32 v1, 0
	v_addc_co_u32_e32 v5, vcc, 0, v23, vcc
	v_mov_b32_e32 v15, v1
	v_mov_b32_e32 v25, s21
	v_add_co_u32_e32 v6, vcc, s20, v14
	v_addc_co_u32_e32 v7, vcc, 0, v25, vcc
	v_mad_u64_u32 v[12:13], s[2:3], s27, 24, v[14:15]
	v_add_co_u32_e32 v8, vcc, s22, v12
	v_addc_co_u32_e32 v9, vcc, v21, v13, vcc
	v_add_co_u32_e32 v10, vcc, s24, v12
	v_addc_co_u32_e32 v11, vcc, v23, v13, vcc
	v_add_co_u32_e32 v12, vcc, s20, v12
	s_cselect_b32 s7, s19, 0
	s_cselect_b32 s6, s18, 0x10000
	v_addc_co_u32_e32 v13, vcc, v25, v13, vcc
	s_lshl_b32 s2, s27, 4
	v_add_co_u32_e32 v18, vcc, s2, v14
	v_addc_co_u32_e64 v19, s[2:3], 0, 0, vcc
	v_add_co_u32_e32 v14, vcc, s22, v18
	v_addc_co_u32_e32 v15, vcc, v21, v19, vcc
	v_add_co_u32_e32 v16, vcc, s24, v18
	v_addc_co_u32_e32 v17, vcc, v23, v19, vcc
	;; [unrolled: 2-line block ×3, first 2 shown]
	v_add_lshl_u32 v24, v0, s27, 3
	v_add_co_u32_e32 v20, vcc, s22, v24
	v_addc_co_u32_e32 v21, vcc, 0, v21, vcc
	v_add_co_u32_e32 v22, vcc, s24, v24
	s_mov_b32 s26, 0
	v_addc_co_u32_e32 v23, vcc, 0, v23, vcc
	s_lshl_b32 s8, s27, 2
	s_mov_b32 s9, s26
	v_add_co_u32_e32 v24, vcc, s20, v24
	v_cmp_eq_f64_e64 s[0:1], s[14:15], 1.0
	s_mov_b64 s[4:5], 0x10000
	s_lshl_b32 s28, s27, 1
	s_mov_b32 s29, s26
	s_mul_i32 s30, s27, 3
	s_mov_b32 s31, s26
	s_lshl_b32 s23, s27, 5
	s_mov_b32 s33, s26
	v_addc_co_u32_e32 v25, vcc, 0, v25, vcc
	s_mov_b64 s[10:11], s[8:9]
	s_branch .LBB60_9
.LBB60_8:                               ;   in Loop: Header=BB60_9 Depth=1
	s_or_b64 exec, exec, s[2:3]
	s_waitcnt vmcnt(0)
	v_pk_mov_b32 v[26:27], s[18:19], s[18:19] op_sel:[0,1]
	v_cmp_ge_i64_e32 vcc, s[10:11], v[26:27]
	v_mov_b32_e32 v26, 0xffff
	v_mov_b32_e32 v27, 0
	v_cmp_gt_u64_e64 s[2:3], s[10:11], v[26:27]
	s_or_b64 s[2:3], vcc, s[2:3]
	v_mov_b32_e32 v26, s33
	v_add_co_u32_e32 v2, vcc, s23, v2
	v_addc_co_u32_e32 v3, vcc, v3, v26, vcc
	v_add_co_u32_e32 v4, vcc, s23, v4
	v_addc_co_u32_e32 v5, vcc, v5, v26, vcc
	;; [unrolled: 2-line block ×3, first 2 shown]
	v_mov_b32_e32 v27, s9
	v_add_co_u32_e32 v0, vcc, s8, v0
	v_addc_co_u32_e32 v1, vcc, v1, v27, vcc
	v_add_co_u32_e32 v8, vcc, s23, v8
	v_addc_co_u32_e32 v9, vcc, v9, v26, vcc
	;; [unrolled: 2-line block ×9, first 2 shown]
	v_add_co_u32_e32 v24, vcc, s23, v24
	s_add_u32 s10, s10, s8
	v_addc_co_u32_e32 v25, vcc, v25, v26, vcc
	s_addc_u32 s11, s11, 0
	s_and_b64 vcc, exec, s[2:3]
	s_cbranch_vccnz .LBB60_25
.LBB60_9:                               ; =>This Inner Loop Header: Depth=1
	v_cmp_gt_i64_e32 vcc, s[18:19], v[0:1]
	v_cmp_gt_u64_e64 s[2:3], s[4:5], v[0:1]
	v_pk_mov_b32 v[28:29], 0, 0
	s_and_b64 s[20:21], vcc, s[2:3]
	v_pk_mov_b32 v[46:47], v[28:29], v[28:29] op_sel:[0,1]
	v_pk_mov_b32 v[40:41], v[28:29], v[28:29] op_sel:[0,1]
	s_and_saveexec_b64 s[2:3], s[20:21]
	s_cbranch_execz .LBB60_11
; %bb.10:                               ;   in Loop: Header=BB60_9 Depth=1
	v_mov_b32_e32 v31, s13
	v_add_co_u32_e32 v26, vcc, s12, v2
	v_addc_co_u32_e32 v27, vcc, v3, v31, vcc
	v_add_co_u32_e32 v30, vcc, s12, v4
	v_addc_co_u32_e32 v31, vcc, v5, v31, vcc
	global_load_dwordx2 v[40:41], v[26:27], off
	global_load_dwordx2 v[46:47], v[30:31], off
.LBB60_11:                              ;   in Loop: Header=BB60_9 Depth=1
	s_or_b64 exec, exec, s[2:3]
	v_mov_b32_e32 v26, s26
	v_add_co_u32_e32 v44, vcc, s27, v0
	v_addc_co_u32_e32 v45, vcc, v26, v1, vcc
	v_cmp_gt_i64_e32 vcc, s[18:19], v[44:45]
	v_cmp_gt_u64_e64 s[2:3], s[4:5], v[44:45]
	s_and_b64 s[20:21], vcc, s[2:3]
	v_pk_mov_b32 v[34:35], v[28:29], v[28:29] op_sel:[0,1]
	s_and_saveexec_b64 s[2:3], s[20:21]
	s_cbranch_execz .LBB60_13
; %bb.12:                               ;   in Loop: Header=BB60_9 Depth=1
	v_mov_b32_e32 v28, s13
	v_add_co_u32_e32 v26, vcc, s12, v20
	v_addc_co_u32_e32 v27, vcc, v21, v28, vcc
	v_add_co_u32_e32 v30, vcc, s12, v22
	v_addc_co_u32_e32 v31, vcc, v23, v28, vcc
	global_load_dwordx2 v[34:35], v[26:27], off
	global_load_dwordx2 v[28:29], v[30:31], off
.LBB60_13:                              ;   in Loop: Header=BB60_9 Depth=1
	s_or_b64 exec, exec, s[2:3]
	v_mov_b32_e32 v26, s29
	v_add_co_u32_e32 v42, vcc, s28, v0
	v_addc_co_u32_e32 v43, vcc, v26, v1, vcc
	v_cmp_gt_i64_e32 vcc, s[18:19], v[42:43]
	v_cmp_gt_u64_e64 s[2:3], s[4:5], v[42:43]
	v_pk_mov_b32 v[26:27], 0, 0
	s_and_b64 s[20:21], vcc, s[2:3]
	v_pk_mov_b32 v[38:39], v[26:27], v[26:27] op_sel:[0,1]
	v_pk_mov_b32 v[32:33], v[26:27], v[26:27] op_sel:[0,1]
	s_and_saveexec_b64 s[2:3], s[20:21]
	s_cbranch_execz .LBB60_15
; %bb.14:                               ;   in Loop: Header=BB60_9 Depth=1
	v_mov_b32_e32 v32, s13
	v_add_co_u32_e32 v30, vcc, s12, v14
	v_addc_co_u32_e32 v31, vcc, v15, v32, vcc
	v_add_co_u32_e32 v36, vcc, s12, v16
	v_addc_co_u32_e32 v37, vcc, v17, v32, vcc
	global_load_dwordx2 v[32:33], v[30:31], off
	global_load_dwordx2 v[38:39], v[36:37], off
.LBB60_15:                              ;   in Loop: Header=BB60_9 Depth=1
	s_or_b64 exec, exec, s[2:3]
	v_mov_b32_e32 v30, s31
	v_add_co_u32_e32 v36, vcc, s30, v0
	v_addc_co_u32_e32 v37, vcc, v30, v1, vcc
	v_cmp_gt_i64_e32 vcc, s[18:19], v[36:37]
	v_cmp_gt_u64_e64 s[2:3], s[4:5], v[36:37]
	s_and_b64 s[20:21], vcc, s[2:3]
	v_pk_mov_b32 v[30:31], v[26:27], v[26:27] op_sel:[0,1]
	s_and_saveexec_b64 s[2:3], s[20:21]
	s_cbranch_execnz .LBB60_20
; %bb.16:                               ;   in Loop: Header=BB60_9 Depth=1
	s_or_b64 exec, exec, s[2:3]
	v_cmp_gt_u64_e32 vcc, s[6:7], v[0:1]
	s_and_saveexec_b64 s[2:3], vcc
	s_cbranch_execnz .LBB60_21
.LBB60_17:                              ;   in Loop: Header=BB60_9 Depth=1
	s_or_b64 exec, exec, s[2:3]
	v_cmp_gt_u64_e32 vcc, s[6:7], v[44:45]
	s_and_saveexec_b64 s[2:3], vcc
	s_cbranch_execnz .LBB60_22
.LBB60_18:                              ;   in Loop: Header=BB60_9 Depth=1
	s_or_b64 exec, exec, s[2:3]
	v_cmp_gt_u64_e32 vcc, s[6:7], v[42:43]
	s_and_saveexec_b64 s[2:3], vcc
	s_cbranch_execnz .LBB60_23
.LBB60_19:                              ;   in Loop: Header=BB60_9 Depth=1
	s_or_b64 exec, exec, s[2:3]
	v_cmp_gt_u64_e32 vcc, s[6:7], v[36:37]
	s_and_saveexec_b64 s[2:3], vcc
	s_cbranch_execz .LBB60_8
	s_branch .LBB60_24
.LBB60_20:                              ;   in Loop: Header=BB60_9 Depth=1
	v_mov_b32_e32 v26, s13
	v_add_co_u32_e32 v48, vcc, s12, v8
	v_addc_co_u32_e32 v49, vcc, v9, v26, vcc
	v_add_co_u32_e32 v50, vcc, s12, v10
	v_addc_co_u32_e32 v51, vcc, v11, v26, vcc
	global_load_dwordx2 v[30:31], v[48:49], off
	global_load_dwordx2 v[26:27], v[50:51], off
	s_or_b64 exec, exec, s[2:3]
	v_cmp_gt_u64_e32 vcc, s[6:7], v[0:1]
	s_and_saveexec_b64 s[2:3], vcc
	s_cbranch_execz .LBB60_17
.LBB60_21:                              ;   in Loop: Header=BB60_9 Depth=1
	s_waitcnt vmcnt(0)
	v_div_scale_f64 v[48:49], s[20:21], v[46:47], v[46:47], s[16:17]
	v_rcp_f64_e32 v[50:51], v[48:49]
	v_div_scale_f64 v[52:53], vcc, s[16:17], v[46:47], s[16:17]
	v_fma_f64 v[54:55], -v[48:49], v[50:51], 1.0
	v_fmac_f64_e32 v[50:51], v[50:51], v[54:55]
	v_fma_f64 v[54:55], -v[48:49], v[50:51], 1.0
	v_fmac_f64_e32 v[50:51], v[50:51], v[54:55]
	v_mul_f64 v[54:55], v[52:53], v[50:51]
	v_fma_f64 v[48:49], -v[48:49], v[54:55], v[52:53]
	v_div_fmas_f64 v[48:49], v[48:49], v[50:51], v[54:55]
	v_div_fixup_f64 v[46:47], v[48:49], v[46:47], s[16:17]
	v_add_f64 v[48:49], v[40:41], v[46:47]
	v_fmac_f64_e32 v[40:41], s[14:15], v[46:47]
	v_mov_b32_e32 v47, s13
	v_add_co_u32_e32 v46, vcc, s12, v6
	v_cndmask_b32_e64 v41, v41, v49, s[0:1]
	v_cndmask_b32_e64 v40, v40, v48, s[0:1]
	v_addc_co_u32_e32 v47, vcc, v7, v47, vcc
	global_store_dwordx2 v[46:47], v[40:41], off
	s_or_b64 exec, exec, s[2:3]
	v_cmp_gt_u64_e32 vcc, s[6:7], v[44:45]
	s_and_saveexec_b64 s[2:3], vcc
	s_cbranch_execz .LBB60_18
.LBB60_22:                              ;   in Loop: Header=BB60_9 Depth=1
	s_waitcnt vmcnt(0)
	v_div_scale_f64 v[40:41], s[20:21], v[28:29], v[28:29], s[16:17]
	v_rcp_f64_e32 v[44:45], v[40:41]
	v_div_scale_f64 v[46:47], vcc, s[16:17], v[28:29], s[16:17]
	v_fma_f64 v[48:49], -v[40:41], v[44:45], 1.0
	v_fmac_f64_e32 v[44:45], v[44:45], v[48:49]
	v_fma_f64 v[48:49], -v[40:41], v[44:45], 1.0
	v_fmac_f64_e32 v[44:45], v[44:45], v[48:49]
	v_mul_f64 v[48:49], v[46:47], v[44:45]
	v_fma_f64 v[40:41], -v[40:41], v[48:49], v[46:47]
	v_div_fmas_f64 v[40:41], v[40:41], v[44:45], v[48:49]
	v_div_fixup_f64 v[28:29], v[40:41], v[28:29], s[16:17]
	v_add_f64 v[40:41], v[34:35], v[28:29]
	v_fmac_f64_e32 v[34:35], s[14:15], v[28:29]
	v_cndmask_b32_e64 v29, v35, v41, s[0:1]
	v_cndmask_b32_e64 v28, v34, v40, s[0:1]
	v_mov_b32_e32 v35, s13
	v_add_co_u32_e32 v34, vcc, s12, v24
	v_addc_co_u32_e32 v35, vcc, v25, v35, vcc
	global_store_dwordx2 v[34:35], v[28:29], off
	s_or_b64 exec, exec, s[2:3]
	v_cmp_gt_u64_e32 vcc, s[6:7], v[42:43]
	s_and_saveexec_b64 s[2:3], vcc
	s_cbranch_execz .LBB60_19
.LBB60_23:                              ;   in Loop: Header=BB60_9 Depth=1
	s_waitcnt vmcnt(0)
	v_div_scale_f64 v[28:29], s[20:21], v[38:39], v[38:39], s[16:17]
	v_rcp_f64_e32 v[34:35], v[28:29]
	v_div_scale_f64 v[40:41], vcc, s[16:17], v[38:39], s[16:17]
	v_fma_f64 v[42:43], -v[28:29], v[34:35], 1.0
	v_fmac_f64_e32 v[34:35], v[34:35], v[42:43]
	v_fma_f64 v[42:43], -v[28:29], v[34:35], 1.0
	v_fmac_f64_e32 v[34:35], v[34:35], v[42:43]
	v_mul_f64 v[42:43], v[40:41], v[34:35]
	v_fma_f64 v[28:29], -v[28:29], v[42:43], v[40:41]
	v_div_fmas_f64 v[28:29], v[28:29], v[34:35], v[42:43]
	v_div_fixup_f64 v[28:29], v[28:29], v[38:39], s[16:17]
	v_add_f64 v[34:35], v[32:33], v[28:29]
	v_fmac_f64_e32 v[32:33], s[14:15], v[28:29]
	v_cndmask_b32_e64 v29, v33, v35, s[0:1]
	v_cndmask_b32_e64 v28, v32, v34, s[0:1]
	v_mov_b32_e32 v33, s13
	v_add_co_u32_e32 v32, vcc, s12, v18
	v_addc_co_u32_e32 v33, vcc, v19, v33, vcc
	global_store_dwordx2 v[32:33], v[28:29], off
	s_or_b64 exec, exec, s[2:3]
	v_cmp_gt_u64_e32 vcc, s[6:7], v[36:37]
	s_and_saveexec_b64 s[2:3], vcc
	s_cbranch_execz .LBB60_8
.LBB60_24:                              ;   in Loop: Header=BB60_9 Depth=1
	s_waitcnt vmcnt(0)
	v_div_scale_f64 v[28:29], s[20:21], v[26:27], v[26:27], s[16:17]
	v_rcp_f64_e32 v[32:33], v[28:29]
	v_div_scale_f64 v[34:35], vcc, s[16:17], v[26:27], s[16:17]
	v_fma_f64 v[36:37], -v[28:29], v[32:33], 1.0
	v_fmac_f64_e32 v[32:33], v[32:33], v[36:37]
	v_fma_f64 v[36:37], -v[28:29], v[32:33], 1.0
	v_fmac_f64_e32 v[32:33], v[32:33], v[36:37]
	v_mul_f64 v[36:37], v[34:35], v[32:33]
	v_fma_f64 v[28:29], -v[28:29], v[36:37], v[34:35]
	v_div_fmas_f64 v[28:29], v[28:29], v[32:33], v[36:37]
	v_div_fixup_f64 v[26:27], v[28:29], v[26:27], s[16:17]
	v_add_f64 v[28:29], v[30:31], v[26:27]
	v_fmac_f64_e32 v[30:31], s[14:15], v[26:27]
	v_cndmask_b32_e64 v27, v31, v29, s[0:1]
	v_cndmask_b32_e64 v26, v30, v28, s[0:1]
	v_mov_b32_e32 v29, s13
	v_add_co_u32_e32 v28, vcc, s12, v12
	v_addc_co_u32_e32 v29, vcc, v13, v29, vcc
	global_store_dwordx2 v[28:29], v[26:27], off
	s_branch .LBB60_8
.LBB60_25:
	s_endpgm
	.section	.rodata,"a",@progbits
	.p2align	6, 0x0
	.amdhsa_kernel _ZN2at6native12_GLOBAL__N_125multi_tensor_apply_kernelINS1_18TensorListMetadataILi4EEENS1_32PointwiseOpScalar0dTensorFunctorIdLi4ELi2ELi3EEEJSt7dividesIdEdEEEvT_T0_DpT1_
		.amdhsa_group_segment_fixed_size 0
		.amdhsa_private_segment_fixed_size 0
		.amdhsa_kernarg_size 3320
		.amdhsa_user_sgpr_count 6
		.amdhsa_user_sgpr_private_segment_buffer 1
		.amdhsa_user_sgpr_dispatch_ptr 0
		.amdhsa_user_sgpr_queue_ptr 0
		.amdhsa_user_sgpr_kernarg_segment_ptr 1
		.amdhsa_user_sgpr_dispatch_id 0
		.amdhsa_user_sgpr_flat_scratch_init 0
		.amdhsa_user_sgpr_kernarg_preload_length 0
		.amdhsa_user_sgpr_kernarg_preload_offset 0
		.amdhsa_user_sgpr_private_segment_size 0
		.amdhsa_uses_dynamic_stack 0
		.amdhsa_system_sgpr_private_segment_wavefront_offset 0
		.amdhsa_system_sgpr_workgroup_id_x 1
		.amdhsa_system_sgpr_workgroup_id_y 0
		.amdhsa_system_sgpr_workgroup_id_z 0
		.amdhsa_system_sgpr_workgroup_info 0
		.amdhsa_system_vgpr_workitem_id 0
		.amdhsa_next_free_vgpr 56
		.amdhsa_next_free_sgpr 41
		.amdhsa_accum_offset 56
		.amdhsa_reserve_vcc 1
		.amdhsa_reserve_flat_scratch 0
		.amdhsa_float_round_mode_32 0
		.amdhsa_float_round_mode_16_64 0
		.amdhsa_float_denorm_mode_32 3
		.amdhsa_float_denorm_mode_16_64 3
		.amdhsa_dx10_clamp 1
		.amdhsa_ieee_mode 1
		.amdhsa_fp16_overflow 0
		.amdhsa_tg_split 0
		.amdhsa_exception_fp_ieee_invalid_op 0
		.amdhsa_exception_fp_denorm_src 0
		.amdhsa_exception_fp_ieee_div_zero 0
		.amdhsa_exception_fp_ieee_overflow 0
		.amdhsa_exception_fp_ieee_underflow 0
		.amdhsa_exception_fp_ieee_inexact 0
		.amdhsa_exception_int_div_zero 0
	.end_amdhsa_kernel
	.section	.text._ZN2at6native12_GLOBAL__N_125multi_tensor_apply_kernelINS1_18TensorListMetadataILi4EEENS1_32PointwiseOpScalar0dTensorFunctorIdLi4ELi2ELi3EEEJSt7dividesIdEdEEEvT_T0_DpT1_,"axG",@progbits,_ZN2at6native12_GLOBAL__N_125multi_tensor_apply_kernelINS1_18TensorListMetadataILi4EEENS1_32PointwiseOpScalar0dTensorFunctorIdLi4ELi2ELi3EEEJSt7dividesIdEdEEEvT_T0_DpT1_,comdat
.Lfunc_end60:
	.size	_ZN2at6native12_GLOBAL__N_125multi_tensor_apply_kernelINS1_18TensorListMetadataILi4EEENS1_32PointwiseOpScalar0dTensorFunctorIdLi4ELi2ELi3EEEJSt7dividesIdEdEEEvT_T0_DpT1_, .Lfunc_end60-_ZN2at6native12_GLOBAL__N_125multi_tensor_apply_kernelINS1_18TensorListMetadataILi4EEENS1_32PointwiseOpScalar0dTensorFunctorIdLi4ELi2ELi3EEEJSt7dividesIdEdEEEvT_T0_DpT1_
                                        ; -- End function
	.section	.AMDGPU.csdata,"",@progbits
; Kernel info:
; codeLenInByte = 2424
; NumSgprs: 45
; NumVgprs: 56
; NumAgprs: 0
; TotalNumVgprs: 56
; ScratchSize: 0
; MemoryBound: 0
; FloatMode: 240
; IeeeMode: 1
; LDSByteSize: 0 bytes/workgroup (compile time only)
; SGPRBlocks: 5
; VGPRBlocks: 6
; NumSGPRsForWavesPerEU: 45
; NumVGPRsForWavesPerEU: 56
; AccumOffset: 56
; Occupancy: 8
; WaveLimiterHint : 0
; COMPUTE_PGM_RSRC2:SCRATCH_EN: 0
; COMPUTE_PGM_RSRC2:USER_SGPR: 6
; COMPUTE_PGM_RSRC2:TRAP_HANDLER: 0
; COMPUTE_PGM_RSRC2:TGID_X_EN: 1
; COMPUTE_PGM_RSRC2:TGID_Y_EN: 0
; COMPUTE_PGM_RSRC2:TGID_Z_EN: 0
; COMPUTE_PGM_RSRC2:TIDIG_COMP_CNT: 0
; COMPUTE_PGM_RSRC3_GFX90A:ACCUM_OFFSET: 13
; COMPUTE_PGM_RSRC3_GFX90A:TG_SPLIT: 0
	.section	.text._ZN2at6native12_GLOBAL__N_125multi_tensor_apply_kernelINS1_18TensorListMetadataILi4EEENS1_32PointwiseOpScalar0dTensorFunctorIfLi4ELi2ELi3EEEJSt7dividesIfEfEEEvT_T0_DpT1_,"axG",@progbits,_ZN2at6native12_GLOBAL__N_125multi_tensor_apply_kernelINS1_18TensorListMetadataILi4EEENS1_32PointwiseOpScalar0dTensorFunctorIfLi4ELi2ELi3EEEJSt7dividesIfEfEEEvT_T0_DpT1_,comdat
	.globl	_ZN2at6native12_GLOBAL__N_125multi_tensor_apply_kernelINS1_18TensorListMetadataILi4EEENS1_32PointwiseOpScalar0dTensorFunctorIfLi4ELi2ELi3EEEJSt7dividesIfEfEEEvT_T0_DpT1_ ; -- Begin function _ZN2at6native12_GLOBAL__N_125multi_tensor_apply_kernelINS1_18TensorListMetadataILi4EEENS1_32PointwiseOpScalar0dTensorFunctorIfLi4ELi2ELi3EEEJSt7dividesIfEfEEEvT_T0_DpT1_
	.p2align	8
	.type	_ZN2at6native12_GLOBAL__N_125multi_tensor_apply_kernelINS1_18TensorListMetadataILi4EEENS1_32PointwiseOpScalar0dTensorFunctorIfLi4ELi2ELi3EEEJSt7dividesIfEfEEEvT_T0_DpT1_,@function
_ZN2at6native12_GLOBAL__N_125multi_tensor_apply_kernelINS1_18TensorListMetadataILi4EEENS1_32PointwiseOpScalar0dTensorFunctorIfLi4ELi2ELi3EEEJSt7dividesIfEfEEEvT_T0_DpT1_: ; @_ZN2at6native12_GLOBAL__N_125multi_tensor_apply_kernelINS1_18TensorListMetadataILi4EEENS1_32PointwiseOpScalar0dTensorFunctorIfLi4ELi2ELi3EEEJSt7dividesIfEfEEEvT_T0_DpT1_
; %bb.0:
	v_mov_b32_e32 v1, s6
	global_load_ubyte v1, v1, s[4:5] offset:1440
	s_add_u32 s0, s4, s6
	s_mul_hi_u32 s1, s6, 3
	s_mul_i32 s6, s6, 3
	s_addc_u32 s2, s5, 0
	s_add_u32 s0, s0, s6
	s_addc_u32 s1, s2, s1
	s_load_dword s0, s[0:1], 0x6e0
	s_mov_b32 s3, 0
	s_mov_b32 s7, s3
	;; [unrolled: 1-line block ×3, first 2 shown]
	s_waitcnt lgkmcnt(0)
	s_ashr_i32 s1, s0, 31
	s_lshl_b64 s[10:11], s[0:1], 18
	s_waitcnt vmcnt(0)
	v_readfirstlane_b32 s2, v1
	s_lshl_b32 s2, s2, 3
	s_load_dwordx2 s[18:19], s[4:5], s2 offset:0x0
	s_load_dwordx2 s[14:15], s[4:5], s2 offset:0x120
	s_load_dword s12, s[4:5], 0xbec
	s_load_dwordx2 s[22:23], s[4:5], s2 offset:0x480
	s_load_dwordx2 s[20:21], s[4:5], s2 offset:0x240
	;; [unrolled: 1-line block ×3, first 2 shown]
	s_waitcnt lgkmcnt(0)
	s_add_u32 s6, s14, s10
	s_and_b32 s2, s18, 15
	s_and_b32 s6, s6, 15
	s_cmp_lg_u64 s[6:7], 0
	s_cselect_b64 s[6:7], -1, 0
	s_add_u32 s8, s20, s10
	s_or_b32 s8, s16, s8
	s_and_b32 s8, s8, 15
	s_cmp_lg_u32 s8, 0
	s_load_dword s28, s[14:15], 0x0
	s_cselect_b64 s[14:15], -1, 0
	s_lshl_b64 s[0:1], s[0:1], 16
	s_or_b64 s[6:7], s[14:15], s[6:7]
	s_sub_u32 s14, s22, s0
	s_subb_u32 s15, s23, s1
	s_and_b32 s8, s22, 3
	s_or_b64 s[0:1], s[2:3], s[8:9]
	s_cmp_lg_u64 s[0:1], 0
	s_cselect_b64 s[0:1], -1, 0
	s_or_b64 s[0:1], s[6:7], s[0:1]
	s_andn2_b64 vcc, exec, s[0:1]
	s_mov_b64 s[0:1], -1
	s_cbranch_vccz .LBB61_5
; %bb.1:
	v_mov_b32_e32 v3, 0
	v_lshlrev_b32_e32 v2, 2, v0
	v_cmp_gt_i64_e32 vcc, s[14:15], v[2:3]
	s_and_saveexec_b64 s[22:23], vcc
	s_cbranch_execz .LBB61_4
; %bb.2:
	s_load_dword s2, s[4:5], 0xbfc
	v_lshlrev_b32_e32 v1, 4, v0
	v_mov_b32_e32 v5, s11
	v_add_co_u32_e32 v4, vcc, s10, v1
	s_waitcnt lgkmcnt(0)
	s_and_b32 s2, s2, 0xffff
	s_lshl_b32 s30, s2, 2
	s_add_u32 s31, s18, 8
	s_addc_u32 s6, s19, 0
	s_lshl_b32 s33, s2, 4
	s_add_u32 s34, s20, 8
	s_addc_u32 s7, s21, 0
	v_cmp_eq_f32_e64 s[0:1], s12, 1.0
	s_mov_b32 s29, s28
	s_mov_b32 s13, s12
	v_add_lshl_u32 v2, v0, s2, 2
	v_addc_co_u32_e32 v1, vcc, 0, v5, vcc
	s_mov_b64 s[24:25], 0
	v_mov_b32_e32 v5, s6
	v_mov_b32_e32 v6, s7
	;; [unrolled: 1-line block ×3, first 2 shown]
	s_mov_b64 s[26:27], 0xffff
	v_mov_b32_e32 v8, s3
	v_mov_b32_e32 v9, s3
.LBB61_3:                               ; =>This Inner Loop Header: Depth=1
	v_add_co_u32_e32 v10, vcc, s34, v4
	v_addc_co_u32_e32 v11, vcc, v6, v1, vcc
	global_load_dwordx4 v[10:13], v[10:11], off offset:-8
	v_add_co_u32_e32 v14, vcc, s31, v4
	v_addc_co_u32_e32 v15, vcc, v5, v1, vcc
	global_load_dwordx4 v[14:17], v[14:15], off offset:-8
	v_add_co_u32_e32 v18, vcc, s16, v4
	v_addc_co_u32_e32 v19, vcc, v7, v1, vcc
	v_cmp_le_i64_e32 vcc, s[14:15], v[2:3]
	v_cmp_lt_u64_e64 s[2:3], s[26:27], v[2:3]
	s_or_b64 s[2:3], vcc, s[2:3]
	v_add_co_u32_e64 v2, s[6:7], s30, v2
	s_and_b64 s[2:3], exec, s[2:3]
	v_addc_co_u32_e64 v3, s[6:7], v3, v8, s[6:7]
	s_or_b64 s[24:25], s[2:3], s[24:25]
	v_add_co_u32_e64 v4, s[6:7], s33, v4
	v_addc_co_u32_e64 v1, s[6:7], v1, v9, s[6:7]
	s_waitcnt vmcnt(1)
	v_div_scale_f32 v20, s[2:3], v11, v11, s29
	v_div_scale_f32 v22, s[2:3], v10, v10, s28
	v_rcp_f32_e32 v28, v20
	v_div_scale_f32 v24, s[6:7], v13, v13, s29
	v_rcp_f32_e32 v29, v22
	;; [unrolled: 2-line block ×3, first 2 shown]
	v_rcp_f32_e32 v31, v26
	v_fma_f32 v32, -v20, v28, 1.0
	v_div_scale_f32 v21, vcc, s29, v11, s29
	v_fma_f32 v33, -v22, v29, 1.0
	v_fmac_f32_e32 v28, v32, v28
	v_div_scale_f32 v23, s[2:3], s28, v10, s28
	v_fma_f32 v34, -v24, v30, 1.0
	v_fmac_f32_e32 v29, v33, v29
	v_mul_f32_e32 v32, v21, v28
	v_div_scale_f32 v25, s[6:7], s29, v13, s29
	v_fma_f32 v35, -v26, v31, 1.0
	v_fmac_f32_e32 v30, v34, v30
	v_mul_f32_e32 v33, v23, v29
	v_fma_f32 v36, -v20, v32, v21
	v_div_scale_f32 v27, s[8:9], s28, v12, s28
	v_fmac_f32_e32 v31, v35, v31
	v_mul_f32_e32 v34, v25, v30
	v_fma_f32 v37, -v22, v33, v23
	v_fmac_f32_e32 v32, v36, v28
	v_mul_f32_e32 v35, v27, v31
	v_fma_f32 v38, -v24, v34, v25
	v_fmac_f32_e32 v33, v37, v29
	v_fma_f32 v20, -v20, v32, v21
	v_fma_f32 v39, -v26, v35, v27
	v_fmac_f32_e32 v34, v38, v30
	v_fma_f32 v21, -v22, v33, v23
	v_div_fmas_f32 v20, v20, v28, v32
	s_mov_b64 vcc, s[2:3]
	v_fmac_f32_e32 v35, v39, v31
	v_fma_f32 v22, -v24, v34, v25
	v_div_fixup_f32 v11, v20, v11, s29
	v_div_fmas_f32 v20, v21, v29, v33
	s_mov_b64 vcc, s[6:7]
	v_fma_f32 v23, -v26, v35, v27
	v_div_fixup_f32 v10, v20, v10, s28
	v_div_fmas_f32 v22, v22, v30, v34
	s_mov_b64 vcc, s[8:9]
	s_waitcnt vmcnt(0)
	v_pk_add_f32 v[20:21], v[14:15], v[10:11]
	v_pk_fma_f32 v[10:11], s[12:13], v[10:11], v[14:15]
	v_div_fmas_f32 v14, v23, v31, v35
	v_div_fixup_f32 v13, v22, v13, s29
	v_div_fixup_f32 v12, v14, v12, s28
	v_pk_add_f32 v[14:15], v[16:17], v[12:13]
	v_pk_fma_f32 v[12:13], s[12:13], v[12:13], v[16:17]
	v_cndmask_b32_e64 v11, v11, v21, s[0:1]
	v_cndmask_b32_e64 v10, v10, v20, s[0:1]
	;; [unrolled: 1-line block ×4, first 2 shown]
	global_store_dwordx4 v[18:19], v[10:13], off
	s_andn2_b64 exec, exec, s[24:25]
	s_cbranch_execnz .LBB61_3
.LBB61_4:
	s_or_b64 exec, exec, s[22:23]
	s_mov_b64 s[0:1], 0
.LBB61_5:
	s_andn2_b64 vcc, exec, s[0:1]
	s_cbranch_vccnz .LBB61_25
; %bb.6:
	v_cmp_lt_i64_e64 s[0:1], s[14:15], 1
	s_and_b64 vcc, exec, s[0:1]
	s_cbranch_vccnz .LBB61_25
; %bb.7:
	s_load_dword s2, s[4:5], 0xbfc
	v_mov_b32_e32 v2, 0x10000
	v_mov_b32_e32 v3, 0
	v_cmp_lt_u64_e32 vcc, s[14:15], v[2:3]
	v_lshlrev_b32_e32 v14, 2, v0
	s_waitcnt lgkmcnt(0)
	s_and_b32 s22, s2, 0xffff
	s_and_b64 s[2:3], vcc, exec
	v_mov_b32_e32 v21, s19
	v_add_co_u32_e32 v2, vcc, s18, v14
	v_addc_co_u32_e32 v3, vcc, 0, v21, vcc
	v_mov_b32_e32 v23, s21
	v_add_co_u32_e32 v4, vcc, s20, v14
	v_mov_b32_e32 v1, 0
	v_addc_co_u32_e32 v5, vcc, 0, v23, vcc
	v_mov_b32_e32 v15, v1
	v_mov_b32_e32 v25, s17
	v_add_co_u32_e32 v6, vcc, s16, v14
	v_addc_co_u32_e32 v7, vcc, 0, v25, vcc
	v_mad_u64_u32 v[12:13], s[2:3], s22, 12, v[14:15]
	v_add_co_u32_e32 v8, vcc, s18, v12
	v_addc_co_u32_e32 v9, vcc, v21, v13, vcc
	v_add_co_u32_e32 v10, vcc, s20, v12
	v_addc_co_u32_e32 v11, vcc, v23, v13, vcc
	v_add_co_u32_e32 v12, vcc, s16, v12
	s_cselect_b32 s7, s15, 0
	s_cselect_b32 s6, s14, 0x10000
	v_addc_co_u32_e32 v13, vcc, v25, v13, vcc
	s_lshl_b32 s2, s22, 3
	v_add_co_u32_e32 v18, vcc, s2, v14
	v_addc_co_u32_e64 v19, s[2:3], 0, 0, vcc
	v_add_co_u32_e32 v14, vcc, s18, v18
	v_addc_co_u32_e32 v15, vcc, v21, v19, vcc
	v_add_co_u32_e32 v16, vcc, s20, v18
	v_addc_co_u32_e32 v17, vcc, v23, v19, vcc
	;; [unrolled: 2-line block ×3, first 2 shown]
	v_add_lshl_u32 v24, v0, s22, 2
	v_add_co_u32_e32 v20, vcc, s18, v24
	v_addc_co_u32_e32 v21, vcc, 0, v21, vcc
	v_add_co_u32_e32 v22, vcc, s20, v24
	s_mov_b32 s13, 0
	v_addc_co_u32_e32 v23, vcc, 0, v23, vcc
	s_lshl_b32 s8, s22, 2
	s_mov_b32 s9, s13
	v_add_co_u32_e32 v24, vcc, s16, v24
	v_cmp_eq_f32_e64 s[0:1], s12, 1.0
	s_mov_b64 s[4:5], 0x10000
	s_lshl_b32 s23, s22, 1
	s_mov_b32 s24, s13
	s_mul_i32 s25, s22, 3
	s_mov_b32 s26, s13
	s_lshl_b32 s19, s22, 4
	s_mov_b32 s27, s13
	v_addc_co_u32_e32 v25, vcc, 0, v25, vcc
	s_mov_b64 s[16:17], s[8:9]
	s_branch .LBB61_9
.LBB61_8:                               ;   in Loop: Header=BB61_9 Depth=1
	s_or_b64 exec, exec, s[2:3]
	v_pk_mov_b32 v[26:27], s[14:15], s[14:15] op_sel:[0,1]
	v_cmp_ge_i64_e32 vcc, s[16:17], v[26:27]
	v_mov_b32_e32 v26, 0xffff
	v_mov_b32_e32 v27, 0
	v_cmp_gt_u64_e64 s[2:3], s[16:17], v[26:27]
	s_or_b64 s[2:3], vcc, s[2:3]
	v_mov_b32_e32 v26, s27
	v_add_co_u32_e32 v2, vcc, s19, v2
	v_addc_co_u32_e32 v3, vcc, v3, v26, vcc
	v_add_co_u32_e32 v4, vcc, s19, v4
	v_addc_co_u32_e32 v5, vcc, v5, v26, vcc
	;; [unrolled: 2-line block ×3, first 2 shown]
	v_mov_b32_e32 v27, s9
	v_add_co_u32_e32 v0, vcc, s8, v0
	v_addc_co_u32_e32 v1, vcc, v1, v27, vcc
	v_add_co_u32_e32 v8, vcc, s19, v8
	v_addc_co_u32_e32 v9, vcc, v9, v26, vcc
	;; [unrolled: 2-line block ×9, first 2 shown]
	v_add_co_u32_e32 v24, vcc, s19, v24
	s_add_u32 s16, s16, s8
	v_addc_co_u32_e32 v25, vcc, v25, v26, vcc
	s_addc_u32 s17, s17, 0
	s_and_b64 vcc, exec, s[2:3]
	s_cbranch_vccnz .LBB61_25
.LBB61_9:                               ; =>This Inner Loop Header: Depth=1
	v_cmp_gt_i64_e32 vcc, s[14:15], v[0:1]
	v_cmp_gt_u64_e64 s[2:3], s[4:5], v[0:1]
	s_and_b64 s[20:21], vcc, s[2:3]
	s_waitcnt vmcnt(0)
	v_mov_b32_e32 v36, 0
	v_mov_b32_e32 v33, 0
	s_and_saveexec_b64 s[2:3], s[20:21]
	s_cbranch_execz .LBB61_11
; %bb.10:                               ;   in Loop: Header=BB61_9 Depth=1
	v_mov_b32_e32 v29, s11
	v_add_co_u32_e32 v26, vcc, s10, v2
	v_addc_co_u32_e32 v27, vcc, v3, v29, vcc
	v_add_co_u32_e32 v28, vcc, s10, v4
	v_addc_co_u32_e32 v29, vcc, v5, v29, vcc
	global_load_dword v33, v[26:27], off
	global_load_dword v36, v[28:29], off
.LBB61_11:                              ;   in Loop: Header=BB61_9 Depth=1
	s_or_b64 exec, exec, s[2:3]
	v_mov_b32_e32 v27, s13
	v_add_co_u32_e32 v26, vcc, s22, v0
	v_addc_co_u32_e32 v27, vcc, v27, v1, vcc
	v_cmp_gt_i64_e32 vcc, s[14:15], v[26:27]
	v_cmp_gt_u64_e64 s[2:3], s[4:5], v[26:27]
	s_and_b64 s[20:21], vcc, s[2:3]
	v_mov_b32_e32 v32, 0
	v_mov_b32_e32 v38, 0
	v_mov_b32_e32 v34, 0
	s_and_saveexec_b64 s[2:3], s[20:21]
	s_cbranch_execz .LBB61_13
; %bb.12:                               ;   in Loop: Header=BB61_9 Depth=1
	v_mov_b32_e32 v31, s11
	v_add_co_u32_e32 v28, vcc, s10, v20
	v_addc_co_u32_e32 v29, vcc, v21, v31, vcc
	v_add_co_u32_e32 v30, vcc, s10, v22
	v_addc_co_u32_e32 v31, vcc, v23, v31, vcc
	global_load_dword v34, v[28:29], off
	global_load_dword v38, v[30:31], off
.LBB61_13:                              ;   in Loop: Header=BB61_9 Depth=1
	s_or_b64 exec, exec, s[2:3]
	v_mov_b32_e32 v29, s24
	v_add_co_u32_e32 v28, vcc, s23, v0
	v_addc_co_u32_e32 v29, vcc, v29, v1, vcc
	v_cmp_gt_i64_e32 vcc, s[14:15], v[28:29]
	v_cmp_gt_u64_e64 s[2:3], s[4:5], v[28:29]
	s_and_b64 s[20:21], vcc, s[2:3]
	v_mov_b32_e32 v35, 0
	s_and_saveexec_b64 s[2:3], s[20:21]
	s_cbranch_execz .LBB61_15
; %bb.14:                               ;   in Loop: Header=BB61_9 Depth=1
	v_mov_b32_e32 v32, s11
	v_add_co_u32_e32 v30, vcc, s10, v14
	v_addc_co_u32_e32 v31, vcc, v15, v32, vcc
	v_add_co_u32_e32 v40, vcc, s10, v16
	v_addc_co_u32_e32 v41, vcc, v17, v32, vcc
	global_load_dword v35, v[30:31], off
	global_load_dword v32, v[40:41], off
.LBB61_15:                              ;   in Loop: Header=BB61_9 Depth=1
	s_or_b64 exec, exec, s[2:3]
	v_mov_b32_e32 v31, s26
	v_add_co_u32_e32 v30, vcc, s25, v0
	v_addc_co_u32_e32 v31, vcc, v31, v1, vcc
	v_cmp_gt_i64_e32 vcc, s[14:15], v[30:31]
	v_cmp_gt_u64_e64 s[2:3], s[4:5], v[30:31]
	s_and_b64 s[20:21], vcc, s[2:3]
	v_mov_b32_e32 v39, 0
	v_mov_b32_e32 v37, 0
	s_and_saveexec_b64 s[2:3], s[20:21]
	s_cbranch_execnz .LBB61_20
; %bb.16:                               ;   in Loop: Header=BB61_9 Depth=1
	s_or_b64 exec, exec, s[2:3]
	v_cmp_gt_u64_e32 vcc, s[6:7], v[0:1]
	s_and_saveexec_b64 s[2:3], vcc
	s_cbranch_execnz .LBB61_21
.LBB61_17:                              ;   in Loop: Header=BB61_9 Depth=1
	s_or_b64 exec, exec, s[2:3]
	v_cmp_gt_u64_e32 vcc, s[6:7], v[26:27]
	s_and_saveexec_b64 s[2:3], vcc
	s_cbranch_execnz .LBB61_22
.LBB61_18:                              ;   in Loop: Header=BB61_9 Depth=1
	s_or_b64 exec, exec, s[2:3]
	v_cmp_gt_u64_e32 vcc, s[6:7], v[28:29]
	s_and_saveexec_b64 s[2:3], vcc
	s_cbranch_execnz .LBB61_23
.LBB61_19:                              ;   in Loop: Header=BB61_9 Depth=1
	s_or_b64 exec, exec, s[2:3]
	v_cmp_gt_u64_e32 vcc, s[6:7], v[30:31]
	s_and_saveexec_b64 s[2:3], vcc
	s_cbranch_execz .LBB61_8
	s_branch .LBB61_24
.LBB61_20:                              ;   in Loop: Header=BB61_9 Depth=1
	v_mov_b32_e32 v37, s11
	v_add_co_u32_e32 v40, vcc, s10, v8
	v_addc_co_u32_e32 v41, vcc, v9, v37, vcc
	v_add_co_u32_e32 v42, vcc, s10, v10
	v_addc_co_u32_e32 v43, vcc, v11, v37, vcc
	global_load_dword v37, v[40:41], off
	global_load_dword v39, v[42:43], off
	s_or_b64 exec, exec, s[2:3]
	v_cmp_gt_u64_e32 vcc, s[6:7], v[0:1]
	s_and_saveexec_b64 s[2:3], vcc
	s_cbranch_execz .LBB61_17
.LBB61_21:                              ;   in Loop: Header=BB61_9 Depth=1
	s_waitcnt vmcnt(0)
	v_div_scale_f32 v40, s[20:21], v36, v36, s28
	v_rcp_f32_e32 v41, v40
	v_div_scale_f32 v42, vcc, s28, v36, s28
	v_fma_f32 v43, -v40, v41, 1.0
	v_fmac_f32_e32 v41, v43, v41
	v_mul_f32_e32 v43, v42, v41
	v_fma_f32 v44, -v40, v43, v42
	v_fmac_f32_e32 v43, v44, v41
	v_fma_f32 v40, -v40, v43, v42
	v_div_fmas_f32 v40, v40, v41, v43
	v_div_fixup_f32 v36, v40, v36, s28
	v_add_f32_e32 v40, v33, v36
	v_fmac_f32_e32 v33, s12, v36
	v_cndmask_b32_e64 v33, v33, v40, s[0:1]
	v_mov_b32_e32 v36, s11
	v_add_co_u32_e32 v40, vcc, s10, v6
	v_addc_co_u32_e32 v41, vcc, v7, v36, vcc
	global_store_dword v[40:41], v33, off
	s_or_b64 exec, exec, s[2:3]
	v_cmp_gt_u64_e32 vcc, s[6:7], v[26:27]
	s_and_saveexec_b64 s[2:3], vcc
	s_cbranch_execz .LBB61_18
.LBB61_22:                              ;   in Loop: Header=BB61_9 Depth=1
	s_waitcnt vmcnt(0)
	v_div_scale_f32 v26, s[20:21], v38, v38, s28
	v_rcp_f32_e32 v27, v26
	v_div_scale_f32 v33, vcc, s28, v38, s28
	v_fma_f32 v36, -v26, v27, 1.0
	v_fmac_f32_e32 v27, v36, v27
	v_mul_f32_e32 v36, v33, v27
	v_fma_f32 v40, -v26, v36, v33
	v_fmac_f32_e32 v36, v40, v27
	v_fma_f32 v26, -v26, v36, v33
	v_div_fmas_f32 v26, v26, v27, v36
	v_div_fixup_f32 v26, v26, v38, s28
	v_add_f32_e32 v27, v34, v26
	v_fmac_f32_e32 v34, s12, v26
	v_cndmask_b32_e64 v33, v34, v27, s[0:1]
	v_mov_b32_e32 v27, s11
	v_add_co_u32_e32 v26, vcc, s10, v24
	v_addc_co_u32_e32 v27, vcc, v25, v27, vcc
	global_store_dword v[26:27], v33, off
	s_or_b64 exec, exec, s[2:3]
	v_cmp_gt_u64_e32 vcc, s[6:7], v[28:29]
	s_and_saveexec_b64 s[2:3], vcc
	s_cbranch_execz .LBB61_19
.LBB61_23:                              ;   in Loop: Header=BB61_9 Depth=1
	s_waitcnt vmcnt(0)
	v_div_scale_f32 v26, s[20:21], v32, v32, s28
	v_rcp_f32_e32 v27, v26
	v_div_scale_f32 v28, vcc, s28, v32, s28
	v_fma_f32 v29, -v26, v27, 1.0
	v_fmac_f32_e32 v27, v29, v27
	v_mul_f32_e32 v29, v28, v27
	v_fma_f32 v33, -v26, v29, v28
	v_fmac_f32_e32 v29, v33, v27
	v_fma_f32 v26, -v26, v29, v28
	v_div_fmas_f32 v26, v26, v27, v29
	v_div_fixup_f32 v26, v26, v32, s28
	v_add_f32_e32 v27, v35, v26
	v_fmac_f32_e32 v35, s12, v26
	v_cndmask_b32_e64 v28, v35, v27, s[0:1]
	v_mov_b32_e32 v27, s11
	v_add_co_u32_e32 v26, vcc, s10, v18
	v_addc_co_u32_e32 v27, vcc, v19, v27, vcc
	global_store_dword v[26:27], v28, off
	s_or_b64 exec, exec, s[2:3]
	v_cmp_gt_u64_e32 vcc, s[6:7], v[30:31]
	s_and_saveexec_b64 s[2:3], vcc
	s_cbranch_execz .LBB61_8
.LBB61_24:                              ;   in Loop: Header=BB61_9 Depth=1
	s_waitcnt vmcnt(0)
	v_div_scale_f32 v26, s[20:21], v39, v39, s28
	v_rcp_f32_e32 v27, v26
	v_div_scale_f32 v28, vcc, s28, v39, s28
	v_fma_f32 v29, -v26, v27, 1.0
	v_fmac_f32_e32 v27, v29, v27
	v_mul_f32_e32 v29, v28, v27
	v_fma_f32 v30, -v26, v29, v28
	v_fmac_f32_e32 v29, v30, v27
	v_fma_f32 v26, -v26, v29, v28
	v_div_fmas_f32 v26, v26, v27, v29
	v_div_fixup_f32 v26, v26, v39, s28
	v_add_f32_e32 v27, v37, v26
	v_fmac_f32_e32 v37, s12, v26
	v_cndmask_b32_e64 v28, v37, v27, s[0:1]
	v_mov_b32_e32 v27, s11
	v_add_co_u32_e32 v26, vcc, s10, v12
	v_addc_co_u32_e32 v27, vcc, v13, v27, vcc
	global_store_dword v[26:27], v28, off
	s_branch .LBB61_8
.LBB61_25:
	s_endpgm
	.section	.rodata,"a",@progbits
	.p2align	6, 0x0
	.amdhsa_kernel _ZN2at6native12_GLOBAL__N_125multi_tensor_apply_kernelINS1_18TensorListMetadataILi4EEENS1_32PointwiseOpScalar0dTensorFunctorIfLi4ELi2ELi3EEEJSt7dividesIfEfEEEvT_T0_DpT1_
		.amdhsa_group_segment_fixed_size 0
		.amdhsa_private_segment_fixed_size 0
		.amdhsa_kernarg_size 3312
		.amdhsa_user_sgpr_count 6
		.amdhsa_user_sgpr_private_segment_buffer 1
		.amdhsa_user_sgpr_dispatch_ptr 0
		.amdhsa_user_sgpr_queue_ptr 0
		.amdhsa_user_sgpr_kernarg_segment_ptr 1
		.amdhsa_user_sgpr_dispatch_id 0
		.amdhsa_user_sgpr_flat_scratch_init 0
		.amdhsa_user_sgpr_kernarg_preload_length 0
		.amdhsa_user_sgpr_kernarg_preload_offset 0
		.amdhsa_user_sgpr_private_segment_size 0
		.amdhsa_uses_dynamic_stack 0
		.amdhsa_system_sgpr_private_segment_wavefront_offset 0
		.amdhsa_system_sgpr_workgroup_id_x 1
		.amdhsa_system_sgpr_workgroup_id_y 0
		.amdhsa_system_sgpr_workgroup_id_z 0
		.amdhsa_system_sgpr_workgroup_info 0
		.amdhsa_system_vgpr_workitem_id 0
		.amdhsa_next_free_vgpr 45
		.amdhsa_next_free_sgpr 35
		.amdhsa_accum_offset 48
		.amdhsa_reserve_vcc 1
		.amdhsa_reserve_flat_scratch 0
		.amdhsa_float_round_mode_32 0
		.amdhsa_float_round_mode_16_64 0
		.amdhsa_float_denorm_mode_32 3
		.amdhsa_float_denorm_mode_16_64 3
		.amdhsa_dx10_clamp 1
		.amdhsa_ieee_mode 1
		.amdhsa_fp16_overflow 0
		.amdhsa_tg_split 0
		.amdhsa_exception_fp_ieee_invalid_op 0
		.amdhsa_exception_fp_denorm_src 0
		.amdhsa_exception_fp_ieee_div_zero 0
		.amdhsa_exception_fp_ieee_overflow 0
		.amdhsa_exception_fp_ieee_underflow 0
		.amdhsa_exception_fp_ieee_inexact 0
		.amdhsa_exception_int_div_zero 0
	.end_amdhsa_kernel
	.section	.text._ZN2at6native12_GLOBAL__N_125multi_tensor_apply_kernelINS1_18TensorListMetadataILi4EEENS1_32PointwiseOpScalar0dTensorFunctorIfLi4ELi2ELi3EEEJSt7dividesIfEfEEEvT_T0_DpT1_,"axG",@progbits,_ZN2at6native12_GLOBAL__N_125multi_tensor_apply_kernelINS1_18TensorListMetadataILi4EEENS1_32PointwiseOpScalar0dTensorFunctorIfLi4ELi2ELi3EEEJSt7dividesIfEfEEEvT_T0_DpT1_,comdat
.Lfunc_end61:
	.size	_ZN2at6native12_GLOBAL__N_125multi_tensor_apply_kernelINS1_18TensorListMetadataILi4EEENS1_32PointwiseOpScalar0dTensorFunctorIfLi4ELi2ELi3EEEJSt7dividesIfEfEEEvT_T0_DpT1_, .Lfunc_end61-_ZN2at6native12_GLOBAL__N_125multi_tensor_apply_kernelINS1_18TensorListMetadataILi4EEENS1_32PointwiseOpScalar0dTensorFunctorIfLi4ELi2ELi3EEEJSt7dividesIfEfEEEvT_T0_DpT1_
                                        ; -- End function
	.section	.AMDGPU.csdata,"",@progbits
; Kernel info:
; codeLenInByte = 2224
; NumSgprs: 39
; NumVgprs: 45
; NumAgprs: 0
; TotalNumVgprs: 45
; ScratchSize: 0
; MemoryBound: 0
; FloatMode: 240
; IeeeMode: 1
; LDSByteSize: 0 bytes/workgroup (compile time only)
; SGPRBlocks: 4
; VGPRBlocks: 5
; NumSGPRsForWavesPerEU: 39
; NumVGPRsForWavesPerEU: 45
; AccumOffset: 48
; Occupancy: 8
; WaveLimiterHint : 0
; COMPUTE_PGM_RSRC2:SCRATCH_EN: 0
; COMPUTE_PGM_RSRC2:USER_SGPR: 6
; COMPUTE_PGM_RSRC2:TRAP_HANDLER: 0
; COMPUTE_PGM_RSRC2:TGID_X_EN: 1
; COMPUTE_PGM_RSRC2:TGID_Y_EN: 0
; COMPUTE_PGM_RSRC2:TGID_Z_EN: 0
; COMPUTE_PGM_RSRC2:TIDIG_COMP_CNT: 0
; COMPUTE_PGM_RSRC3_GFX90A:ACCUM_OFFSET: 11
; COMPUTE_PGM_RSRC3_GFX90A:TG_SPLIT: 0
	.section	.text._ZN2at6native12_GLOBAL__N_125multi_tensor_apply_kernelINS1_18TensorListMetadataILi4EEENS1_32PointwiseOpScalar0dTensorFunctorIN3c107complexIdEELi4ELi2ELi3EEEJSt7dividesIS8_ES8_EEEvT_T0_DpT1_,"axG",@progbits,_ZN2at6native12_GLOBAL__N_125multi_tensor_apply_kernelINS1_18TensorListMetadataILi4EEENS1_32PointwiseOpScalar0dTensorFunctorIN3c107complexIdEELi4ELi2ELi3EEEJSt7dividesIS8_ES8_EEEvT_T0_DpT1_,comdat
	.globl	_ZN2at6native12_GLOBAL__N_125multi_tensor_apply_kernelINS1_18TensorListMetadataILi4EEENS1_32PointwiseOpScalar0dTensorFunctorIN3c107complexIdEELi4ELi2ELi3EEEJSt7dividesIS8_ES8_EEEvT_T0_DpT1_ ; -- Begin function _ZN2at6native12_GLOBAL__N_125multi_tensor_apply_kernelINS1_18TensorListMetadataILi4EEENS1_32PointwiseOpScalar0dTensorFunctorIN3c107complexIdEELi4ELi2ELi3EEEJSt7dividesIS8_ES8_EEEvT_T0_DpT1_
	.p2align	8
	.type	_ZN2at6native12_GLOBAL__N_125multi_tensor_apply_kernelINS1_18TensorListMetadataILi4EEENS1_32PointwiseOpScalar0dTensorFunctorIN3c107complexIdEELi4ELi2ELi3EEEJSt7dividesIS8_ES8_EEEvT_T0_DpT1_,@function
_ZN2at6native12_GLOBAL__N_125multi_tensor_apply_kernelINS1_18TensorListMetadataILi4EEENS1_32PointwiseOpScalar0dTensorFunctorIN3c107complexIdEELi4ELi2ELi3EEEJSt7dividesIS8_ES8_EEEvT_T0_DpT1_: ; @_ZN2at6native12_GLOBAL__N_125multi_tensor_apply_kernelINS1_18TensorListMetadataILi4EEENS1_32PointwiseOpScalar0dTensorFunctorIN3c107complexIdEELi4ELi2ELi3EEEJSt7dividesIS8_ES8_EEEvT_T0_DpT1_
; %bb.0:
	v_mov_b32_e32 v1, s6
	global_load_ubyte v1, v1, s[4:5] offset:1440
	s_add_u32 s0, s4, s6
	s_mul_hi_u32 s1, s6, 3
	s_mul_i32 s6, s6, 3
	s_addc_u32 s2, s5, 0
	s_add_u32 s0, s0, s6
	s_addc_u32 s1, s2, s1
	s_load_dword s0, s[0:1], 0x6e0
	s_mov_b32 s21, 0
	s_mov_b32 s3, s21
	s_waitcnt lgkmcnt(0)
	s_ashr_i32 s1, s0, 31
	s_lshl_b64 s[16:17], s[0:1], 20
	s_waitcnt vmcnt(0)
	v_lshlrev_b32_e32 v1, 3, v1
	v_readfirstlane_b32 s2, v1
	s_load_dwordx2 s[28:29], s[4:5], s2 offset:0x0
	s_load_dwordx2 s[6:7], s[4:5], s2 offset:0x120
	s_load_dwordx4 s[8:11], s[4:5], 0xbf0
	s_load_dwordx2 s[22:23], s[4:5], s2 offset:0x480
	s_load_dwordx2 s[26:27], s[4:5], s2 offset:0x240
	s_load_dwordx2 s[30:31], s[4:5], s2 offset:0x360
	s_waitcnt lgkmcnt(0)
	s_add_u32 s33, s28, s16
	s_addc_u32 s40, s29, s17
	s_add_u32 s2, s6, s16
	s_and_b32 s20, s2, 63
	s_add_u32 s41, s26, s16
	s_addc_u32 s42, s27, s17
	s_add_u32 s43, s30, s16
	s_addc_u32 s44, s31, s17
	s_or_b32 s2, s43, s41
	s_and_b32 s2, s2, 63
	s_cmp_lg_u32 s2, 0
	s_load_dwordx4 s[12:15], s[6:7], 0x0
	s_cselect_b64 s[6:7], -1, 0
	s_lshl_b64 s[0:1], s[0:1], 16
	s_and_b32 s2, s33, 63
	s_cmp_lg_u64 s[20:21], 0
	s_cselect_b64 s[18:19], -1, 0
	s_or_b64 s[6:7], s[6:7], s[18:19]
	s_sub_u32 s18, s22, s0
	s_subb_u32 s19, s23, s1
	s_and_b32 s20, s22, 3
	s_or_b64 s[0:1], s[2:3], s[20:21]
	s_cmp_lg_u64 s[0:1], 0
	s_cselect_b64 s[0:1], -1, 0
	s_or_b64 s[0:1], s[6:7], s[0:1]
	s_andn2_b64 vcc, exec, s[0:1]
	s_mov_b64 s[0:1], -1
	s_cbranch_vccz .LBB62_85
; %bb.1:
	v_mov_b32_e32 v35, 0
	v_lshlrev_b32_e32 v34, 2, v0
	v_cmp_gt_i64_e32 vcc, s[18:19], v[34:35]
	s_and_saveexec_b64 s[22:23], vcc
	s_cbranch_execz .LBB62_84
; %bb.2:
	s_load_dword s6, s[4:5], 0xc0c
	v_cmp_neq_f64_e64 s[0:1], s[8:9], 1.0
	v_cmp_neq_f64_e64 s[2:3], s[10:11], 0
	s_or_b64 s[34:35], s[0:1], s[2:3]
	s_mov_b64 s[24:25], 0
	s_waitcnt lgkmcnt(0)
	s_and_b32 s0, s6, 0xffff
	v_add_lshl_u32 v34, v0, s0, 2
	s_lshl_b32 s20, s0, 2
	v_lshlrev_b32_e32 v36, 6, v0
	s_lshl_b32 s45, s0, 6
	s_mov_b64 s[36:37], 0xffff
	s_branch .LBB62_5
.LBB62_3:                               ;   in Loop: Header=BB62_5 Depth=1
	s_or_b64 exec, exec, s[0:1]
.LBB62_4:                               ;   in Loop: Header=BB62_5 Depth=1
	v_mov_b32_e32 v1, s44
	v_add_co_u32_e32 v18, vcc, s43, v36
	v_addc_co_u32_e32 v19, vcc, 0, v1, vcc
	v_cmp_le_i64_e32 vcc, s[18:19], v[34:35]
	v_cmp_lt_u64_e64 s[0:1], s[36:37], v[34:35]
	s_or_b64 s[0:1], vcc, s[0:1]
	s_add_u32 s33, s33, s45
	s_addc_u32 s40, s40, 0
	s_add_u32 s43, s43, s45
	s_addc_u32 s44, s44, 0
	;; [unrolled: 2-line block ×3, first 2 shown]
	v_mov_b32_e32 v1, s21
	s_and_b64 s[0:1], exec, s[0:1]
	v_add_co_u32_e32 v34, vcc, s20, v34
	v_add_f64 v[8:9], v[8:9], v[40:41]
	v_add_f64 v[6:7], v[6:7], v[38:39]
	s_or_b64 s[24:25], s[0:1], s[24:25]
	v_addc_co_u32_e32 v35, vcc, v35, v1, vcc
	v_add_f64 v[16:17], v[16:17], v[28:29]
	v_add_f64 v[14:15], v[14:15], v[26:27]
	;; [unrolled: 1-line block ×6, first 2 shown]
	global_store_dwordx4 v[18:19], v[6:9], off
	global_store_dwordx4 v[18:19], v[10:13], off offset:16
	global_store_dwordx4 v[18:19], v[14:17], off offset:32
	;; [unrolled: 1-line block ×3, first 2 shown]
	s_andn2_b64 exec, exec, s[24:25]
	s_cbranch_execz .LBB62_84
.LBB62_5:                               ; =>This Inner Loop Header: Depth=1
	v_mov_b32_e32 v1, s42
	v_add_co_u32_e32 v38, vcc, s41, v36
	v_addc_co_u32_e32 v39, vcc, 0, v1, vcc
	v_mov_b32_e32 v1, s40
	v_add_co_u32_e32 v40, vcc, s33, v36
	v_addc_co_u32_e32 v41, vcc, 0, v1, vcc
	global_load_dwordx4 v[26:29], v[38:39], off offset:16
	global_load_dwordx4 v[30:33], v[38:39], off
	global_load_dwordx4 v[2:5], v[40:41], off offset:48
	global_load_dwordx4 v[14:17], v[40:41], off offset:32
	;; [unrolled: 1-line block ×3, first 2 shown]
	global_load_dwordx4 v[6:9], v[40:41], off
	global_load_dwordx4 v[18:21], v[38:39], off offset:48
	global_load_dwordx4 v[22:25], v[38:39], off offset:32
	s_and_b64 vcc, exec, s[34:35]
	s_waitcnt vmcnt(6)
	v_xor_b32_e32 v1, 0x80000000, v31
	v_cmp_gt_f64_e64 s[0:1], 0, v[30:31]
	v_xor_b32_e32 v37, 0x80000000, v33
	v_cndmask_b32_e64 v45, v31, v1, s[0:1]
	v_cmp_gt_f64_e64 s[0:1], 0, v[32:33]
	v_mov_b32_e32 v44, v30
	v_mov_b32_e32 v42, v32
	v_cndmask_b32_e64 v43, v33, v37, s[0:1]
	v_cmp_ge_f64_e64 s[0:1], v[44:45], v[42:43]
	s_cbranch_vccz .LBB62_15
; %bb.6:                                ;   in Loop: Header=BB62_5 Depth=1
                                        ; implicit-def: $vgpr40_vgpr41
                                        ; implicit-def: $vgpr46_vgpr47
	s_and_saveexec_b64 s[2:3], s[0:1]
	s_xor_b64 s[6:7], exec, s[2:3]
	s_cbranch_execz .LBB62_12
; %bb.7:                                ;   in Loop: Header=BB62_5 Depth=1
	v_cmp_neq_f64_e32 vcc, 0, v[30:31]
	v_cmp_neq_f64_e64 s[2:3], 0, v[32:33]
	s_or_b64 s[2:3], vcc, s[2:3]
                                        ; implicit-def: $vgpr40_vgpr41
                                        ; implicit-def: $vgpr46_vgpr47
	s_and_saveexec_b64 s[38:39], s[2:3]
	s_xor_b64 s[2:3], exec, s[38:39]
	s_cbranch_execz .LBB62_9
; %bb.8:                                ;   in Loop: Header=BB62_5 Depth=1
	v_div_scale_f64 v[38:39], s[38:39], v[30:31], v[30:31], v[32:33]
	v_rcp_f64_e32 v[40:41], v[38:39]
	v_div_scale_f64 v[46:47], vcc, v[32:33], v[30:31], v[32:33]
	v_fma_f64 v[48:49], -v[38:39], v[40:41], 1.0
	v_fmac_f64_e32 v[40:41], v[40:41], v[48:49]
	v_fma_f64 v[48:49], -v[38:39], v[40:41], 1.0
	v_fmac_f64_e32 v[40:41], v[40:41], v[48:49]
	v_mul_f64 v[48:49], v[46:47], v[40:41]
	v_fma_f64 v[38:39], -v[38:39], v[48:49], v[46:47]
	v_div_fmas_f64 v[38:39], v[38:39], v[40:41], v[48:49]
	v_div_fixup_f64 v[38:39], v[38:39], v[30:31], v[32:33]
	v_fma_f64 v[40:41], v[32:33], v[38:39], v[30:31]
	v_div_scale_f64 v[46:47], s[38:39], v[40:41], v[40:41], 1.0
	v_rcp_f64_e32 v[48:49], v[46:47]
	v_fma_f64 v[50:51], -v[46:47], v[48:49], 1.0
	v_fmac_f64_e32 v[48:49], v[48:49], v[50:51]
	v_fma_f64 v[50:51], -v[46:47], v[48:49], 1.0
	v_fmac_f64_e32 v[48:49], v[48:49], v[50:51]
	v_div_scale_f64 v[50:51], vcc, 1.0, v[40:41], 1.0
	v_mul_f64 v[52:53], v[50:51], v[48:49]
	v_fma_f64 v[46:47], -v[46:47], v[52:53], v[50:51]
	s_nop 1
	v_div_fmas_f64 v[46:47], v[46:47], v[48:49], v[52:53]
	v_div_fixup_f64 v[40:41], v[46:47], v[40:41], 1.0
	v_pk_mov_b32 v[46:47], s[12:13], s[12:13] op_sel:[0,1]
	v_pk_mov_b32 v[48:49], s[14:15], s[14:15] op_sel:[0,1]
	v_fma_f64 v[46:47], s[14:15], v[38:39], v[46:47]
	v_fma_f64 v[38:39], -s[12:13], v[38:39], v[48:49]
	v_mul_f64 v[46:47], v[46:47], v[40:41]
	v_mul_f64 v[40:41], v[38:39], v[40:41]
.LBB62_9:                               ;   in Loop: Header=BB62_5 Depth=1
	s_andn2_saveexec_b64 s[2:3], s[2:3]
	s_cbranch_execz .LBB62_11
; %bb.10:                               ;   in Loop: Header=BB62_5 Depth=1
	v_div_scale_f64 v[38:39], s[38:39], v[44:45], v[44:45], s[12:13]
	v_rcp_f64_e32 v[40:41], v[38:39]
	v_div_scale_f64 v[50:51], s[38:39], v[42:43], v[42:43], s[14:15]
	v_div_scale_f64 v[46:47], vcc, s[12:13], v[44:45], s[12:13]
	v_fma_f64 v[48:49], -v[38:39], v[40:41], 1.0
	v_fmac_f64_e32 v[40:41], v[40:41], v[48:49]
	v_fma_f64 v[48:49], -v[38:39], v[40:41], 1.0
	v_fmac_f64_e32 v[40:41], v[40:41], v[48:49]
	v_rcp_f64_e32 v[52:53], v[50:51]
	v_mul_f64 v[48:49], v[46:47], v[40:41]
	v_fma_f64 v[38:39], -v[38:39], v[48:49], v[46:47]
	v_div_fmas_f64 v[38:39], v[38:39], v[40:41], v[48:49]
	v_div_fixup_f64 v[46:47], v[38:39], v[44:45], s[12:13]
	v_fma_f64 v[38:39], -v[50:51], v[52:53], 1.0
	v_fmac_f64_e32 v[52:53], v[52:53], v[38:39]
	v_fma_f64 v[38:39], -v[50:51], v[52:53], 1.0
	v_fmac_f64_e32 v[52:53], v[52:53], v[38:39]
	v_div_scale_f64 v[38:39], vcc, s[14:15], v[42:43], s[14:15]
	v_mul_f64 v[40:41], v[38:39], v[52:53]
	v_fma_f64 v[38:39], -v[50:51], v[40:41], v[38:39]
	s_nop 1
	v_div_fmas_f64 v[38:39], v[38:39], v[52:53], v[40:41]
	v_div_fixup_f64 v[40:41], v[38:39], v[42:43], s[14:15]
.LBB62_11:                              ;   in Loop: Header=BB62_5 Depth=1
	s_or_b64 exec, exec, s[2:3]
.LBB62_12:                              ;   in Loop: Header=BB62_5 Depth=1
	s_andn2_saveexec_b64 s[2:3], s[6:7]
	s_cbranch_execz .LBB62_14
; %bb.13:                               ;   in Loop: Header=BB62_5 Depth=1
	v_div_scale_f64 v[38:39], s[6:7], v[32:33], v[32:33], v[30:31]
	v_rcp_f64_e32 v[40:41], v[38:39]
	v_div_scale_f64 v[46:47], vcc, v[30:31], v[32:33], v[30:31]
	v_fma_f64 v[48:49], -v[38:39], v[40:41], 1.0
	v_fmac_f64_e32 v[40:41], v[40:41], v[48:49]
	v_fma_f64 v[48:49], -v[38:39], v[40:41], 1.0
	v_fmac_f64_e32 v[40:41], v[40:41], v[48:49]
	v_mul_f64 v[48:49], v[46:47], v[40:41]
	v_fma_f64 v[38:39], -v[38:39], v[48:49], v[46:47]
	v_div_fmas_f64 v[38:39], v[38:39], v[40:41], v[48:49]
	v_div_fixup_f64 v[38:39], v[38:39], v[32:33], v[30:31]
	v_fma_f64 v[40:41], v[30:31], v[38:39], v[32:33]
	v_div_scale_f64 v[46:47], s[6:7], v[40:41], v[40:41], 1.0
	v_rcp_f64_e32 v[48:49], v[46:47]
	v_fma_f64 v[50:51], -v[46:47], v[48:49], 1.0
	v_fmac_f64_e32 v[48:49], v[48:49], v[50:51]
	v_fma_f64 v[50:51], -v[46:47], v[48:49], 1.0
	v_fmac_f64_e32 v[48:49], v[48:49], v[50:51]
	v_div_scale_f64 v[50:51], vcc, 1.0, v[40:41], 1.0
	v_mul_f64 v[52:53], v[50:51], v[48:49]
	v_fma_f64 v[46:47], -v[46:47], v[52:53], v[50:51]
	s_nop 1
	v_div_fmas_f64 v[46:47], v[46:47], v[48:49], v[52:53]
	v_div_fixup_f64 v[40:41], v[46:47], v[40:41], 1.0
	v_pk_mov_b32 v[46:47], s[14:15], s[14:15] op_sel:[0,1]
	v_pk_mov_b32 v[48:49], s[12:13], s[12:13] op_sel:[0,1]
	v_fma_f64 v[46:47], s[12:13], v[38:39], v[46:47]
	v_fma_f64 v[38:39], s[14:15], v[38:39], -v[48:49]
	v_mul_f64 v[46:47], v[46:47], v[40:41]
	v_mul_f64 v[40:41], v[38:39], v[40:41]
.LBB62_14:                              ;   in Loop: Header=BB62_5 Depth=1
	s_or_b64 exec, exec, s[2:3]
	v_mul_f64 v[38:39], s[10:11], v[40:41]
	v_mul_f64 v[40:41], s[8:9], v[40:41]
	v_fma_f64 v[38:39], s[8:9], v[46:47], -v[38:39]
	v_fmac_f64_e32 v[40:41], s[10:11], v[46:47]
	s_branch .LBB62_25
.LBB62_15:                              ;   in Loop: Header=BB62_5 Depth=1
                                        ; implicit-def: $vgpr40_vgpr41
                                        ; implicit-def: $vgpr38_vgpr39
	s_cbranch_execz .LBB62_25
; %bb.16:                               ;   in Loop: Header=BB62_5 Depth=1
                                        ; implicit-def: $vgpr40_vgpr41
                                        ; implicit-def: $vgpr38_vgpr39
	s_and_saveexec_b64 s[2:3], s[0:1]
	s_xor_b64 s[2:3], exec, s[2:3]
	s_cbranch_execz .LBB62_22
; %bb.17:                               ;   in Loop: Header=BB62_5 Depth=1
	v_cmp_neq_f64_e32 vcc, 0, v[30:31]
	v_cmp_neq_f64_e64 s[0:1], 0, v[32:33]
	s_or_b64 s[0:1], vcc, s[0:1]
                                        ; implicit-def: $vgpr40_vgpr41
                                        ; implicit-def: $vgpr38_vgpr39
	s_and_saveexec_b64 s[6:7], s[0:1]
	s_xor_b64 s[0:1], exec, s[6:7]
	s_cbranch_execz .LBB62_19
; %bb.18:                               ;   in Loop: Header=BB62_5 Depth=1
	v_div_scale_f64 v[38:39], s[6:7], v[30:31], v[30:31], v[32:33]
	v_rcp_f64_e32 v[40:41], v[38:39]
	v_div_scale_f64 v[42:43], vcc, v[32:33], v[30:31], v[32:33]
	v_fma_f64 v[44:45], -v[38:39], v[40:41], 1.0
	v_fmac_f64_e32 v[40:41], v[40:41], v[44:45]
	v_fma_f64 v[44:45], -v[38:39], v[40:41], 1.0
	v_fmac_f64_e32 v[40:41], v[40:41], v[44:45]
	v_mul_f64 v[44:45], v[42:43], v[40:41]
	v_fma_f64 v[38:39], -v[38:39], v[44:45], v[42:43]
	v_div_fmas_f64 v[38:39], v[38:39], v[40:41], v[44:45]
	v_div_fixup_f64 v[40:41], v[38:39], v[30:31], v[32:33]
	v_fmac_f64_e32 v[30:31], v[32:33], v[40:41]
	v_div_scale_f64 v[32:33], s[6:7], v[30:31], v[30:31], 1.0
	v_rcp_f64_e32 v[38:39], v[32:33]
	v_fma_f64 v[42:43], -v[32:33], v[38:39], 1.0
	v_fmac_f64_e32 v[38:39], v[38:39], v[42:43]
	v_fma_f64 v[42:43], -v[32:33], v[38:39], 1.0
	v_fmac_f64_e32 v[38:39], v[38:39], v[42:43]
	v_div_scale_f64 v[42:43], vcc, 1.0, v[30:31], 1.0
	v_mul_f64 v[44:45], v[42:43], v[38:39]
	v_fma_f64 v[32:33], -v[32:33], v[44:45], v[42:43]
                                        ; implicit-def: $vgpr42_vgpr43
	s_nop 1
	v_div_fmas_f64 v[32:33], v[32:33], v[38:39], v[44:45]
	v_div_fixup_f64 v[30:31], v[32:33], v[30:31], 1.0
	v_pk_mov_b32 v[32:33], s[12:13], s[12:13] op_sel:[0,1]
	v_fma_f64 v[32:33], s[14:15], v[40:41], v[32:33]
	v_mul_f64 v[38:39], v[32:33], v[30:31]
	v_pk_mov_b32 v[32:33], s[14:15], s[14:15] op_sel:[0,1]
	v_fma_f64 v[32:33], -s[12:13], v[40:41], v[32:33]
	v_mul_f64 v[40:41], v[32:33], v[30:31]
                                        ; implicit-def: $vgpr44_vgpr45
.LBB62_19:                              ;   in Loop: Header=BB62_5 Depth=1
	s_andn2_saveexec_b64 s[0:1], s[0:1]
	s_cbranch_execz .LBB62_21
; %bb.20:                               ;   in Loop: Header=BB62_5 Depth=1
	v_div_scale_f64 v[30:31], s[6:7], v[44:45], v[44:45], s[12:13]
	v_rcp_f64_e32 v[32:33], v[30:31]
	v_div_scale_f64 v[46:47], s[6:7], v[42:43], v[42:43], s[14:15]
	v_div_scale_f64 v[38:39], vcc, s[12:13], v[44:45], s[12:13]
	v_fma_f64 v[40:41], -v[30:31], v[32:33], 1.0
	v_fmac_f64_e32 v[32:33], v[32:33], v[40:41]
	v_fma_f64 v[40:41], -v[30:31], v[32:33], 1.0
	v_fmac_f64_e32 v[32:33], v[32:33], v[40:41]
	v_rcp_f64_e32 v[48:49], v[46:47]
	v_mul_f64 v[40:41], v[38:39], v[32:33]
	v_fma_f64 v[30:31], -v[30:31], v[40:41], v[38:39]
	v_div_fmas_f64 v[30:31], v[30:31], v[32:33], v[40:41]
	v_div_fixup_f64 v[38:39], v[30:31], v[44:45], s[12:13]
	v_fma_f64 v[30:31], -v[46:47], v[48:49], 1.0
	v_fmac_f64_e32 v[48:49], v[48:49], v[30:31]
	v_fma_f64 v[30:31], -v[46:47], v[48:49], 1.0
	v_fmac_f64_e32 v[48:49], v[48:49], v[30:31]
	v_div_scale_f64 v[30:31], vcc, s[14:15], v[42:43], s[14:15]
	v_mul_f64 v[32:33], v[30:31], v[48:49]
	v_fma_f64 v[30:31], -v[46:47], v[32:33], v[30:31]
	s_nop 1
	v_div_fmas_f64 v[30:31], v[30:31], v[48:49], v[32:33]
	v_div_fixup_f64 v[40:41], v[30:31], v[42:43], s[14:15]
.LBB62_21:                              ;   in Loop: Header=BB62_5 Depth=1
	s_or_b64 exec, exec, s[0:1]
                                        ; implicit-def: $vgpr32_vgpr33
.LBB62_22:                              ;   in Loop: Header=BB62_5 Depth=1
	s_andn2_saveexec_b64 s[0:1], s[2:3]
	s_cbranch_execz .LBB62_24
; %bb.23:                               ;   in Loop: Header=BB62_5 Depth=1
	v_div_scale_f64 v[38:39], s[2:3], v[32:33], v[32:33], v[30:31]
	v_rcp_f64_e32 v[40:41], v[38:39]
	v_div_scale_f64 v[42:43], vcc, v[30:31], v[32:33], v[30:31]
	v_fma_f64 v[44:45], -v[38:39], v[40:41], 1.0
	v_fmac_f64_e32 v[40:41], v[40:41], v[44:45]
	v_fma_f64 v[44:45], -v[38:39], v[40:41], 1.0
	v_fmac_f64_e32 v[40:41], v[40:41], v[44:45]
	v_mul_f64 v[44:45], v[42:43], v[40:41]
	v_fma_f64 v[38:39], -v[38:39], v[44:45], v[42:43]
	v_div_fmas_f64 v[38:39], v[38:39], v[40:41], v[44:45]
	v_div_fixup_f64 v[40:41], v[38:39], v[32:33], v[30:31]
	v_fmac_f64_e32 v[32:33], v[30:31], v[40:41]
	v_div_scale_f64 v[30:31], s[2:3], v[32:33], v[32:33], 1.0
	v_rcp_f64_e32 v[38:39], v[30:31]
	v_fma_f64 v[42:43], -v[30:31], v[38:39], 1.0
	v_fmac_f64_e32 v[38:39], v[38:39], v[42:43]
	v_fma_f64 v[42:43], -v[30:31], v[38:39], 1.0
	v_fmac_f64_e32 v[38:39], v[38:39], v[42:43]
	v_div_scale_f64 v[42:43], vcc, 1.0, v[32:33], 1.0
	v_mul_f64 v[44:45], v[42:43], v[38:39]
	v_fma_f64 v[30:31], -v[30:31], v[44:45], v[42:43]
	s_nop 1
	v_div_fmas_f64 v[30:31], v[30:31], v[38:39], v[44:45]
	v_div_fixup_f64 v[30:31], v[30:31], v[32:33], 1.0
	v_pk_mov_b32 v[32:33], s[14:15], s[14:15] op_sel:[0,1]
	v_fma_f64 v[32:33], s[12:13], v[40:41], v[32:33]
	v_mul_f64 v[38:39], v[32:33], v[30:31]
	v_pk_mov_b32 v[32:33], s[12:13], s[12:13] op_sel:[0,1]
	v_fma_f64 v[32:33], s[14:15], v[40:41], -v[32:33]
	v_mul_f64 v[40:41], v[32:33], v[30:31]
.LBB62_24:                              ;   in Loop: Header=BB62_5 Depth=1
	s_or_b64 exec, exec, s[0:1]
.LBB62_25:                              ;   in Loop: Header=BB62_5 Depth=1
	v_xor_b32_e32 v1, 0x80000000, v27
	v_cmp_gt_f64_e32 vcc, 0, v[26:27]
	v_cndmask_b32_e32 v45, v27, v1, vcc
	v_xor_b32_e32 v1, 0x80000000, v29
	v_cmp_gt_f64_e32 vcc, 0, v[28:29]
	v_mov_b32_e32 v44, v26
	v_cndmask_b32_e32 v43, v29, v1, vcc
	v_mov_b32_e32 v42, v28
	v_cndmask_b32_e64 v1, 0, 1, s[34:35]
	v_cmp_ne_u32_e64 s[0:1], 1, v1
	s_andn2_b64 vcc, exec, s[34:35]
	v_cmp_ge_f64_e64 s[2:3], v[44:45], v[42:43]
	s_cbranch_vccnz .LBB62_35
; %bb.26:                               ;   in Loop: Header=BB62_5 Depth=1
                                        ; implicit-def: $vgpr32_vgpr33
                                        ; implicit-def: $vgpr46_vgpr47
	s_and_saveexec_b64 s[6:7], s[2:3]
	s_xor_b64 s[38:39], exec, s[6:7]
	s_cbranch_execz .LBB62_32
; %bb.27:                               ;   in Loop: Header=BB62_5 Depth=1
	v_cmp_neq_f64_e32 vcc, 0, v[26:27]
	v_cmp_neq_f64_e64 s[6:7], 0, v[28:29]
	s_or_b64 s[6:7], vcc, s[6:7]
                                        ; implicit-def: $vgpr32_vgpr33
                                        ; implicit-def: $vgpr46_vgpr47
	s_and_saveexec_b64 s[46:47], s[6:7]
	s_xor_b64 s[6:7], exec, s[46:47]
	s_cbranch_execz .LBB62_29
; %bb.28:                               ;   in Loop: Header=BB62_5 Depth=1
	v_div_scale_f64 v[30:31], s[46:47], v[26:27], v[26:27], v[28:29]
	v_rcp_f64_e32 v[32:33], v[30:31]
	v_div_scale_f64 v[46:47], vcc, v[28:29], v[26:27], v[28:29]
	v_fma_f64 v[48:49], -v[30:31], v[32:33], 1.0
	v_fmac_f64_e32 v[32:33], v[32:33], v[48:49]
	v_fma_f64 v[48:49], -v[30:31], v[32:33], 1.0
	v_fmac_f64_e32 v[32:33], v[32:33], v[48:49]
	v_mul_f64 v[48:49], v[46:47], v[32:33]
	v_fma_f64 v[30:31], -v[30:31], v[48:49], v[46:47]
	v_div_fmas_f64 v[30:31], v[30:31], v[32:33], v[48:49]
	v_div_fixup_f64 v[30:31], v[30:31], v[26:27], v[28:29]
	v_fma_f64 v[32:33], v[28:29], v[30:31], v[26:27]
	v_div_scale_f64 v[46:47], s[46:47], v[32:33], v[32:33], 1.0
	v_rcp_f64_e32 v[48:49], v[46:47]
	v_fma_f64 v[50:51], -v[46:47], v[48:49], 1.0
	v_fmac_f64_e32 v[48:49], v[48:49], v[50:51]
	v_fma_f64 v[50:51], -v[46:47], v[48:49], 1.0
	v_fmac_f64_e32 v[48:49], v[48:49], v[50:51]
	v_div_scale_f64 v[50:51], vcc, 1.0, v[32:33], 1.0
	v_mul_f64 v[52:53], v[50:51], v[48:49]
	v_fma_f64 v[46:47], -v[46:47], v[52:53], v[50:51]
	s_nop 1
	v_div_fmas_f64 v[46:47], v[46:47], v[48:49], v[52:53]
	v_div_fixup_f64 v[32:33], v[46:47], v[32:33], 1.0
	v_pk_mov_b32 v[46:47], s[12:13], s[12:13] op_sel:[0,1]
	v_pk_mov_b32 v[48:49], s[14:15], s[14:15] op_sel:[0,1]
	v_fma_f64 v[46:47], s[14:15], v[30:31], v[46:47]
	v_fma_f64 v[30:31], -s[12:13], v[30:31], v[48:49]
	v_mul_f64 v[46:47], v[46:47], v[32:33]
	v_mul_f64 v[32:33], v[30:31], v[32:33]
.LBB62_29:                              ;   in Loop: Header=BB62_5 Depth=1
	s_andn2_saveexec_b64 s[6:7], s[6:7]
	s_cbranch_execz .LBB62_31
; %bb.30:                               ;   in Loop: Header=BB62_5 Depth=1
	v_div_scale_f64 v[30:31], s[46:47], v[44:45], v[44:45], s[12:13]
	v_rcp_f64_e32 v[32:33], v[30:31]
	v_div_scale_f64 v[50:51], s[46:47], v[42:43], v[42:43], s[14:15]
	v_div_scale_f64 v[46:47], vcc, s[12:13], v[44:45], s[12:13]
	v_fma_f64 v[48:49], -v[30:31], v[32:33], 1.0
	v_fmac_f64_e32 v[32:33], v[32:33], v[48:49]
	v_fma_f64 v[48:49], -v[30:31], v[32:33], 1.0
	v_fmac_f64_e32 v[32:33], v[32:33], v[48:49]
	v_rcp_f64_e32 v[52:53], v[50:51]
	v_mul_f64 v[48:49], v[46:47], v[32:33]
	v_fma_f64 v[30:31], -v[30:31], v[48:49], v[46:47]
	v_div_fmas_f64 v[30:31], v[30:31], v[32:33], v[48:49]
	v_div_fixup_f64 v[46:47], v[30:31], v[44:45], s[12:13]
	v_fma_f64 v[30:31], -v[50:51], v[52:53], 1.0
	v_fmac_f64_e32 v[52:53], v[52:53], v[30:31]
	v_fma_f64 v[30:31], -v[50:51], v[52:53], 1.0
	v_fmac_f64_e32 v[52:53], v[52:53], v[30:31]
	v_div_scale_f64 v[30:31], vcc, s[14:15], v[42:43], s[14:15]
	v_mul_f64 v[32:33], v[30:31], v[52:53]
	v_fma_f64 v[30:31], -v[50:51], v[32:33], v[30:31]
	s_nop 1
	v_div_fmas_f64 v[30:31], v[30:31], v[52:53], v[32:33]
	v_div_fixup_f64 v[32:33], v[30:31], v[42:43], s[14:15]
.LBB62_31:                              ;   in Loop: Header=BB62_5 Depth=1
	s_or_b64 exec, exec, s[6:7]
.LBB62_32:                              ;   in Loop: Header=BB62_5 Depth=1
	s_andn2_saveexec_b64 s[6:7], s[38:39]
	s_cbranch_execz .LBB62_34
; %bb.33:                               ;   in Loop: Header=BB62_5 Depth=1
	v_div_scale_f64 v[30:31], s[38:39], v[28:29], v[28:29], v[26:27]
	v_rcp_f64_e32 v[32:33], v[30:31]
	v_div_scale_f64 v[46:47], vcc, v[26:27], v[28:29], v[26:27]
	v_fma_f64 v[48:49], -v[30:31], v[32:33], 1.0
	v_fmac_f64_e32 v[32:33], v[32:33], v[48:49]
	v_fma_f64 v[48:49], -v[30:31], v[32:33], 1.0
	v_fmac_f64_e32 v[32:33], v[32:33], v[48:49]
	v_mul_f64 v[48:49], v[46:47], v[32:33]
	v_fma_f64 v[30:31], -v[30:31], v[48:49], v[46:47]
	v_div_fmas_f64 v[30:31], v[30:31], v[32:33], v[48:49]
	v_div_fixup_f64 v[30:31], v[30:31], v[28:29], v[26:27]
	v_fma_f64 v[32:33], v[26:27], v[30:31], v[28:29]
	v_div_scale_f64 v[46:47], s[38:39], v[32:33], v[32:33], 1.0
	v_rcp_f64_e32 v[48:49], v[46:47]
	v_fma_f64 v[50:51], -v[46:47], v[48:49], 1.0
	v_fmac_f64_e32 v[48:49], v[48:49], v[50:51]
	v_fma_f64 v[50:51], -v[46:47], v[48:49], 1.0
	v_fmac_f64_e32 v[48:49], v[48:49], v[50:51]
	v_div_scale_f64 v[50:51], vcc, 1.0, v[32:33], 1.0
	v_mul_f64 v[52:53], v[50:51], v[48:49]
	v_fma_f64 v[46:47], -v[46:47], v[52:53], v[50:51]
	s_nop 1
	v_div_fmas_f64 v[46:47], v[46:47], v[48:49], v[52:53]
	v_div_fixup_f64 v[32:33], v[46:47], v[32:33], 1.0
	v_pk_mov_b32 v[46:47], s[14:15], s[14:15] op_sel:[0,1]
	v_pk_mov_b32 v[48:49], s[12:13], s[12:13] op_sel:[0,1]
	v_fma_f64 v[46:47], s[12:13], v[30:31], v[46:47]
	v_fma_f64 v[30:31], s[14:15], v[30:31], -v[48:49]
	v_mul_f64 v[46:47], v[46:47], v[32:33]
	v_mul_f64 v[32:33], v[30:31], v[32:33]
.LBB62_34:                              ;   in Loop: Header=BB62_5 Depth=1
	s_or_b64 exec, exec, s[6:7]
	v_mul_f64 v[30:31], s[10:11], v[32:33]
	v_mul_f64 v[32:33], s[8:9], v[32:33]
	v_fma_f64 v[30:31], s[8:9], v[46:47], -v[30:31]
	v_fmac_f64_e32 v[32:33], s[10:11], v[46:47]
	s_branch .LBB62_45
.LBB62_35:                              ;   in Loop: Header=BB62_5 Depth=1
                                        ; implicit-def: $vgpr32_vgpr33
                                        ; implicit-def: $vgpr30_vgpr31
	s_cbranch_execz .LBB62_45
; %bb.36:                               ;   in Loop: Header=BB62_5 Depth=1
                                        ; implicit-def: $vgpr32_vgpr33
                                        ; implicit-def: $vgpr30_vgpr31
	s_and_saveexec_b64 s[6:7], s[2:3]
	s_xor_b64 s[6:7], exec, s[6:7]
	s_cbranch_execz .LBB62_42
; %bb.37:                               ;   in Loop: Header=BB62_5 Depth=1
	v_cmp_neq_f64_e32 vcc, 0, v[26:27]
	v_cmp_neq_f64_e64 s[2:3], 0, v[28:29]
	s_or_b64 s[2:3], vcc, s[2:3]
                                        ; implicit-def: $vgpr32_vgpr33
                                        ; implicit-def: $vgpr30_vgpr31
	s_and_saveexec_b64 s[38:39], s[2:3]
	s_xor_b64 s[2:3], exec, s[38:39]
	s_cbranch_execz .LBB62_39
; %bb.38:                               ;   in Loop: Header=BB62_5 Depth=1
	v_div_scale_f64 v[30:31], s[38:39], v[26:27], v[26:27], v[28:29]
	v_rcp_f64_e32 v[32:33], v[30:31]
	v_div_scale_f64 v[42:43], vcc, v[28:29], v[26:27], v[28:29]
	v_fma_f64 v[44:45], -v[30:31], v[32:33], 1.0
	v_fmac_f64_e32 v[32:33], v[32:33], v[44:45]
	v_fma_f64 v[44:45], -v[30:31], v[32:33], 1.0
	v_fmac_f64_e32 v[32:33], v[32:33], v[44:45]
	v_mul_f64 v[44:45], v[42:43], v[32:33]
	v_fma_f64 v[30:31], -v[30:31], v[44:45], v[42:43]
	v_div_fmas_f64 v[30:31], v[30:31], v[32:33], v[44:45]
	v_div_fixup_f64 v[32:33], v[30:31], v[26:27], v[28:29]
	v_fmac_f64_e32 v[26:27], v[28:29], v[32:33]
	v_div_scale_f64 v[28:29], s[38:39], v[26:27], v[26:27], 1.0
	v_rcp_f64_e32 v[30:31], v[28:29]
	v_fma_f64 v[42:43], -v[28:29], v[30:31], 1.0
	v_fmac_f64_e32 v[30:31], v[30:31], v[42:43]
	v_fma_f64 v[42:43], -v[28:29], v[30:31], 1.0
	v_fmac_f64_e32 v[30:31], v[30:31], v[42:43]
	v_div_scale_f64 v[42:43], vcc, 1.0, v[26:27], 1.0
	v_mul_f64 v[44:45], v[42:43], v[30:31]
	v_fma_f64 v[28:29], -v[28:29], v[44:45], v[42:43]
                                        ; implicit-def: $vgpr42_vgpr43
	s_nop 1
	v_div_fmas_f64 v[28:29], v[28:29], v[30:31], v[44:45]
	v_div_fixup_f64 v[26:27], v[28:29], v[26:27], 1.0
	v_pk_mov_b32 v[28:29], s[12:13], s[12:13] op_sel:[0,1]
	v_fma_f64 v[28:29], s[14:15], v[32:33], v[28:29]
	v_mul_f64 v[30:31], v[28:29], v[26:27]
	v_pk_mov_b32 v[28:29], s[14:15], s[14:15] op_sel:[0,1]
	v_fma_f64 v[28:29], -s[12:13], v[32:33], v[28:29]
	v_mul_f64 v[32:33], v[28:29], v[26:27]
                                        ; implicit-def: $vgpr44_vgpr45
.LBB62_39:                              ;   in Loop: Header=BB62_5 Depth=1
	s_andn2_saveexec_b64 s[2:3], s[2:3]
	s_cbranch_execz .LBB62_41
; %bb.40:                               ;   in Loop: Header=BB62_5 Depth=1
	v_div_scale_f64 v[26:27], s[38:39], v[44:45], v[44:45], s[12:13]
	v_rcp_f64_e32 v[28:29], v[26:27]
	v_div_scale_f64 v[46:47], s[38:39], v[42:43], v[42:43], s[14:15]
	v_div_scale_f64 v[30:31], vcc, s[12:13], v[44:45], s[12:13]
	v_fma_f64 v[32:33], -v[26:27], v[28:29], 1.0
	v_fmac_f64_e32 v[28:29], v[28:29], v[32:33]
	v_fma_f64 v[32:33], -v[26:27], v[28:29], 1.0
	v_fmac_f64_e32 v[28:29], v[28:29], v[32:33]
	v_rcp_f64_e32 v[48:49], v[46:47]
	v_mul_f64 v[32:33], v[30:31], v[28:29]
	v_fma_f64 v[26:27], -v[26:27], v[32:33], v[30:31]
	v_div_fmas_f64 v[26:27], v[26:27], v[28:29], v[32:33]
	v_div_fixup_f64 v[30:31], v[26:27], v[44:45], s[12:13]
	v_fma_f64 v[26:27], -v[46:47], v[48:49], 1.0
	v_fmac_f64_e32 v[48:49], v[48:49], v[26:27]
	v_fma_f64 v[26:27], -v[46:47], v[48:49], 1.0
	v_fmac_f64_e32 v[48:49], v[48:49], v[26:27]
	v_div_scale_f64 v[26:27], vcc, s[14:15], v[42:43], s[14:15]
	v_mul_f64 v[28:29], v[26:27], v[48:49]
	v_fma_f64 v[26:27], -v[46:47], v[28:29], v[26:27]
	s_nop 1
	v_div_fmas_f64 v[26:27], v[26:27], v[48:49], v[28:29]
	v_div_fixup_f64 v[32:33], v[26:27], v[42:43], s[14:15]
.LBB62_41:                              ;   in Loop: Header=BB62_5 Depth=1
	s_or_b64 exec, exec, s[2:3]
                                        ; implicit-def: $vgpr28_vgpr29
.LBB62_42:                              ;   in Loop: Header=BB62_5 Depth=1
	s_andn2_saveexec_b64 s[2:3], s[6:7]
	s_cbranch_execz .LBB62_44
; %bb.43:                               ;   in Loop: Header=BB62_5 Depth=1
	v_div_scale_f64 v[30:31], s[6:7], v[28:29], v[28:29], v[26:27]
	v_rcp_f64_e32 v[32:33], v[30:31]
	v_div_scale_f64 v[42:43], vcc, v[26:27], v[28:29], v[26:27]
	v_fma_f64 v[44:45], -v[30:31], v[32:33], 1.0
	v_fmac_f64_e32 v[32:33], v[32:33], v[44:45]
	v_fma_f64 v[44:45], -v[30:31], v[32:33], 1.0
	v_fmac_f64_e32 v[32:33], v[32:33], v[44:45]
	v_mul_f64 v[44:45], v[42:43], v[32:33]
	v_fma_f64 v[30:31], -v[30:31], v[44:45], v[42:43]
	v_div_fmas_f64 v[30:31], v[30:31], v[32:33], v[44:45]
	v_div_fixup_f64 v[32:33], v[30:31], v[28:29], v[26:27]
	v_fmac_f64_e32 v[28:29], v[26:27], v[32:33]
	v_div_scale_f64 v[26:27], s[6:7], v[28:29], v[28:29], 1.0
	v_rcp_f64_e32 v[30:31], v[26:27]
	v_fma_f64 v[42:43], -v[26:27], v[30:31], 1.0
	v_fmac_f64_e32 v[30:31], v[30:31], v[42:43]
	v_fma_f64 v[42:43], -v[26:27], v[30:31], 1.0
	v_fmac_f64_e32 v[30:31], v[30:31], v[42:43]
	v_div_scale_f64 v[42:43], vcc, 1.0, v[28:29], 1.0
	v_mul_f64 v[44:45], v[42:43], v[30:31]
	v_fma_f64 v[26:27], -v[26:27], v[44:45], v[42:43]
	s_nop 1
	v_div_fmas_f64 v[26:27], v[26:27], v[30:31], v[44:45]
	v_div_fixup_f64 v[26:27], v[26:27], v[28:29], 1.0
	v_pk_mov_b32 v[28:29], s[14:15], s[14:15] op_sel:[0,1]
	v_fma_f64 v[28:29], s[12:13], v[32:33], v[28:29]
	v_mul_f64 v[30:31], v[28:29], v[26:27]
	v_pk_mov_b32 v[28:29], s[12:13], s[12:13] op_sel:[0,1]
	v_fma_f64 v[28:29], s[14:15], v[32:33], -v[28:29]
	v_mul_f64 v[32:33], v[28:29], v[26:27]
.LBB62_44:                              ;   in Loop: Header=BB62_5 Depth=1
	s_or_b64 exec, exec, s[2:3]
.LBB62_45:                              ;   in Loop: Header=BB62_5 Depth=1
	s_waitcnt vmcnt(0)
	v_xor_b32_e32 v1, 0x80000000, v23
	v_cmp_gt_f64_e32 vcc, 0, v[22:23]
	v_cndmask_b32_e32 v45, v23, v1, vcc
	v_xor_b32_e32 v1, 0x80000000, v25
	v_cmp_gt_f64_e32 vcc, 0, v[24:25]
	v_mov_b32_e32 v44, v22
	v_cndmask_b32_e32 v43, v25, v1, vcc
	v_mov_b32_e32 v42, v24
	s_and_b64 vcc, exec, s[0:1]
	v_cmp_ge_f64_e64 s[2:3], v[44:45], v[42:43]
	s_cbranch_vccnz .LBB62_55
; %bb.46:                               ;   in Loop: Header=BB62_5 Depth=1
                                        ; implicit-def: $vgpr28_vgpr29
                                        ; implicit-def: $vgpr46_vgpr47
	s_and_saveexec_b64 s[6:7], s[2:3]
	s_xor_b64 s[38:39], exec, s[6:7]
	s_cbranch_execz .LBB62_52
; %bb.47:                               ;   in Loop: Header=BB62_5 Depth=1
	v_cmp_neq_f64_e32 vcc, 0, v[22:23]
	v_cmp_neq_f64_e64 s[6:7], 0, v[24:25]
	s_or_b64 s[6:7], vcc, s[6:7]
                                        ; implicit-def: $vgpr28_vgpr29
                                        ; implicit-def: $vgpr46_vgpr47
	s_and_saveexec_b64 s[46:47], s[6:7]
	s_xor_b64 s[6:7], exec, s[46:47]
	s_cbranch_execz .LBB62_49
; %bb.48:                               ;   in Loop: Header=BB62_5 Depth=1
	v_div_scale_f64 v[26:27], s[46:47], v[22:23], v[22:23], v[24:25]
	v_rcp_f64_e32 v[28:29], v[26:27]
	v_div_scale_f64 v[46:47], vcc, v[24:25], v[22:23], v[24:25]
	v_fma_f64 v[48:49], -v[26:27], v[28:29], 1.0
	v_fmac_f64_e32 v[28:29], v[28:29], v[48:49]
	v_fma_f64 v[48:49], -v[26:27], v[28:29], 1.0
	v_fmac_f64_e32 v[28:29], v[28:29], v[48:49]
	v_mul_f64 v[48:49], v[46:47], v[28:29]
	v_fma_f64 v[26:27], -v[26:27], v[48:49], v[46:47]
	v_div_fmas_f64 v[26:27], v[26:27], v[28:29], v[48:49]
	v_div_fixup_f64 v[26:27], v[26:27], v[22:23], v[24:25]
	v_fma_f64 v[28:29], v[24:25], v[26:27], v[22:23]
	v_div_scale_f64 v[46:47], s[46:47], v[28:29], v[28:29], 1.0
	v_rcp_f64_e32 v[48:49], v[46:47]
	v_fma_f64 v[50:51], -v[46:47], v[48:49], 1.0
	v_fmac_f64_e32 v[48:49], v[48:49], v[50:51]
	v_fma_f64 v[50:51], -v[46:47], v[48:49], 1.0
	v_fmac_f64_e32 v[48:49], v[48:49], v[50:51]
	v_div_scale_f64 v[50:51], vcc, 1.0, v[28:29], 1.0
	v_mul_f64 v[52:53], v[50:51], v[48:49]
	v_fma_f64 v[46:47], -v[46:47], v[52:53], v[50:51]
	s_nop 1
	v_div_fmas_f64 v[46:47], v[46:47], v[48:49], v[52:53]
	v_div_fixup_f64 v[28:29], v[46:47], v[28:29], 1.0
	v_pk_mov_b32 v[46:47], s[12:13], s[12:13] op_sel:[0,1]
	v_pk_mov_b32 v[48:49], s[14:15], s[14:15] op_sel:[0,1]
	v_fma_f64 v[46:47], s[14:15], v[26:27], v[46:47]
	v_fma_f64 v[26:27], -s[12:13], v[26:27], v[48:49]
	v_mul_f64 v[46:47], v[46:47], v[28:29]
	v_mul_f64 v[28:29], v[26:27], v[28:29]
.LBB62_49:                              ;   in Loop: Header=BB62_5 Depth=1
	s_andn2_saveexec_b64 s[6:7], s[6:7]
	s_cbranch_execz .LBB62_51
; %bb.50:                               ;   in Loop: Header=BB62_5 Depth=1
	v_div_scale_f64 v[26:27], s[46:47], v[44:45], v[44:45], s[12:13]
	v_rcp_f64_e32 v[28:29], v[26:27]
	v_div_scale_f64 v[50:51], s[46:47], v[42:43], v[42:43], s[14:15]
	v_div_scale_f64 v[46:47], vcc, s[12:13], v[44:45], s[12:13]
	v_fma_f64 v[48:49], -v[26:27], v[28:29], 1.0
	v_fmac_f64_e32 v[28:29], v[28:29], v[48:49]
	v_fma_f64 v[48:49], -v[26:27], v[28:29], 1.0
	v_fmac_f64_e32 v[28:29], v[28:29], v[48:49]
	v_rcp_f64_e32 v[52:53], v[50:51]
	v_mul_f64 v[48:49], v[46:47], v[28:29]
	v_fma_f64 v[26:27], -v[26:27], v[48:49], v[46:47]
	v_div_fmas_f64 v[26:27], v[26:27], v[28:29], v[48:49]
	v_div_fixup_f64 v[46:47], v[26:27], v[44:45], s[12:13]
	v_fma_f64 v[26:27], -v[50:51], v[52:53], 1.0
	v_fmac_f64_e32 v[52:53], v[52:53], v[26:27]
	v_fma_f64 v[26:27], -v[50:51], v[52:53], 1.0
	v_fmac_f64_e32 v[52:53], v[52:53], v[26:27]
	v_div_scale_f64 v[26:27], vcc, s[14:15], v[42:43], s[14:15]
	v_mul_f64 v[28:29], v[26:27], v[52:53]
	v_fma_f64 v[26:27], -v[50:51], v[28:29], v[26:27]
	s_nop 1
	v_div_fmas_f64 v[26:27], v[26:27], v[52:53], v[28:29]
	v_div_fixup_f64 v[28:29], v[26:27], v[42:43], s[14:15]
.LBB62_51:                              ;   in Loop: Header=BB62_5 Depth=1
	s_or_b64 exec, exec, s[6:7]
.LBB62_52:                              ;   in Loop: Header=BB62_5 Depth=1
	s_andn2_saveexec_b64 s[6:7], s[38:39]
	s_cbranch_execz .LBB62_54
; %bb.53:                               ;   in Loop: Header=BB62_5 Depth=1
	v_div_scale_f64 v[26:27], s[38:39], v[24:25], v[24:25], v[22:23]
	v_rcp_f64_e32 v[28:29], v[26:27]
	v_div_scale_f64 v[46:47], vcc, v[22:23], v[24:25], v[22:23]
	v_fma_f64 v[48:49], -v[26:27], v[28:29], 1.0
	v_fmac_f64_e32 v[28:29], v[28:29], v[48:49]
	v_fma_f64 v[48:49], -v[26:27], v[28:29], 1.0
	v_fmac_f64_e32 v[28:29], v[28:29], v[48:49]
	v_mul_f64 v[48:49], v[46:47], v[28:29]
	v_fma_f64 v[26:27], -v[26:27], v[48:49], v[46:47]
	v_div_fmas_f64 v[26:27], v[26:27], v[28:29], v[48:49]
	v_div_fixup_f64 v[26:27], v[26:27], v[24:25], v[22:23]
	v_fma_f64 v[28:29], v[22:23], v[26:27], v[24:25]
	v_div_scale_f64 v[46:47], s[38:39], v[28:29], v[28:29], 1.0
	v_rcp_f64_e32 v[48:49], v[46:47]
	v_fma_f64 v[50:51], -v[46:47], v[48:49], 1.0
	v_fmac_f64_e32 v[48:49], v[48:49], v[50:51]
	v_fma_f64 v[50:51], -v[46:47], v[48:49], 1.0
	v_fmac_f64_e32 v[48:49], v[48:49], v[50:51]
	v_div_scale_f64 v[50:51], vcc, 1.0, v[28:29], 1.0
	v_mul_f64 v[52:53], v[50:51], v[48:49]
	v_fma_f64 v[46:47], -v[46:47], v[52:53], v[50:51]
	s_nop 1
	v_div_fmas_f64 v[46:47], v[46:47], v[48:49], v[52:53]
	v_div_fixup_f64 v[28:29], v[46:47], v[28:29], 1.0
	v_pk_mov_b32 v[46:47], s[14:15], s[14:15] op_sel:[0,1]
	v_pk_mov_b32 v[48:49], s[12:13], s[12:13] op_sel:[0,1]
	v_fma_f64 v[46:47], s[12:13], v[26:27], v[46:47]
	v_fma_f64 v[26:27], s[14:15], v[26:27], -v[48:49]
	v_mul_f64 v[46:47], v[46:47], v[28:29]
	v_mul_f64 v[28:29], v[26:27], v[28:29]
.LBB62_54:                              ;   in Loop: Header=BB62_5 Depth=1
	s_or_b64 exec, exec, s[6:7]
	v_mul_f64 v[26:27], s[10:11], v[28:29]
	v_mul_f64 v[28:29], s[8:9], v[28:29]
	v_fma_f64 v[26:27], s[8:9], v[46:47], -v[26:27]
	v_fmac_f64_e32 v[28:29], s[10:11], v[46:47]
	s_branch .LBB62_65
.LBB62_55:                              ;   in Loop: Header=BB62_5 Depth=1
                                        ; implicit-def: $vgpr28_vgpr29
                                        ; implicit-def: $vgpr26_vgpr27
	s_cbranch_execz .LBB62_65
; %bb.56:                               ;   in Loop: Header=BB62_5 Depth=1
                                        ; implicit-def: $vgpr28_vgpr29
                                        ; implicit-def: $vgpr26_vgpr27
	s_and_saveexec_b64 s[6:7], s[2:3]
	s_xor_b64 s[6:7], exec, s[6:7]
	s_cbranch_execz .LBB62_62
; %bb.57:                               ;   in Loop: Header=BB62_5 Depth=1
	v_cmp_neq_f64_e32 vcc, 0, v[22:23]
	v_cmp_neq_f64_e64 s[2:3], 0, v[24:25]
	s_or_b64 s[2:3], vcc, s[2:3]
                                        ; implicit-def: $vgpr28_vgpr29
                                        ; implicit-def: $vgpr26_vgpr27
	s_and_saveexec_b64 s[38:39], s[2:3]
	s_xor_b64 s[2:3], exec, s[38:39]
	s_cbranch_execz .LBB62_59
; %bb.58:                               ;   in Loop: Header=BB62_5 Depth=1
	v_div_scale_f64 v[26:27], s[38:39], v[22:23], v[22:23], v[24:25]
	v_rcp_f64_e32 v[28:29], v[26:27]
	v_div_scale_f64 v[42:43], vcc, v[24:25], v[22:23], v[24:25]
	v_fma_f64 v[44:45], -v[26:27], v[28:29], 1.0
	v_fmac_f64_e32 v[28:29], v[28:29], v[44:45]
	v_fma_f64 v[44:45], -v[26:27], v[28:29], 1.0
	v_fmac_f64_e32 v[28:29], v[28:29], v[44:45]
	v_mul_f64 v[44:45], v[42:43], v[28:29]
	v_fma_f64 v[26:27], -v[26:27], v[44:45], v[42:43]
	v_div_fmas_f64 v[26:27], v[26:27], v[28:29], v[44:45]
	v_div_fixup_f64 v[28:29], v[26:27], v[22:23], v[24:25]
	v_fmac_f64_e32 v[22:23], v[24:25], v[28:29]
	v_div_scale_f64 v[24:25], s[38:39], v[22:23], v[22:23], 1.0
	v_rcp_f64_e32 v[26:27], v[24:25]
	v_fma_f64 v[42:43], -v[24:25], v[26:27], 1.0
	v_fmac_f64_e32 v[26:27], v[26:27], v[42:43]
	v_fma_f64 v[42:43], -v[24:25], v[26:27], 1.0
	v_fmac_f64_e32 v[26:27], v[26:27], v[42:43]
	v_div_scale_f64 v[42:43], vcc, 1.0, v[22:23], 1.0
	v_mul_f64 v[44:45], v[42:43], v[26:27]
	v_fma_f64 v[24:25], -v[24:25], v[44:45], v[42:43]
                                        ; implicit-def: $vgpr42_vgpr43
	s_nop 1
	v_div_fmas_f64 v[24:25], v[24:25], v[26:27], v[44:45]
	v_div_fixup_f64 v[22:23], v[24:25], v[22:23], 1.0
	v_pk_mov_b32 v[24:25], s[12:13], s[12:13] op_sel:[0,1]
	v_fma_f64 v[24:25], s[14:15], v[28:29], v[24:25]
	v_mul_f64 v[26:27], v[24:25], v[22:23]
	v_pk_mov_b32 v[24:25], s[14:15], s[14:15] op_sel:[0,1]
	v_fma_f64 v[24:25], -s[12:13], v[28:29], v[24:25]
	v_mul_f64 v[28:29], v[24:25], v[22:23]
                                        ; implicit-def: $vgpr44_vgpr45
.LBB62_59:                              ;   in Loop: Header=BB62_5 Depth=1
	s_andn2_saveexec_b64 s[2:3], s[2:3]
	s_cbranch_execz .LBB62_61
; %bb.60:                               ;   in Loop: Header=BB62_5 Depth=1
	v_div_scale_f64 v[22:23], s[38:39], v[44:45], v[44:45], s[12:13]
	v_rcp_f64_e32 v[24:25], v[22:23]
	v_div_scale_f64 v[46:47], s[38:39], v[42:43], v[42:43], s[14:15]
	v_div_scale_f64 v[26:27], vcc, s[12:13], v[44:45], s[12:13]
	v_fma_f64 v[28:29], -v[22:23], v[24:25], 1.0
	v_fmac_f64_e32 v[24:25], v[24:25], v[28:29]
	v_fma_f64 v[28:29], -v[22:23], v[24:25], 1.0
	v_fmac_f64_e32 v[24:25], v[24:25], v[28:29]
	v_rcp_f64_e32 v[48:49], v[46:47]
	v_mul_f64 v[28:29], v[26:27], v[24:25]
	v_fma_f64 v[22:23], -v[22:23], v[28:29], v[26:27]
	v_div_fmas_f64 v[22:23], v[22:23], v[24:25], v[28:29]
	v_div_fixup_f64 v[26:27], v[22:23], v[44:45], s[12:13]
	v_fma_f64 v[22:23], -v[46:47], v[48:49], 1.0
	v_fmac_f64_e32 v[48:49], v[48:49], v[22:23]
	v_fma_f64 v[22:23], -v[46:47], v[48:49], 1.0
	v_fmac_f64_e32 v[48:49], v[48:49], v[22:23]
	v_div_scale_f64 v[22:23], vcc, s[14:15], v[42:43], s[14:15]
	v_mul_f64 v[24:25], v[22:23], v[48:49]
	v_fma_f64 v[22:23], -v[46:47], v[24:25], v[22:23]
	s_nop 1
	v_div_fmas_f64 v[22:23], v[22:23], v[48:49], v[24:25]
	v_div_fixup_f64 v[28:29], v[22:23], v[42:43], s[14:15]
.LBB62_61:                              ;   in Loop: Header=BB62_5 Depth=1
	s_or_b64 exec, exec, s[2:3]
                                        ; implicit-def: $vgpr24_vgpr25
.LBB62_62:                              ;   in Loop: Header=BB62_5 Depth=1
	s_andn2_saveexec_b64 s[2:3], s[6:7]
	s_cbranch_execz .LBB62_64
; %bb.63:                               ;   in Loop: Header=BB62_5 Depth=1
	v_div_scale_f64 v[26:27], s[6:7], v[24:25], v[24:25], v[22:23]
	v_rcp_f64_e32 v[28:29], v[26:27]
	v_div_scale_f64 v[42:43], vcc, v[22:23], v[24:25], v[22:23]
	v_fma_f64 v[44:45], -v[26:27], v[28:29], 1.0
	v_fmac_f64_e32 v[28:29], v[28:29], v[44:45]
	v_fma_f64 v[44:45], -v[26:27], v[28:29], 1.0
	v_fmac_f64_e32 v[28:29], v[28:29], v[44:45]
	v_mul_f64 v[44:45], v[42:43], v[28:29]
	v_fma_f64 v[26:27], -v[26:27], v[44:45], v[42:43]
	v_div_fmas_f64 v[26:27], v[26:27], v[28:29], v[44:45]
	v_div_fixup_f64 v[28:29], v[26:27], v[24:25], v[22:23]
	v_fmac_f64_e32 v[24:25], v[22:23], v[28:29]
	v_div_scale_f64 v[22:23], s[6:7], v[24:25], v[24:25], 1.0
	v_rcp_f64_e32 v[26:27], v[22:23]
	v_fma_f64 v[42:43], -v[22:23], v[26:27], 1.0
	v_fmac_f64_e32 v[26:27], v[26:27], v[42:43]
	v_fma_f64 v[42:43], -v[22:23], v[26:27], 1.0
	v_fmac_f64_e32 v[26:27], v[26:27], v[42:43]
	v_div_scale_f64 v[42:43], vcc, 1.0, v[24:25], 1.0
	v_mul_f64 v[44:45], v[42:43], v[26:27]
	v_fma_f64 v[22:23], -v[22:23], v[44:45], v[42:43]
	s_nop 1
	v_div_fmas_f64 v[22:23], v[22:23], v[26:27], v[44:45]
	v_div_fixup_f64 v[22:23], v[22:23], v[24:25], 1.0
	v_pk_mov_b32 v[24:25], s[14:15], s[14:15] op_sel:[0,1]
	v_fma_f64 v[24:25], s[12:13], v[28:29], v[24:25]
	v_mul_f64 v[26:27], v[24:25], v[22:23]
	v_pk_mov_b32 v[24:25], s[12:13], s[12:13] op_sel:[0,1]
	v_fma_f64 v[24:25], s[14:15], v[28:29], -v[24:25]
	v_mul_f64 v[28:29], v[24:25], v[22:23]
.LBB62_64:                              ;   in Loop: Header=BB62_5 Depth=1
	s_or_b64 exec, exec, s[2:3]
.LBB62_65:                              ;   in Loop: Header=BB62_5 Depth=1
	v_xor_b32_e32 v1, 0x80000000, v19
	v_cmp_gt_f64_e32 vcc, 0, v[18:19]
	v_cndmask_b32_e32 v25, v19, v1, vcc
	v_xor_b32_e32 v1, 0x80000000, v21
	v_cmp_gt_f64_e32 vcc, 0, v[20:21]
	v_mov_b32_e32 v24, v18
	v_cndmask_b32_e32 v23, v21, v1, vcc
	v_mov_b32_e32 v22, v20
	s_and_b64 vcc, exec, s[0:1]
	v_cmp_ge_f64_e64 s[0:1], v[24:25], v[22:23]
	s_cbranch_vccnz .LBB62_75
; %bb.66:                               ;   in Loop: Header=BB62_5 Depth=1
                                        ; implicit-def: $vgpr44_vgpr45
                                        ; implicit-def: $vgpr46_vgpr47
	s_and_saveexec_b64 s[2:3], s[0:1]
	s_xor_b64 s[6:7], exec, s[2:3]
	s_cbranch_execz .LBB62_72
; %bb.67:                               ;   in Loop: Header=BB62_5 Depth=1
	v_cmp_neq_f64_e32 vcc, 0, v[18:19]
	v_cmp_neq_f64_e64 s[2:3], 0, v[20:21]
	s_or_b64 s[2:3], vcc, s[2:3]
                                        ; implicit-def: $vgpr44_vgpr45
                                        ; implicit-def: $vgpr46_vgpr47
	s_and_saveexec_b64 s[38:39], s[2:3]
	s_xor_b64 s[2:3], exec, s[38:39]
	s_cbranch_execz .LBB62_69
; %bb.68:                               ;   in Loop: Header=BB62_5 Depth=1
	v_div_scale_f64 v[42:43], s[38:39], v[18:19], v[18:19], v[20:21]
	v_rcp_f64_e32 v[44:45], v[42:43]
	v_div_scale_f64 v[46:47], vcc, v[20:21], v[18:19], v[20:21]
	v_fma_f64 v[48:49], -v[42:43], v[44:45], 1.0
	v_fmac_f64_e32 v[44:45], v[44:45], v[48:49]
	v_fma_f64 v[48:49], -v[42:43], v[44:45], 1.0
	v_fmac_f64_e32 v[44:45], v[44:45], v[48:49]
	v_mul_f64 v[48:49], v[46:47], v[44:45]
	v_fma_f64 v[42:43], -v[42:43], v[48:49], v[46:47]
	v_div_fmas_f64 v[42:43], v[42:43], v[44:45], v[48:49]
	v_div_fixup_f64 v[42:43], v[42:43], v[18:19], v[20:21]
	v_fma_f64 v[44:45], v[20:21], v[42:43], v[18:19]
	v_div_scale_f64 v[46:47], s[38:39], v[44:45], v[44:45], 1.0
	v_rcp_f64_e32 v[48:49], v[46:47]
	v_fma_f64 v[50:51], -v[46:47], v[48:49], 1.0
	v_fmac_f64_e32 v[48:49], v[48:49], v[50:51]
	v_fma_f64 v[50:51], -v[46:47], v[48:49], 1.0
	v_fmac_f64_e32 v[48:49], v[48:49], v[50:51]
	v_div_scale_f64 v[50:51], vcc, 1.0, v[44:45], 1.0
	v_mul_f64 v[52:53], v[50:51], v[48:49]
	v_fma_f64 v[46:47], -v[46:47], v[52:53], v[50:51]
	s_nop 1
	v_div_fmas_f64 v[46:47], v[46:47], v[48:49], v[52:53]
	v_div_fixup_f64 v[44:45], v[46:47], v[44:45], 1.0
	v_pk_mov_b32 v[46:47], s[12:13], s[12:13] op_sel:[0,1]
	v_pk_mov_b32 v[48:49], s[14:15], s[14:15] op_sel:[0,1]
	v_fma_f64 v[46:47], s[14:15], v[42:43], v[46:47]
	v_fma_f64 v[42:43], -s[12:13], v[42:43], v[48:49]
	v_mul_f64 v[46:47], v[46:47], v[44:45]
	v_mul_f64 v[44:45], v[42:43], v[44:45]
.LBB62_69:                              ;   in Loop: Header=BB62_5 Depth=1
	s_andn2_saveexec_b64 s[2:3], s[2:3]
	s_cbranch_execz .LBB62_71
; %bb.70:                               ;   in Loop: Header=BB62_5 Depth=1
	v_div_scale_f64 v[42:43], s[38:39], v[24:25], v[24:25], s[12:13]
	v_rcp_f64_e32 v[44:45], v[42:43]
	v_div_scale_f64 v[50:51], s[38:39], v[22:23], v[22:23], s[14:15]
	v_div_scale_f64 v[46:47], vcc, s[12:13], v[24:25], s[12:13]
	v_fma_f64 v[48:49], -v[42:43], v[44:45], 1.0
	v_fmac_f64_e32 v[44:45], v[44:45], v[48:49]
	v_fma_f64 v[48:49], -v[42:43], v[44:45], 1.0
	v_fmac_f64_e32 v[44:45], v[44:45], v[48:49]
	v_rcp_f64_e32 v[52:53], v[50:51]
	v_mul_f64 v[48:49], v[46:47], v[44:45]
	v_fma_f64 v[42:43], -v[42:43], v[48:49], v[46:47]
	v_div_fmas_f64 v[42:43], v[42:43], v[44:45], v[48:49]
	v_div_fixup_f64 v[46:47], v[42:43], v[24:25], s[12:13]
	v_fma_f64 v[42:43], -v[50:51], v[52:53], 1.0
	v_fmac_f64_e32 v[52:53], v[52:53], v[42:43]
	v_fma_f64 v[42:43], -v[50:51], v[52:53], 1.0
	v_fmac_f64_e32 v[52:53], v[52:53], v[42:43]
	v_div_scale_f64 v[42:43], vcc, s[14:15], v[22:23], s[14:15]
	v_mul_f64 v[44:45], v[42:43], v[52:53]
	v_fma_f64 v[42:43], -v[50:51], v[44:45], v[42:43]
	s_nop 1
	v_div_fmas_f64 v[42:43], v[42:43], v[52:53], v[44:45]
	v_div_fixup_f64 v[44:45], v[42:43], v[22:23], s[14:15]
.LBB62_71:                              ;   in Loop: Header=BB62_5 Depth=1
	s_or_b64 exec, exec, s[2:3]
.LBB62_72:                              ;   in Loop: Header=BB62_5 Depth=1
	s_andn2_saveexec_b64 s[2:3], s[6:7]
	s_cbranch_execz .LBB62_74
; %bb.73:                               ;   in Loop: Header=BB62_5 Depth=1
	v_div_scale_f64 v[42:43], s[6:7], v[20:21], v[20:21], v[18:19]
	v_rcp_f64_e32 v[44:45], v[42:43]
	v_div_scale_f64 v[46:47], vcc, v[18:19], v[20:21], v[18:19]
	v_fma_f64 v[48:49], -v[42:43], v[44:45], 1.0
	v_fmac_f64_e32 v[44:45], v[44:45], v[48:49]
	v_fma_f64 v[48:49], -v[42:43], v[44:45], 1.0
	v_fmac_f64_e32 v[44:45], v[44:45], v[48:49]
	v_mul_f64 v[48:49], v[46:47], v[44:45]
	v_fma_f64 v[42:43], -v[42:43], v[48:49], v[46:47]
	v_div_fmas_f64 v[42:43], v[42:43], v[44:45], v[48:49]
	v_div_fixup_f64 v[42:43], v[42:43], v[20:21], v[18:19]
	v_fma_f64 v[44:45], v[18:19], v[42:43], v[20:21]
	v_div_scale_f64 v[46:47], s[6:7], v[44:45], v[44:45], 1.0
	v_rcp_f64_e32 v[48:49], v[46:47]
	v_fma_f64 v[50:51], -v[46:47], v[48:49], 1.0
	v_fmac_f64_e32 v[48:49], v[48:49], v[50:51]
	v_fma_f64 v[50:51], -v[46:47], v[48:49], 1.0
	v_fmac_f64_e32 v[48:49], v[48:49], v[50:51]
	v_div_scale_f64 v[50:51], vcc, 1.0, v[44:45], 1.0
	v_mul_f64 v[52:53], v[50:51], v[48:49]
	v_fma_f64 v[46:47], -v[46:47], v[52:53], v[50:51]
	s_nop 1
	v_div_fmas_f64 v[46:47], v[46:47], v[48:49], v[52:53]
	v_div_fixup_f64 v[44:45], v[46:47], v[44:45], 1.0
	v_pk_mov_b32 v[46:47], s[14:15], s[14:15] op_sel:[0,1]
	v_pk_mov_b32 v[48:49], s[12:13], s[12:13] op_sel:[0,1]
	v_fma_f64 v[46:47], s[12:13], v[42:43], v[46:47]
	v_fma_f64 v[42:43], s[14:15], v[42:43], -v[48:49]
	v_mul_f64 v[46:47], v[46:47], v[44:45]
	v_mul_f64 v[44:45], v[42:43], v[44:45]
.LBB62_74:                              ;   in Loop: Header=BB62_5 Depth=1
	s_or_b64 exec, exec, s[2:3]
	v_mul_f64 v[42:43], s[10:11], v[44:45]
	v_mul_f64 v[44:45], s[8:9], v[44:45]
	v_fma_f64 v[42:43], s[8:9], v[46:47], -v[42:43]
	v_fmac_f64_e32 v[44:45], s[10:11], v[46:47]
	s_branch .LBB62_4
.LBB62_75:                              ;   in Loop: Header=BB62_5 Depth=1
                                        ; implicit-def: $vgpr44_vgpr45
                                        ; implicit-def: $vgpr42_vgpr43
	s_cbranch_execz .LBB62_4
; %bb.76:                               ;   in Loop: Header=BB62_5 Depth=1
                                        ; implicit-def: $vgpr44_vgpr45
                                        ; implicit-def: $vgpr42_vgpr43
	s_and_saveexec_b64 s[2:3], s[0:1]
	s_xor_b64 s[2:3], exec, s[2:3]
	s_cbranch_execz .LBB62_82
; %bb.77:                               ;   in Loop: Header=BB62_5 Depth=1
	v_cmp_neq_f64_e32 vcc, 0, v[18:19]
	v_cmp_neq_f64_e64 s[0:1], 0, v[20:21]
	s_or_b64 s[0:1], vcc, s[0:1]
                                        ; implicit-def: $vgpr44_vgpr45
                                        ; implicit-def: $vgpr42_vgpr43
	s_and_saveexec_b64 s[6:7], s[0:1]
	s_xor_b64 s[0:1], exec, s[6:7]
	s_cbranch_execz .LBB62_79
; %bb.78:                               ;   in Loop: Header=BB62_5 Depth=1
	v_div_scale_f64 v[22:23], s[6:7], v[18:19], v[18:19], v[20:21]
	v_rcp_f64_e32 v[24:25], v[22:23]
	v_div_scale_f64 v[42:43], vcc, v[20:21], v[18:19], v[20:21]
	v_fma_f64 v[44:45], -v[22:23], v[24:25], 1.0
	v_fmac_f64_e32 v[24:25], v[24:25], v[44:45]
	v_fma_f64 v[44:45], -v[22:23], v[24:25], 1.0
	v_fmac_f64_e32 v[24:25], v[24:25], v[44:45]
	v_mul_f64 v[44:45], v[42:43], v[24:25]
	v_fma_f64 v[22:23], -v[22:23], v[44:45], v[42:43]
	v_div_fmas_f64 v[22:23], v[22:23], v[24:25], v[44:45]
	v_div_fixup_f64 v[22:23], v[22:23], v[18:19], v[20:21]
	v_fmac_f64_e32 v[18:19], v[20:21], v[22:23]
	v_div_scale_f64 v[20:21], s[6:7], v[18:19], v[18:19], 1.0
	v_rcp_f64_e32 v[24:25], v[20:21]
	v_fma_f64 v[42:43], -v[20:21], v[24:25], 1.0
	v_fmac_f64_e32 v[24:25], v[24:25], v[42:43]
	v_fma_f64 v[42:43], -v[20:21], v[24:25], 1.0
	v_fmac_f64_e32 v[24:25], v[24:25], v[42:43]
	v_div_scale_f64 v[42:43], vcc, 1.0, v[18:19], 1.0
	v_mul_f64 v[44:45], v[42:43], v[24:25]
	v_fma_f64 v[20:21], -v[20:21], v[44:45], v[42:43]
	s_nop 1
	v_div_fmas_f64 v[20:21], v[20:21], v[24:25], v[44:45]
	v_div_fixup_f64 v[18:19], v[20:21], v[18:19], 1.0
	v_pk_mov_b32 v[20:21], s[12:13], s[12:13] op_sel:[0,1]
	v_fma_f64 v[20:21], s[14:15], v[22:23], v[20:21]
	v_mul_f64 v[42:43], v[20:21], v[18:19]
	v_pk_mov_b32 v[20:21], s[14:15], s[14:15] op_sel:[0,1]
	v_fma_f64 v[20:21], -s[12:13], v[22:23], v[20:21]
	v_mul_f64 v[44:45], v[20:21], v[18:19]
                                        ; implicit-def: $vgpr24_vgpr25
                                        ; implicit-def: $vgpr22_vgpr23
.LBB62_79:                              ;   in Loop: Header=BB62_5 Depth=1
	s_andn2_saveexec_b64 s[0:1], s[0:1]
	s_cbranch_execz .LBB62_81
; %bb.80:                               ;   in Loop: Header=BB62_5 Depth=1
	v_div_scale_f64 v[18:19], s[6:7], v[24:25], v[24:25], s[12:13]
	v_rcp_f64_e32 v[20:21], v[18:19]
	v_div_scale_f64 v[46:47], s[6:7], v[22:23], v[22:23], s[14:15]
	v_div_scale_f64 v[42:43], vcc, s[12:13], v[24:25], s[12:13]
	v_fma_f64 v[44:45], -v[18:19], v[20:21], 1.0
	v_fmac_f64_e32 v[20:21], v[20:21], v[44:45]
	v_fma_f64 v[44:45], -v[18:19], v[20:21], 1.0
	v_fmac_f64_e32 v[20:21], v[20:21], v[44:45]
	v_rcp_f64_e32 v[48:49], v[46:47]
	v_mul_f64 v[44:45], v[42:43], v[20:21]
	v_fma_f64 v[18:19], -v[18:19], v[44:45], v[42:43]
	v_div_fmas_f64 v[18:19], v[18:19], v[20:21], v[44:45]
	v_div_fixup_f64 v[42:43], v[18:19], v[24:25], s[12:13]
	v_fma_f64 v[18:19], -v[46:47], v[48:49], 1.0
	v_fmac_f64_e32 v[48:49], v[48:49], v[18:19]
	v_fma_f64 v[18:19], -v[46:47], v[48:49], 1.0
	v_fmac_f64_e32 v[48:49], v[48:49], v[18:19]
	v_div_scale_f64 v[18:19], vcc, s[14:15], v[22:23], s[14:15]
	v_mul_f64 v[20:21], v[18:19], v[48:49]
	v_fma_f64 v[18:19], -v[46:47], v[20:21], v[18:19]
	s_nop 1
	v_div_fmas_f64 v[18:19], v[18:19], v[48:49], v[20:21]
	v_div_fixup_f64 v[44:45], v[18:19], v[22:23], s[14:15]
.LBB62_81:                              ;   in Loop: Header=BB62_5 Depth=1
	s_or_b64 exec, exec, s[0:1]
                                        ; implicit-def: $vgpr20_vgpr21
.LBB62_82:                              ;   in Loop: Header=BB62_5 Depth=1
	s_andn2_saveexec_b64 s[0:1], s[2:3]
	s_cbranch_execz .LBB62_3
; %bb.83:                               ;   in Loop: Header=BB62_5 Depth=1
	v_div_scale_f64 v[22:23], s[2:3], v[20:21], v[20:21], v[18:19]
	v_rcp_f64_e32 v[24:25], v[22:23]
	v_div_scale_f64 v[42:43], vcc, v[18:19], v[20:21], v[18:19]
	v_fma_f64 v[44:45], -v[22:23], v[24:25], 1.0
	v_fmac_f64_e32 v[24:25], v[24:25], v[44:45]
	v_fma_f64 v[44:45], -v[22:23], v[24:25], 1.0
	v_fmac_f64_e32 v[24:25], v[24:25], v[44:45]
	v_mul_f64 v[44:45], v[42:43], v[24:25]
	v_fma_f64 v[22:23], -v[22:23], v[44:45], v[42:43]
	v_div_fmas_f64 v[22:23], v[22:23], v[24:25], v[44:45]
	v_div_fixup_f64 v[22:23], v[22:23], v[20:21], v[18:19]
	v_fmac_f64_e32 v[20:21], v[18:19], v[22:23]
	v_div_scale_f64 v[18:19], s[2:3], v[20:21], v[20:21], 1.0
	v_rcp_f64_e32 v[24:25], v[18:19]
	v_fma_f64 v[42:43], -v[18:19], v[24:25], 1.0
	v_fmac_f64_e32 v[24:25], v[24:25], v[42:43]
	v_fma_f64 v[42:43], -v[18:19], v[24:25], 1.0
	v_fmac_f64_e32 v[24:25], v[24:25], v[42:43]
	v_div_scale_f64 v[42:43], vcc, 1.0, v[20:21], 1.0
	v_mul_f64 v[44:45], v[42:43], v[24:25]
	v_fma_f64 v[18:19], -v[18:19], v[44:45], v[42:43]
	s_nop 1
	v_div_fmas_f64 v[18:19], v[18:19], v[24:25], v[44:45]
	v_div_fixup_f64 v[18:19], v[18:19], v[20:21], 1.0
	v_pk_mov_b32 v[20:21], s[14:15], s[14:15] op_sel:[0,1]
	v_fma_f64 v[20:21], s[12:13], v[22:23], v[20:21]
	v_mul_f64 v[42:43], v[20:21], v[18:19]
	v_pk_mov_b32 v[20:21], s[12:13], s[12:13] op_sel:[0,1]
	v_fma_f64 v[20:21], s[14:15], v[22:23], -v[20:21]
	v_mul_f64 v[44:45], v[20:21], v[18:19]
	s_branch .LBB62_3
.LBB62_84:
	s_or_b64 exec, exec, s[22:23]
	s_mov_b64 s[0:1], 0
.LBB62_85:
	s_andn2_b64 vcc, exec, s[0:1]
	s_cbranch_vccnz .LBB62_185
; %bb.86:
	v_cmp_lt_i64_e64 s[0:1], s[18:19], 1
	s_and_b64 vcc, exec, s[0:1]
	s_cbranch_vccnz .LBB62_185
; %bb.87:
	s_load_dword s4, s[4:5], 0xc0c
	v_mov_b32_e32 v2, 0x10000
	v_cmp_neq_f64_e64 s[0:1], s[8:9], 1.0
	v_cmp_neq_f64_e64 s[2:3], s[10:11], 0
	v_mov_b32_e32 v3, 0
	v_lshlrev_b32_e32 v4, 4, v0
	s_waitcnt lgkmcnt(0)
	s_and_b32 s34, s4, 0xffff
	s_or_b64 s[6:7], s[0:1], s[2:3]
	v_cmp_lt_u64_e32 vcc, s[18:19], v[2:3]
	v_or_b32_e32 v2, 8, v4
	s_and_b64 s[0:1], vcc, exec
	v_mov_b32_e32 v5, s27
	v_add_co_u32_e32 v34, vcc, s26, v2
	v_addc_co_u32_e32 v35, vcc, 0, v5, vcc
	v_add_lshl_u32 v6, v0, s34, 4
	v_mov_b32_e32 v7, s31
	v_add_co_u32_e32 v36, vcc, s30, v6
	v_addc_co_u32_e32 v37, vcc, 0, v7, vcc
	v_mov_b32_e32 v8, s29
	v_add_co_u32_e32 v38, vcc, s28, v2
	v_addc_co_u32_e32 v39, vcc, 0, v8, vcc
	v_add_co_u32_e32 v40, vcc, s28, v6
	v_addc_co_u32_e32 v41, vcc, 0, v8, vcc
	v_add_co_u32_e32 v42, vcc, s30, v2
	v_mov_b32_e32 v1, 0
	v_addc_co_u32_e32 v43, vcc, 0, v7, vcc
	v_mov_b32_e32 v3, v1
	v_add_co_u32_e32 v44, vcc, s26, v6
	v_addc_co_u32_e32 v45, vcc, 0, v5, vcc
	v_mad_u64_u32 v[2:3], s[0:1], s34, 48, v[2:3]
	v_add_co_u32_e32 v46, vcc, s26, v2
	v_addc_co_u32_e32 v47, vcc, v5, v3, vcc
	v_add_co_u32_e32 v48, vcc, s28, v2
	s_cselect_b32 s23, s19, 0
	s_cselect_b32 s22, s18, 0x10000
	v_addc_co_u32_e32 v49, vcc, v8, v3, vcc
	s_lshl_b32 s0, s34, 5
	v_add_co_u32_e32 v4, vcc, s0, v4
	v_addc_co_u32_e64 v5, s[0:1], 0, 0, vcc
	v_add_co_u32_e32 v50, vcc, s30, v4
	v_addc_co_u32_e32 v51, vcc, v7, v5, vcc
	v_add_co_u32_e32 v52, vcc, s30, v2
	v_addc_co_u32_e32 v53, vcc, v7, v3, vcc
	;; [unrolled: 2-line block ×3, first 2 shown]
	v_mov_b32_e32 v2, s27
	v_add_co_u32_e32 v3, vcc, s26, v4
	s_mov_b32 s33, 0
	v_addc_co_u32_e32 v2, vcc, v5, v2, vcc
	s_lshl_b32 s24, s34, 2
	s_mov_b32 s25, s33
	v_add_co_u32_e32 v56, vcc, 8, v3
	s_mov_b64 s[20:21], 0x10000
	s_lshl_b32 s35, s34, 1
	s_mov_b32 s36, s33
	s_mul_i32 s37, s34, 3
	s_mov_b32 s38, s33
	s_lshl_b32 s39, s34, 6
	s_mov_b32 s40, s33
	v_addc_co_u32_e32 v57, vcc, 0, v2, vcc
	s_mov_b64 s[26:27], s[24:25]
	s_branch .LBB62_89
.LBB62_88:                              ;   in Loop: Header=BB62_89 Depth=1
	s_or_b64 exec, exec, s[0:1]
	v_pk_mov_b32 v[2:3], s[18:19], s[18:19] op_sel:[0,1]
	v_cmp_ge_i64_e32 vcc, s[26:27], v[2:3]
	v_mov_b32_e32 v2, 0xffff
	v_mov_b32_e32 v3, 0
	v_cmp_gt_u64_e64 s[0:1], s[26:27], v[2:3]
	s_or_b64 s[0:1], vcc, s[0:1]
	v_mov_b32_e32 v2, s25
	v_add_co_u32_e32 v0, vcc, s24, v0
	v_addc_co_u32_e32 v1, vcc, v1, v2, vcc
	v_mov_b32_e32 v2, s40
	v_add_co_u32_e32 v34, vcc, s39, v34
	v_addc_co_u32_e32 v35, vcc, v35, v2, vcc
	v_add_co_u32_e32 v36, vcc, s39, v36
	v_addc_co_u32_e32 v37, vcc, v37, v2, vcc
	;; [unrolled: 2-line block ×11, first 2 shown]
	v_add_co_u32_e32 v56, vcc, s39, v56
	s_add_u32 s26, s26, s24
	v_addc_co_u32_e32 v57, vcc, v57, v2, vcc
	s_addc_u32 s27, s27, 0
	s_and_b64 vcc, exec, s[0:1]
	s_cbranch_vccnz .LBB62_185
.LBB62_89:                              ; =>This Inner Loop Header: Depth=1
	v_cmp_gt_i64_e32 vcc, s[18:19], v[0:1]
	v_cmp_gt_u64_e64 s[0:1], s[20:21], v[0:1]
	v_pk_mov_b32 v[28:29], 0, 0
	s_and_b64 s[2:3], vcc, s[0:1]
	v_pk_mov_b32 v[32:33], v[28:29], v[28:29] op_sel:[0,1]
	v_pk_mov_b32 v[30:31], v[28:29], v[28:29] op_sel:[0,1]
	;; [unrolled: 1-line block ×4, first 2 shown]
	s_and_saveexec_b64 s[0:1], s[2:3]
	s_cbranch_execz .LBB62_91
; %bb.90:                               ;   in Loop: Header=BB62_89 Depth=1
	v_mov_b32_e32 v2, s17
	v_add_co_u32_e32 v6, vcc, s16, v34
	v_addc_co_u32_e32 v7, vcc, v35, v2, vcc
	v_add_co_u32_e32 v8, vcc, s16, v38
	v_addc_co_u32_e32 v9, vcc, v39, v2, vcc
	global_load_dwordx4 v[2:5], v[8:9], off offset:-8
	global_load_dwordx4 v[30:33], v[6:7], off offset:-8
.LBB62_91:                              ;   in Loop: Header=BB62_89 Depth=1
	s_or_b64 exec, exec, s[0:1]
	v_mov_b32_e32 v6, s33
	v_add_co_u32_e32 v58, vcc, s34, v0
	v_addc_co_u32_e32 v59, vcc, v6, v1, vcc
	v_cmp_gt_i64_e32 vcc, s[18:19], v[58:59]
	v_cmp_gt_u64_e64 s[0:1], s[20:21], v[58:59]
	s_and_b64 s[2:3], vcc, s[0:1]
	v_pk_mov_b32 v[26:27], v[28:29], v[28:29] op_sel:[0,1]
	v_pk_mov_b32 v[8:9], v[28:29], v[28:29] op_sel:[0,1]
	;; [unrolled: 1-line block ×3, first 2 shown]
	s_and_saveexec_b64 s[0:1], s[2:3]
	s_cbranch_execz .LBB62_93
; %bb.92:                               ;   in Loop: Header=BB62_89 Depth=1
	v_mov_b32_e32 v6, s17
	v_add_co_u32_e32 v10, vcc, s16, v44
	v_addc_co_u32_e32 v11, vcc, v45, v6, vcc
	v_add_co_u32_e32 v12, vcc, s16, v40
	v_addc_co_u32_e32 v13, vcc, v41, v6, vcc
	global_load_dwordx4 v[6:9], v[12:13], off
	global_load_dwordx4 v[26:29], v[10:11], off
.LBB62_93:                              ;   in Loop: Header=BB62_89 Depth=1
	s_or_b64 exec, exec, s[0:1]
	v_mov_b32_e32 v10, s36
	v_add_co_u32_e32 v60, vcc, s35, v0
	v_addc_co_u32_e32 v61, vcc, v10, v1, vcc
	v_cmp_gt_i64_e32 vcc, s[18:19], v[60:61]
	v_cmp_gt_u64_e64 s[0:1], s[20:21], v[60:61]
	v_pk_mov_b32 v[20:21], 0, 0
	s_and_b64 s[2:3], vcc, s[0:1]
	v_pk_mov_b32 v[24:25], v[20:21], v[20:21] op_sel:[0,1]
	v_pk_mov_b32 v[22:23], v[20:21], v[20:21] op_sel:[0,1]
	;; [unrolled: 1-line block ×4, first 2 shown]
	s_and_saveexec_b64 s[0:1], s[2:3]
	s_cbranch_execz .LBB62_95
; %bb.94:                               ;   in Loop: Header=BB62_89 Depth=1
	v_mov_b32_e32 v10, s17
	v_add_co_u32_e32 v14, vcc, s16, v56
	v_addc_co_u32_e32 v15, vcc, v57, v10, vcc
	v_add_co_u32_e32 v16, vcc, s16, v54
	v_addc_co_u32_e32 v17, vcc, v55, v10, vcc
	global_load_dwordx4 v[10:13], v[16:17], off
	global_load_dwordx4 v[22:25], v[14:15], off offset:-8
.LBB62_95:                              ;   in Loop: Header=BB62_89 Depth=1
	s_or_b64 exec, exec, s[0:1]
	v_mov_b32_e32 v14, s38
	v_add_co_u32_e32 v62, vcc, s37, v0
	v_addc_co_u32_e32 v63, vcc, v14, v1, vcc
	v_cmp_gt_i64_e32 vcc, s[18:19], v[62:63]
	v_cmp_gt_u64_e64 s[0:1], s[20:21], v[62:63]
	s_and_b64 s[2:3], vcc, s[0:1]
	v_pk_mov_b32 v[18:19], v[20:21], v[20:21] op_sel:[0,1]
	v_pk_mov_b32 v[16:17], v[20:21], v[20:21] op_sel:[0,1]
	;; [unrolled: 1-line block ×3, first 2 shown]
	s_and_saveexec_b64 s[0:1], s[2:3]
	s_cbranch_execz .LBB62_97
; %bb.96:                               ;   in Loop: Header=BB62_89 Depth=1
	v_mov_b32_e32 v14, s17
	v_add_co_u32_e32 v64, vcc, s16, v46
	v_addc_co_u32_e32 v65, vcc, v47, v14, vcc
	v_add_co_u32_e32 v66, vcc, s16, v48
	v_addc_co_u32_e32 v67, vcc, v49, v14, vcc
	global_load_dwordx4 v[14:17], v[66:67], off offset:-8
	global_load_dwordx4 v[18:21], v[64:65], off offset:-8
.LBB62_97:                              ;   in Loop: Header=BB62_89 Depth=1
	s_or_b64 exec, exec, s[0:1]
	s_waitcnt vmcnt(0)
	v_xor_b32_e32 v64, 0x80000000, v31
	v_cmp_gt_f64_e32 vcc, 0, v[30:31]
	v_cndmask_b32_e32 v71, v31, v64, vcc
	v_cndmask_b32_e32 v70, v30, v30, vcc
	v_xor_b32_e32 v64, 0x80000000, v33
	v_cmp_gt_f64_e32 vcc, 0, v[32:33]
	v_cndmask_b32_e32 v69, v33, v64, vcc
	v_cndmask_b32_e32 v68, v32, v32, vcc
	v_cmp_ge_f64_e64 s[0:1], v[70:71], v[68:69]
	s_and_b64 vcc, exec, s[6:7]
	s_cbranch_vccz .LBB62_107
; %bb.98:                               ;   in Loop: Header=BB62_89 Depth=1
                                        ; implicit-def: $vgpr66_vgpr67
                                        ; implicit-def: $vgpr72_vgpr73
	s_and_saveexec_b64 s[2:3], s[0:1]
	s_xor_b64 s[4:5], exec, s[2:3]
	s_cbranch_execz .LBB62_104
; %bb.99:                               ;   in Loop: Header=BB62_89 Depth=1
	v_cmp_neq_f64_e32 vcc, 0, v[30:31]
	v_cmp_neq_f64_e64 s[2:3], 0, v[32:33]
	s_or_b64 s[2:3], s[2:3], vcc
                                        ; implicit-def: $vgpr66_vgpr67
                                        ; implicit-def: $vgpr72_vgpr73
	s_and_saveexec_b64 s[28:29], s[2:3]
	s_xor_b64 s[2:3], exec, s[28:29]
	s_cbranch_execz .LBB62_101
; %bb.100:                              ;   in Loop: Header=BB62_89 Depth=1
	v_div_scale_f64 v[64:65], s[28:29], v[30:31], v[30:31], v[32:33]
	v_rcp_f64_e32 v[66:67], v[64:65]
	v_div_scale_f64 v[72:73], vcc, v[32:33], v[30:31], v[32:33]
	v_fma_f64 v[74:75], -v[64:65], v[66:67], 1.0
	v_fmac_f64_e32 v[66:67], v[66:67], v[74:75]
	v_fma_f64 v[74:75], -v[64:65], v[66:67], 1.0
	v_fmac_f64_e32 v[66:67], v[66:67], v[74:75]
	v_mul_f64 v[74:75], v[72:73], v[66:67]
	v_fma_f64 v[64:65], -v[64:65], v[74:75], v[72:73]
	v_div_fmas_f64 v[64:65], v[64:65], v[66:67], v[74:75]
	v_div_fixup_f64 v[64:65], v[64:65], v[30:31], v[32:33]
	v_fma_f64 v[66:67], v[32:33], v[64:65], v[30:31]
	v_div_scale_f64 v[72:73], s[28:29], v[66:67], v[66:67], 1.0
	v_rcp_f64_e32 v[74:75], v[72:73]
	v_fma_f64 v[76:77], -v[72:73], v[74:75], 1.0
	v_fmac_f64_e32 v[74:75], v[74:75], v[76:77]
	v_fma_f64 v[76:77], -v[72:73], v[74:75], 1.0
	v_fmac_f64_e32 v[74:75], v[74:75], v[76:77]
	v_div_scale_f64 v[76:77], vcc, 1.0, v[66:67], 1.0
	v_mul_f64 v[78:79], v[76:77], v[74:75]
	v_fma_f64 v[72:73], -v[72:73], v[78:79], v[76:77]
	s_nop 1
	v_div_fmas_f64 v[72:73], v[72:73], v[74:75], v[78:79]
	v_div_fixup_f64 v[66:67], v[72:73], v[66:67], 1.0
	v_pk_mov_b32 v[72:73], s[12:13], s[12:13] op_sel:[0,1]
	v_pk_mov_b32 v[74:75], s[14:15], s[14:15] op_sel:[0,1]
	v_fma_f64 v[72:73], s[14:15], v[64:65], v[72:73]
	v_fma_f64 v[64:65], -s[12:13], v[64:65], v[74:75]
	v_mul_f64 v[72:73], v[72:73], v[66:67]
	v_mul_f64 v[66:67], v[64:65], v[66:67]
.LBB62_101:                             ;   in Loop: Header=BB62_89 Depth=1
	s_andn2_saveexec_b64 s[2:3], s[2:3]
	s_cbranch_execz .LBB62_103
; %bb.102:                              ;   in Loop: Header=BB62_89 Depth=1
	v_div_scale_f64 v[64:65], s[28:29], v[70:71], v[70:71], s[12:13]
	v_rcp_f64_e32 v[66:67], v[64:65]
	v_div_scale_f64 v[76:77], s[28:29], v[68:69], v[68:69], s[14:15]
	v_div_scale_f64 v[72:73], vcc, s[12:13], v[70:71], s[12:13]
	v_fma_f64 v[74:75], -v[64:65], v[66:67], 1.0
	v_fmac_f64_e32 v[66:67], v[66:67], v[74:75]
	v_fma_f64 v[74:75], -v[64:65], v[66:67], 1.0
	v_fmac_f64_e32 v[66:67], v[66:67], v[74:75]
	v_rcp_f64_e32 v[78:79], v[76:77]
	v_mul_f64 v[74:75], v[72:73], v[66:67]
	v_fma_f64 v[64:65], -v[64:65], v[74:75], v[72:73]
	v_div_fmas_f64 v[64:65], v[64:65], v[66:67], v[74:75]
	v_div_fixup_f64 v[72:73], v[64:65], v[70:71], s[12:13]
	v_fma_f64 v[64:65], -v[76:77], v[78:79], 1.0
	v_fmac_f64_e32 v[78:79], v[78:79], v[64:65]
	v_fma_f64 v[64:65], -v[76:77], v[78:79], 1.0
	v_fmac_f64_e32 v[78:79], v[78:79], v[64:65]
	v_div_scale_f64 v[64:65], vcc, s[14:15], v[68:69], s[14:15]
	v_mul_f64 v[66:67], v[64:65], v[78:79]
	v_fma_f64 v[64:65], -v[76:77], v[66:67], v[64:65]
	s_nop 1
	v_div_fmas_f64 v[64:65], v[64:65], v[78:79], v[66:67]
	v_div_fixup_f64 v[66:67], v[64:65], v[68:69], s[14:15]
.LBB62_103:                             ;   in Loop: Header=BB62_89 Depth=1
	s_or_b64 exec, exec, s[2:3]
.LBB62_104:                             ;   in Loop: Header=BB62_89 Depth=1
	s_andn2_saveexec_b64 s[2:3], s[4:5]
	s_cbranch_execz .LBB62_106
; %bb.105:                              ;   in Loop: Header=BB62_89 Depth=1
	v_div_scale_f64 v[64:65], s[4:5], v[32:33], v[32:33], v[30:31]
	v_rcp_f64_e32 v[66:67], v[64:65]
	v_div_scale_f64 v[72:73], vcc, v[30:31], v[32:33], v[30:31]
	v_fma_f64 v[74:75], -v[64:65], v[66:67], 1.0
	v_fmac_f64_e32 v[66:67], v[66:67], v[74:75]
	v_fma_f64 v[74:75], -v[64:65], v[66:67], 1.0
	v_fmac_f64_e32 v[66:67], v[66:67], v[74:75]
	v_mul_f64 v[74:75], v[72:73], v[66:67]
	v_fma_f64 v[64:65], -v[64:65], v[74:75], v[72:73]
	v_div_fmas_f64 v[64:65], v[64:65], v[66:67], v[74:75]
	v_div_fixup_f64 v[64:65], v[64:65], v[32:33], v[30:31]
	v_fma_f64 v[66:67], v[30:31], v[64:65], v[32:33]
	v_div_scale_f64 v[72:73], s[4:5], v[66:67], v[66:67], 1.0
	v_rcp_f64_e32 v[74:75], v[72:73]
	v_fma_f64 v[76:77], -v[72:73], v[74:75], 1.0
	v_fmac_f64_e32 v[74:75], v[74:75], v[76:77]
	v_fma_f64 v[76:77], -v[72:73], v[74:75], 1.0
	v_fmac_f64_e32 v[74:75], v[74:75], v[76:77]
	v_div_scale_f64 v[76:77], vcc, 1.0, v[66:67], 1.0
	v_mul_f64 v[78:79], v[76:77], v[74:75]
	v_fma_f64 v[72:73], -v[72:73], v[78:79], v[76:77]
	s_nop 1
	v_div_fmas_f64 v[72:73], v[72:73], v[74:75], v[78:79]
	v_div_fixup_f64 v[66:67], v[72:73], v[66:67], 1.0
	v_pk_mov_b32 v[72:73], s[14:15], s[14:15] op_sel:[0,1]
	v_pk_mov_b32 v[74:75], s[12:13], s[12:13] op_sel:[0,1]
	v_fma_f64 v[72:73], s[12:13], v[64:65], v[72:73]
	v_fma_f64 v[64:65], s[14:15], v[64:65], -v[74:75]
	v_mul_f64 v[72:73], v[72:73], v[66:67]
	v_mul_f64 v[66:67], v[64:65], v[66:67]
.LBB62_106:                             ;   in Loop: Header=BB62_89 Depth=1
	s_or_b64 exec, exec, s[2:3]
	v_mul_f64 v[64:65], s[10:11], v[66:67]
	v_mul_f64 v[66:67], s[8:9], v[66:67]
	v_fma_f64 v[64:65], s[8:9], v[72:73], -v[64:65]
	v_fmac_f64_e32 v[66:67], s[10:11], v[72:73]
	s_branch .LBB62_117
.LBB62_107:                             ;   in Loop: Header=BB62_89 Depth=1
                                        ; implicit-def: $vgpr66_vgpr67
                                        ; implicit-def: $vgpr64_vgpr65
	s_cbranch_execz .LBB62_117
; %bb.108:                              ;   in Loop: Header=BB62_89 Depth=1
                                        ; implicit-def: $vgpr66_vgpr67
                                        ; implicit-def: $vgpr64_vgpr65
	s_and_saveexec_b64 s[2:3], s[0:1]
	s_xor_b64 s[2:3], exec, s[2:3]
	s_cbranch_execz .LBB62_114
; %bb.109:                              ;   in Loop: Header=BB62_89 Depth=1
	v_cmp_neq_f64_e32 vcc, 0, v[30:31]
	v_cmp_neq_f64_e64 s[0:1], 0, v[32:33]
	s_or_b64 s[0:1], s[0:1], vcc
                                        ; implicit-def: $vgpr66_vgpr67
                                        ; implicit-def: $vgpr64_vgpr65
	s_and_saveexec_b64 s[4:5], s[0:1]
	s_xor_b64 s[0:1], exec, s[4:5]
	s_cbranch_execz .LBB62_111
; %bb.110:                              ;   in Loop: Header=BB62_89 Depth=1
	v_div_scale_f64 v[64:65], s[4:5], v[30:31], v[30:31], v[32:33]
	v_rcp_f64_e32 v[66:67], v[64:65]
	v_div_scale_f64 v[68:69], vcc, v[32:33], v[30:31], v[32:33]
	v_fma_f64 v[70:71], -v[64:65], v[66:67], 1.0
	v_fmac_f64_e32 v[66:67], v[66:67], v[70:71]
	v_fma_f64 v[70:71], -v[64:65], v[66:67], 1.0
	v_fmac_f64_e32 v[66:67], v[66:67], v[70:71]
	v_mul_f64 v[70:71], v[68:69], v[66:67]
	v_fma_f64 v[64:65], -v[64:65], v[70:71], v[68:69]
	v_div_fmas_f64 v[64:65], v[64:65], v[66:67], v[70:71]
	v_div_fixup_f64 v[66:67], v[64:65], v[30:31], v[32:33]
	v_fmac_f64_e32 v[30:31], v[32:33], v[66:67]
	v_div_scale_f64 v[32:33], s[4:5], v[30:31], v[30:31], 1.0
	v_rcp_f64_e32 v[64:65], v[32:33]
	v_fma_f64 v[68:69], -v[32:33], v[64:65], 1.0
	v_fmac_f64_e32 v[64:65], v[64:65], v[68:69]
	v_fma_f64 v[68:69], -v[32:33], v[64:65], 1.0
	v_fmac_f64_e32 v[64:65], v[64:65], v[68:69]
	v_div_scale_f64 v[68:69], vcc, 1.0, v[30:31], 1.0
	v_mul_f64 v[70:71], v[68:69], v[64:65]
	v_fma_f64 v[32:33], -v[32:33], v[70:71], v[68:69]
                                        ; implicit-def: $vgpr68_vgpr69
	s_nop 1
	v_div_fmas_f64 v[32:33], v[32:33], v[64:65], v[70:71]
	v_div_fixup_f64 v[30:31], v[32:33], v[30:31], 1.0
	v_pk_mov_b32 v[32:33], s[12:13], s[12:13] op_sel:[0,1]
	v_fma_f64 v[32:33], s[14:15], v[66:67], v[32:33]
	v_mul_f64 v[64:65], v[32:33], v[30:31]
	v_pk_mov_b32 v[32:33], s[14:15], s[14:15] op_sel:[0,1]
	v_fma_f64 v[32:33], -s[12:13], v[66:67], v[32:33]
	v_mul_f64 v[66:67], v[32:33], v[30:31]
                                        ; implicit-def: $vgpr70_vgpr71
.LBB62_111:                             ;   in Loop: Header=BB62_89 Depth=1
	s_andn2_saveexec_b64 s[0:1], s[0:1]
	s_cbranch_execz .LBB62_113
; %bb.112:                              ;   in Loop: Header=BB62_89 Depth=1
	v_div_scale_f64 v[30:31], s[4:5], v[70:71], v[70:71], s[12:13]
	v_rcp_f64_e32 v[32:33], v[30:31]
	v_div_scale_f64 v[72:73], s[4:5], v[68:69], v[68:69], s[14:15]
	v_div_scale_f64 v[64:65], vcc, s[12:13], v[70:71], s[12:13]
	v_fma_f64 v[66:67], -v[30:31], v[32:33], 1.0
	v_fmac_f64_e32 v[32:33], v[32:33], v[66:67]
	v_fma_f64 v[66:67], -v[30:31], v[32:33], 1.0
	v_fmac_f64_e32 v[32:33], v[32:33], v[66:67]
	v_rcp_f64_e32 v[74:75], v[72:73]
	v_mul_f64 v[66:67], v[64:65], v[32:33]
	v_fma_f64 v[30:31], -v[30:31], v[66:67], v[64:65]
	v_div_fmas_f64 v[30:31], v[30:31], v[32:33], v[66:67]
	v_div_fixup_f64 v[64:65], v[30:31], v[70:71], s[12:13]
	v_fma_f64 v[30:31], -v[72:73], v[74:75], 1.0
	v_fmac_f64_e32 v[74:75], v[74:75], v[30:31]
	v_fma_f64 v[30:31], -v[72:73], v[74:75], 1.0
	v_fmac_f64_e32 v[74:75], v[74:75], v[30:31]
	v_div_scale_f64 v[30:31], vcc, s[14:15], v[68:69], s[14:15]
	v_mul_f64 v[32:33], v[30:31], v[74:75]
	v_fma_f64 v[30:31], -v[72:73], v[32:33], v[30:31]
	s_nop 1
	v_div_fmas_f64 v[30:31], v[30:31], v[74:75], v[32:33]
	v_div_fixup_f64 v[66:67], v[30:31], v[68:69], s[14:15]
.LBB62_113:                             ;   in Loop: Header=BB62_89 Depth=1
	s_or_b64 exec, exec, s[0:1]
                                        ; implicit-def: $vgpr32_vgpr33
.LBB62_114:                             ;   in Loop: Header=BB62_89 Depth=1
	s_andn2_saveexec_b64 s[0:1], s[2:3]
	s_cbranch_execz .LBB62_116
; %bb.115:                              ;   in Loop: Header=BB62_89 Depth=1
	v_div_scale_f64 v[64:65], s[2:3], v[32:33], v[32:33], v[30:31]
	v_rcp_f64_e32 v[66:67], v[64:65]
	v_div_scale_f64 v[68:69], vcc, v[30:31], v[32:33], v[30:31]
	v_fma_f64 v[70:71], -v[64:65], v[66:67], 1.0
	v_fmac_f64_e32 v[66:67], v[66:67], v[70:71]
	v_fma_f64 v[70:71], -v[64:65], v[66:67], 1.0
	v_fmac_f64_e32 v[66:67], v[66:67], v[70:71]
	v_mul_f64 v[70:71], v[68:69], v[66:67]
	v_fma_f64 v[64:65], -v[64:65], v[70:71], v[68:69]
	v_div_fmas_f64 v[64:65], v[64:65], v[66:67], v[70:71]
	v_div_fixup_f64 v[66:67], v[64:65], v[32:33], v[30:31]
	v_fmac_f64_e32 v[32:33], v[30:31], v[66:67]
	v_div_scale_f64 v[30:31], s[2:3], v[32:33], v[32:33], 1.0
	v_rcp_f64_e32 v[64:65], v[30:31]
	v_fma_f64 v[68:69], -v[30:31], v[64:65], 1.0
	v_fmac_f64_e32 v[64:65], v[64:65], v[68:69]
	v_fma_f64 v[68:69], -v[30:31], v[64:65], 1.0
	v_fmac_f64_e32 v[64:65], v[64:65], v[68:69]
	v_div_scale_f64 v[68:69], vcc, 1.0, v[32:33], 1.0
	v_mul_f64 v[70:71], v[68:69], v[64:65]
	v_fma_f64 v[30:31], -v[30:31], v[70:71], v[68:69]
	s_nop 1
	v_div_fmas_f64 v[30:31], v[30:31], v[64:65], v[70:71]
	v_div_fixup_f64 v[30:31], v[30:31], v[32:33], 1.0
	v_pk_mov_b32 v[32:33], s[14:15], s[14:15] op_sel:[0,1]
	v_fma_f64 v[32:33], s[12:13], v[66:67], v[32:33]
	v_mul_f64 v[64:65], v[32:33], v[30:31]
	v_pk_mov_b32 v[32:33], s[12:13], s[12:13] op_sel:[0,1]
	v_fma_f64 v[32:33], s[14:15], v[66:67], -v[32:33]
	v_mul_f64 v[66:67], v[32:33], v[30:31]
.LBB62_116:                             ;   in Loop: Header=BB62_89 Depth=1
	s_or_b64 exec, exec, s[0:1]
.LBB62_117:                             ;   in Loop: Header=BB62_89 Depth=1
	v_xor_b32_e32 v30, 0x80000000, v27
	v_cmp_gt_f64_e32 vcc, 0, v[26:27]
	v_cndmask_b32_e32 v71, v27, v30, vcc
	v_cndmask_b32_e32 v70, v26, v26, vcc
	v_xor_b32_e32 v30, 0x80000000, v29
	v_cmp_gt_f64_e32 vcc, 0, v[28:29]
	v_cndmask_b32_e32 v69, v29, v30, vcc
	v_cndmask_b32_e32 v68, v28, v28, vcc
	v_cndmask_b32_e64 v30, 0, 1, s[6:7]
	v_cmp_ne_u32_e64 s[0:1], 1, v30
	s_andn2_b64 vcc, exec, s[6:7]
	v_cmp_ge_f64_e64 s[2:3], v[70:71], v[68:69]
	s_cbranch_vccnz .LBB62_127
; %bb.118:                              ;   in Loop: Header=BB62_89 Depth=1
                                        ; implicit-def: $vgpr32_vgpr33
                                        ; implicit-def: $vgpr72_vgpr73
	s_and_saveexec_b64 s[4:5], s[2:3]
	s_xor_b64 s[28:29], exec, s[4:5]
	s_cbranch_execz .LBB62_124
; %bb.119:                              ;   in Loop: Header=BB62_89 Depth=1
	v_cmp_neq_f64_e32 vcc, 0, v[26:27]
	v_cmp_neq_f64_e64 s[4:5], 0, v[28:29]
	s_or_b64 s[4:5], s[4:5], vcc
                                        ; implicit-def: $vgpr32_vgpr33
                                        ; implicit-def: $vgpr72_vgpr73
	s_and_saveexec_b64 s[30:31], s[4:5]
	s_xor_b64 s[4:5], exec, s[30:31]
	s_cbranch_execz .LBB62_121
; %bb.120:                              ;   in Loop: Header=BB62_89 Depth=1
	v_div_scale_f64 v[30:31], s[30:31], v[26:27], v[26:27], v[28:29]
	v_rcp_f64_e32 v[32:33], v[30:31]
	v_div_scale_f64 v[72:73], vcc, v[28:29], v[26:27], v[28:29]
	v_fma_f64 v[74:75], -v[30:31], v[32:33], 1.0
	v_fmac_f64_e32 v[32:33], v[32:33], v[74:75]
	v_fma_f64 v[74:75], -v[30:31], v[32:33], 1.0
	v_fmac_f64_e32 v[32:33], v[32:33], v[74:75]
	v_mul_f64 v[74:75], v[72:73], v[32:33]
	v_fma_f64 v[30:31], -v[30:31], v[74:75], v[72:73]
	v_div_fmas_f64 v[30:31], v[30:31], v[32:33], v[74:75]
	v_div_fixup_f64 v[30:31], v[30:31], v[26:27], v[28:29]
	v_fma_f64 v[32:33], v[28:29], v[30:31], v[26:27]
	v_div_scale_f64 v[72:73], s[30:31], v[32:33], v[32:33], 1.0
	v_rcp_f64_e32 v[74:75], v[72:73]
	v_fma_f64 v[76:77], -v[72:73], v[74:75], 1.0
	v_fmac_f64_e32 v[74:75], v[74:75], v[76:77]
	v_fma_f64 v[76:77], -v[72:73], v[74:75], 1.0
	v_fmac_f64_e32 v[74:75], v[74:75], v[76:77]
	v_div_scale_f64 v[76:77], vcc, 1.0, v[32:33], 1.0
	v_mul_f64 v[78:79], v[76:77], v[74:75]
	v_fma_f64 v[72:73], -v[72:73], v[78:79], v[76:77]
	s_nop 1
	v_div_fmas_f64 v[72:73], v[72:73], v[74:75], v[78:79]
	v_div_fixup_f64 v[32:33], v[72:73], v[32:33], 1.0
	v_pk_mov_b32 v[72:73], s[12:13], s[12:13] op_sel:[0,1]
	v_pk_mov_b32 v[74:75], s[14:15], s[14:15] op_sel:[0,1]
	v_fma_f64 v[72:73], s[14:15], v[30:31], v[72:73]
	v_fma_f64 v[30:31], -s[12:13], v[30:31], v[74:75]
	v_mul_f64 v[72:73], v[72:73], v[32:33]
	v_mul_f64 v[32:33], v[30:31], v[32:33]
.LBB62_121:                             ;   in Loop: Header=BB62_89 Depth=1
	s_andn2_saveexec_b64 s[4:5], s[4:5]
	s_cbranch_execz .LBB62_123
; %bb.122:                              ;   in Loop: Header=BB62_89 Depth=1
	v_div_scale_f64 v[30:31], s[30:31], v[70:71], v[70:71], s[12:13]
	v_rcp_f64_e32 v[32:33], v[30:31]
	v_div_scale_f64 v[76:77], s[30:31], v[68:69], v[68:69], s[14:15]
	v_div_scale_f64 v[72:73], vcc, s[12:13], v[70:71], s[12:13]
	v_fma_f64 v[74:75], -v[30:31], v[32:33], 1.0
	v_fmac_f64_e32 v[32:33], v[32:33], v[74:75]
	v_fma_f64 v[74:75], -v[30:31], v[32:33], 1.0
	v_fmac_f64_e32 v[32:33], v[32:33], v[74:75]
	v_rcp_f64_e32 v[78:79], v[76:77]
	v_mul_f64 v[74:75], v[72:73], v[32:33]
	v_fma_f64 v[30:31], -v[30:31], v[74:75], v[72:73]
	v_div_fmas_f64 v[30:31], v[30:31], v[32:33], v[74:75]
	v_div_fixup_f64 v[72:73], v[30:31], v[70:71], s[12:13]
	v_fma_f64 v[30:31], -v[76:77], v[78:79], 1.0
	v_fmac_f64_e32 v[78:79], v[78:79], v[30:31]
	v_fma_f64 v[30:31], -v[76:77], v[78:79], 1.0
	v_fmac_f64_e32 v[78:79], v[78:79], v[30:31]
	v_div_scale_f64 v[30:31], vcc, s[14:15], v[68:69], s[14:15]
	v_mul_f64 v[32:33], v[30:31], v[78:79]
	v_fma_f64 v[30:31], -v[76:77], v[32:33], v[30:31]
	s_nop 1
	v_div_fmas_f64 v[30:31], v[30:31], v[78:79], v[32:33]
	v_div_fixup_f64 v[32:33], v[30:31], v[68:69], s[14:15]
.LBB62_123:                             ;   in Loop: Header=BB62_89 Depth=1
	s_or_b64 exec, exec, s[4:5]
.LBB62_124:                             ;   in Loop: Header=BB62_89 Depth=1
	s_andn2_saveexec_b64 s[4:5], s[28:29]
	s_cbranch_execz .LBB62_126
; %bb.125:                              ;   in Loop: Header=BB62_89 Depth=1
	v_div_scale_f64 v[30:31], s[28:29], v[28:29], v[28:29], v[26:27]
	v_rcp_f64_e32 v[32:33], v[30:31]
	v_div_scale_f64 v[72:73], vcc, v[26:27], v[28:29], v[26:27]
	v_fma_f64 v[74:75], -v[30:31], v[32:33], 1.0
	v_fmac_f64_e32 v[32:33], v[32:33], v[74:75]
	v_fma_f64 v[74:75], -v[30:31], v[32:33], 1.0
	v_fmac_f64_e32 v[32:33], v[32:33], v[74:75]
	v_mul_f64 v[74:75], v[72:73], v[32:33]
	v_fma_f64 v[30:31], -v[30:31], v[74:75], v[72:73]
	v_div_fmas_f64 v[30:31], v[30:31], v[32:33], v[74:75]
	v_div_fixup_f64 v[30:31], v[30:31], v[28:29], v[26:27]
	v_fma_f64 v[32:33], v[26:27], v[30:31], v[28:29]
	v_div_scale_f64 v[72:73], s[28:29], v[32:33], v[32:33], 1.0
	v_rcp_f64_e32 v[74:75], v[72:73]
	v_fma_f64 v[76:77], -v[72:73], v[74:75], 1.0
	v_fmac_f64_e32 v[74:75], v[74:75], v[76:77]
	v_fma_f64 v[76:77], -v[72:73], v[74:75], 1.0
	v_fmac_f64_e32 v[74:75], v[74:75], v[76:77]
	v_div_scale_f64 v[76:77], vcc, 1.0, v[32:33], 1.0
	v_mul_f64 v[78:79], v[76:77], v[74:75]
	v_fma_f64 v[72:73], -v[72:73], v[78:79], v[76:77]
	s_nop 1
	v_div_fmas_f64 v[72:73], v[72:73], v[74:75], v[78:79]
	v_div_fixup_f64 v[32:33], v[72:73], v[32:33], 1.0
	v_pk_mov_b32 v[72:73], s[14:15], s[14:15] op_sel:[0,1]
	v_pk_mov_b32 v[74:75], s[12:13], s[12:13] op_sel:[0,1]
	v_fma_f64 v[72:73], s[12:13], v[30:31], v[72:73]
	v_fma_f64 v[30:31], s[14:15], v[30:31], -v[74:75]
	v_mul_f64 v[72:73], v[72:73], v[32:33]
	v_mul_f64 v[32:33], v[30:31], v[32:33]
.LBB62_126:                             ;   in Loop: Header=BB62_89 Depth=1
	s_or_b64 exec, exec, s[4:5]
	v_mul_f64 v[30:31], s[10:11], v[32:33]
	v_mul_f64 v[32:33], s[8:9], v[32:33]
	v_fma_f64 v[30:31], s[8:9], v[72:73], -v[30:31]
	v_fmac_f64_e32 v[32:33], s[10:11], v[72:73]
	s_branch .LBB62_137
.LBB62_127:                             ;   in Loop: Header=BB62_89 Depth=1
                                        ; implicit-def: $vgpr32_vgpr33
                                        ; implicit-def: $vgpr30_vgpr31
	s_cbranch_execz .LBB62_137
; %bb.128:                              ;   in Loop: Header=BB62_89 Depth=1
                                        ; implicit-def: $vgpr32_vgpr33
                                        ; implicit-def: $vgpr30_vgpr31
	s_and_saveexec_b64 s[4:5], s[2:3]
	s_xor_b64 s[4:5], exec, s[4:5]
	s_cbranch_execz .LBB62_134
; %bb.129:                              ;   in Loop: Header=BB62_89 Depth=1
	v_cmp_neq_f64_e32 vcc, 0, v[26:27]
	v_cmp_neq_f64_e64 s[2:3], 0, v[28:29]
	s_or_b64 s[2:3], s[2:3], vcc
                                        ; implicit-def: $vgpr32_vgpr33
                                        ; implicit-def: $vgpr30_vgpr31
	s_and_saveexec_b64 s[28:29], s[2:3]
	s_xor_b64 s[2:3], exec, s[28:29]
	s_cbranch_execz .LBB62_131
; %bb.130:                              ;   in Loop: Header=BB62_89 Depth=1
	v_div_scale_f64 v[30:31], s[28:29], v[26:27], v[26:27], v[28:29]
	v_rcp_f64_e32 v[32:33], v[30:31]
	v_div_scale_f64 v[68:69], vcc, v[28:29], v[26:27], v[28:29]
	v_fma_f64 v[70:71], -v[30:31], v[32:33], 1.0
	v_fmac_f64_e32 v[32:33], v[32:33], v[70:71]
	v_fma_f64 v[70:71], -v[30:31], v[32:33], 1.0
	v_fmac_f64_e32 v[32:33], v[32:33], v[70:71]
	v_mul_f64 v[70:71], v[68:69], v[32:33]
	v_fma_f64 v[30:31], -v[30:31], v[70:71], v[68:69]
	v_div_fmas_f64 v[30:31], v[30:31], v[32:33], v[70:71]
	v_div_fixup_f64 v[32:33], v[30:31], v[26:27], v[28:29]
	v_fmac_f64_e32 v[26:27], v[28:29], v[32:33]
	v_div_scale_f64 v[28:29], s[28:29], v[26:27], v[26:27], 1.0
	v_rcp_f64_e32 v[30:31], v[28:29]
	v_fma_f64 v[68:69], -v[28:29], v[30:31], 1.0
	v_fmac_f64_e32 v[30:31], v[30:31], v[68:69]
	v_fma_f64 v[68:69], -v[28:29], v[30:31], 1.0
	v_fmac_f64_e32 v[30:31], v[30:31], v[68:69]
	v_div_scale_f64 v[68:69], vcc, 1.0, v[26:27], 1.0
	v_mul_f64 v[70:71], v[68:69], v[30:31]
	v_fma_f64 v[28:29], -v[28:29], v[70:71], v[68:69]
                                        ; implicit-def: $vgpr68_vgpr69
	s_nop 1
	v_div_fmas_f64 v[28:29], v[28:29], v[30:31], v[70:71]
	v_div_fixup_f64 v[26:27], v[28:29], v[26:27], 1.0
	v_pk_mov_b32 v[28:29], s[12:13], s[12:13] op_sel:[0,1]
	v_fma_f64 v[28:29], s[14:15], v[32:33], v[28:29]
	v_mul_f64 v[30:31], v[28:29], v[26:27]
	v_pk_mov_b32 v[28:29], s[14:15], s[14:15] op_sel:[0,1]
	v_fma_f64 v[28:29], -s[12:13], v[32:33], v[28:29]
	v_mul_f64 v[32:33], v[28:29], v[26:27]
                                        ; implicit-def: $vgpr70_vgpr71
.LBB62_131:                             ;   in Loop: Header=BB62_89 Depth=1
	s_andn2_saveexec_b64 s[2:3], s[2:3]
	s_cbranch_execz .LBB62_133
; %bb.132:                              ;   in Loop: Header=BB62_89 Depth=1
	v_div_scale_f64 v[26:27], s[28:29], v[70:71], v[70:71], s[12:13]
	v_rcp_f64_e32 v[28:29], v[26:27]
	v_div_scale_f64 v[72:73], s[28:29], v[68:69], v[68:69], s[14:15]
	v_div_scale_f64 v[30:31], vcc, s[12:13], v[70:71], s[12:13]
	v_fma_f64 v[32:33], -v[26:27], v[28:29], 1.0
	v_fmac_f64_e32 v[28:29], v[28:29], v[32:33]
	v_fma_f64 v[32:33], -v[26:27], v[28:29], 1.0
	v_fmac_f64_e32 v[28:29], v[28:29], v[32:33]
	v_rcp_f64_e32 v[74:75], v[72:73]
	v_mul_f64 v[32:33], v[30:31], v[28:29]
	v_fma_f64 v[26:27], -v[26:27], v[32:33], v[30:31]
	v_div_fmas_f64 v[26:27], v[26:27], v[28:29], v[32:33]
	v_div_fixup_f64 v[30:31], v[26:27], v[70:71], s[12:13]
	v_fma_f64 v[26:27], -v[72:73], v[74:75], 1.0
	v_fmac_f64_e32 v[74:75], v[74:75], v[26:27]
	v_fma_f64 v[26:27], -v[72:73], v[74:75], 1.0
	v_fmac_f64_e32 v[74:75], v[74:75], v[26:27]
	v_div_scale_f64 v[26:27], vcc, s[14:15], v[68:69], s[14:15]
	v_mul_f64 v[28:29], v[26:27], v[74:75]
	v_fma_f64 v[26:27], -v[72:73], v[28:29], v[26:27]
	s_nop 1
	v_div_fmas_f64 v[26:27], v[26:27], v[74:75], v[28:29]
	v_div_fixup_f64 v[32:33], v[26:27], v[68:69], s[14:15]
.LBB62_133:                             ;   in Loop: Header=BB62_89 Depth=1
	s_or_b64 exec, exec, s[2:3]
                                        ; implicit-def: $vgpr28_vgpr29
.LBB62_134:                             ;   in Loop: Header=BB62_89 Depth=1
	s_andn2_saveexec_b64 s[2:3], s[4:5]
	s_cbranch_execz .LBB62_136
; %bb.135:                              ;   in Loop: Header=BB62_89 Depth=1
	v_div_scale_f64 v[30:31], s[4:5], v[28:29], v[28:29], v[26:27]
	v_rcp_f64_e32 v[32:33], v[30:31]
	v_div_scale_f64 v[68:69], vcc, v[26:27], v[28:29], v[26:27]
	v_fma_f64 v[70:71], -v[30:31], v[32:33], 1.0
	v_fmac_f64_e32 v[32:33], v[32:33], v[70:71]
	v_fma_f64 v[70:71], -v[30:31], v[32:33], 1.0
	v_fmac_f64_e32 v[32:33], v[32:33], v[70:71]
	v_mul_f64 v[70:71], v[68:69], v[32:33]
	v_fma_f64 v[30:31], -v[30:31], v[70:71], v[68:69]
	v_div_fmas_f64 v[30:31], v[30:31], v[32:33], v[70:71]
	v_div_fixup_f64 v[32:33], v[30:31], v[28:29], v[26:27]
	v_fmac_f64_e32 v[28:29], v[26:27], v[32:33]
	v_div_scale_f64 v[26:27], s[4:5], v[28:29], v[28:29], 1.0
	v_rcp_f64_e32 v[30:31], v[26:27]
	v_fma_f64 v[68:69], -v[26:27], v[30:31], 1.0
	v_fmac_f64_e32 v[30:31], v[30:31], v[68:69]
	v_fma_f64 v[68:69], -v[26:27], v[30:31], 1.0
	v_fmac_f64_e32 v[30:31], v[30:31], v[68:69]
	v_div_scale_f64 v[68:69], vcc, 1.0, v[28:29], 1.0
	v_mul_f64 v[70:71], v[68:69], v[30:31]
	v_fma_f64 v[26:27], -v[26:27], v[70:71], v[68:69]
	s_nop 1
	v_div_fmas_f64 v[26:27], v[26:27], v[30:31], v[70:71]
	v_div_fixup_f64 v[26:27], v[26:27], v[28:29], 1.0
	v_pk_mov_b32 v[28:29], s[14:15], s[14:15] op_sel:[0,1]
	v_fma_f64 v[28:29], s[12:13], v[32:33], v[28:29]
	v_mul_f64 v[30:31], v[28:29], v[26:27]
	v_pk_mov_b32 v[28:29], s[12:13], s[12:13] op_sel:[0,1]
	v_fma_f64 v[28:29], s[14:15], v[32:33], -v[28:29]
	v_mul_f64 v[32:33], v[28:29], v[26:27]
.LBB62_136:                             ;   in Loop: Header=BB62_89 Depth=1
	s_or_b64 exec, exec, s[2:3]
.LBB62_137:                             ;   in Loop: Header=BB62_89 Depth=1
	v_xor_b32_e32 v26, 0x80000000, v23
	v_cmp_gt_f64_e32 vcc, 0, v[22:23]
	v_cndmask_b32_e32 v71, v23, v26, vcc
	v_cndmask_b32_e32 v70, v22, v22, vcc
	v_xor_b32_e32 v26, 0x80000000, v25
	v_cmp_gt_f64_e32 vcc, 0, v[24:25]
	v_cndmask_b32_e32 v69, v25, v26, vcc
	v_cndmask_b32_e32 v68, v24, v24, vcc
	s_and_b64 vcc, exec, s[0:1]
	v_cmp_ge_f64_e64 s[2:3], v[70:71], v[68:69]
	s_cbranch_vccnz .LBB62_147
; %bb.138:                              ;   in Loop: Header=BB62_89 Depth=1
                                        ; implicit-def: $vgpr28_vgpr29
                                        ; implicit-def: $vgpr72_vgpr73
	s_and_saveexec_b64 s[4:5], s[2:3]
	s_xor_b64 s[28:29], exec, s[4:5]
	s_cbranch_execz .LBB62_144
; %bb.139:                              ;   in Loop: Header=BB62_89 Depth=1
	v_cmp_neq_f64_e32 vcc, 0, v[22:23]
	v_cmp_neq_f64_e64 s[4:5], 0, v[24:25]
	s_or_b64 s[4:5], s[4:5], vcc
                                        ; implicit-def: $vgpr28_vgpr29
                                        ; implicit-def: $vgpr72_vgpr73
	s_and_saveexec_b64 s[30:31], s[4:5]
	s_xor_b64 s[4:5], exec, s[30:31]
	s_cbranch_execz .LBB62_141
; %bb.140:                              ;   in Loop: Header=BB62_89 Depth=1
	v_div_scale_f64 v[26:27], s[30:31], v[22:23], v[22:23], v[24:25]
	v_rcp_f64_e32 v[28:29], v[26:27]
	v_div_scale_f64 v[72:73], vcc, v[24:25], v[22:23], v[24:25]
	v_fma_f64 v[74:75], -v[26:27], v[28:29], 1.0
	v_fmac_f64_e32 v[28:29], v[28:29], v[74:75]
	v_fma_f64 v[74:75], -v[26:27], v[28:29], 1.0
	v_fmac_f64_e32 v[28:29], v[28:29], v[74:75]
	v_mul_f64 v[74:75], v[72:73], v[28:29]
	v_fma_f64 v[26:27], -v[26:27], v[74:75], v[72:73]
	v_div_fmas_f64 v[26:27], v[26:27], v[28:29], v[74:75]
	v_div_fixup_f64 v[26:27], v[26:27], v[22:23], v[24:25]
	v_fma_f64 v[28:29], v[24:25], v[26:27], v[22:23]
	v_div_scale_f64 v[72:73], s[30:31], v[28:29], v[28:29], 1.0
	v_rcp_f64_e32 v[74:75], v[72:73]
	v_fma_f64 v[76:77], -v[72:73], v[74:75], 1.0
	v_fmac_f64_e32 v[74:75], v[74:75], v[76:77]
	v_fma_f64 v[76:77], -v[72:73], v[74:75], 1.0
	v_fmac_f64_e32 v[74:75], v[74:75], v[76:77]
	v_div_scale_f64 v[76:77], vcc, 1.0, v[28:29], 1.0
	v_mul_f64 v[78:79], v[76:77], v[74:75]
	v_fma_f64 v[72:73], -v[72:73], v[78:79], v[76:77]
	s_nop 1
	v_div_fmas_f64 v[72:73], v[72:73], v[74:75], v[78:79]
	v_div_fixup_f64 v[28:29], v[72:73], v[28:29], 1.0
	v_pk_mov_b32 v[72:73], s[12:13], s[12:13] op_sel:[0,1]
	v_pk_mov_b32 v[74:75], s[14:15], s[14:15] op_sel:[0,1]
	v_fma_f64 v[72:73], s[14:15], v[26:27], v[72:73]
	v_fma_f64 v[26:27], -s[12:13], v[26:27], v[74:75]
	v_mul_f64 v[72:73], v[72:73], v[28:29]
	v_mul_f64 v[28:29], v[26:27], v[28:29]
.LBB62_141:                             ;   in Loop: Header=BB62_89 Depth=1
	s_andn2_saveexec_b64 s[4:5], s[4:5]
	s_cbranch_execz .LBB62_143
; %bb.142:                              ;   in Loop: Header=BB62_89 Depth=1
	v_div_scale_f64 v[26:27], s[30:31], v[70:71], v[70:71], s[12:13]
	v_rcp_f64_e32 v[28:29], v[26:27]
	v_div_scale_f64 v[76:77], s[30:31], v[68:69], v[68:69], s[14:15]
	v_div_scale_f64 v[72:73], vcc, s[12:13], v[70:71], s[12:13]
	v_fma_f64 v[74:75], -v[26:27], v[28:29], 1.0
	v_fmac_f64_e32 v[28:29], v[28:29], v[74:75]
	v_fma_f64 v[74:75], -v[26:27], v[28:29], 1.0
	v_fmac_f64_e32 v[28:29], v[28:29], v[74:75]
	v_rcp_f64_e32 v[78:79], v[76:77]
	v_mul_f64 v[74:75], v[72:73], v[28:29]
	v_fma_f64 v[26:27], -v[26:27], v[74:75], v[72:73]
	v_div_fmas_f64 v[26:27], v[26:27], v[28:29], v[74:75]
	v_div_fixup_f64 v[72:73], v[26:27], v[70:71], s[12:13]
	v_fma_f64 v[26:27], -v[76:77], v[78:79], 1.0
	v_fmac_f64_e32 v[78:79], v[78:79], v[26:27]
	v_fma_f64 v[26:27], -v[76:77], v[78:79], 1.0
	v_fmac_f64_e32 v[78:79], v[78:79], v[26:27]
	v_div_scale_f64 v[26:27], vcc, s[14:15], v[68:69], s[14:15]
	v_mul_f64 v[28:29], v[26:27], v[78:79]
	v_fma_f64 v[26:27], -v[76:77], v[28:29], v[26:27]
	s_nop 1
	v_div_fmas_f64 v[26:27], v[26:27], v[78:79], v[28:29]
	v_div_fixup_f64 v[28:29], v[26:27], v[68:69], s[14:15]
.LBB62_143:                             ;   in Loop: Header=BB62_89 Depth=1
	s_or_b64 exec, exec, s[4:5]
.LBB62_144:                             ;   in Loop: Header=BB62_89 Depth=1
	s_andn2_saveexec_b64 s[4:5], s[28:29]
	s_cbranch_execz .LBB62_146
; %bb.145:                              ;   in Loop: Header=BB62_89 Depth=1
	v_div_scale_f64 v[26:27], s[28:29], v[24:25], v[24:25], v[22:23]
	v_rcp_f64_e32 v[28:29], v[26:27]
	v_div_scale_f64 v[72:73], vcc, v[22:23], v[24:25], v[22:23]
	v_fma_f64 v[74:75], -v[26:27], v[28:29], 1.0
	v_fmac_f64_e32 v[28:29], v[28:29], v[74:75]
	v_fma_f64 v[74:75], -v[26:27], v[28:29], 1.0
	v_fmac_f64_e32 v[28:29], v[28:29], v[74:75]
	v_mul_f64 v[74:75], v[72:73], v[28:29]
	v_fma_f64 v[26:27], -v[26:27], v[74:75], v[72:73]
	v_div_fmas_f64 v[26:27], v[26:27], v[28:29], v[74:75]
	v_div_fixup_f64 v[26:27], v[26:27], v[24:25], v[22:23]
	v_fma_f64 v[28:29], v[22:23], v[26:27], v[24:25]
	v_div_scale_f64 v[72:73], s[28:29], v[28:29], v[28:29], 1.0
	v_rcp_f64_e32 v[74:75], v[72:73]
	v_fma_f64 v[76:77], -v[72:73], v[74:75], 1.0
	v_fmac_f64_e32 v[74:75], v[74:75], v[76:77]
	v_fma_f64 v[76:77], -v[72:73], v[74:75], 1.0
	v_fmac_f64_e32 v[74:75], v[74:75], v[76:77]
	v_div_scale_f64 v[76:77], vcc, 1.0, v[28:29], 1.0
	v_mul_f64 v[78:79], v[76:77], v[74:75]
	v_fma_f64 v[72:73], -v[72:73], v[78:79], v[76:77]
	s_nop 1
	v_div_fmas_f64 v[72:73], v[72:73], v[74:75], v[78:79]
	v_div_fixup_f64 v[28:29], v[72:73], v[28:29], 1.0
	v_pk_mov_b32 v[72:73], s[14:15], s[14:15] op_sel:[0,1]
	v_pk_mov_b32 v[74:75], s[12:13], s[12:13] op_sel:[0,1]
	v_fma_f64 v[72:73], s[12:13], v[26:27], v[72:73]
	v_fma_f64 v[26:27], s[14:15], v[26:27], -v[74:75]
	v_mul_f64 v[72:73], v[72:73], v[28:29]
	v_mul_f64 v[28:29], v[26:27], v[28:29]
.LBB62_146:                             ;   in Loop: Header=BB62_89 Depth=1
	s_or_b64 exec, exec, s[4:5]
	v_mul_f64 v[26:27], s[10:11], v[28:29]
	v_mul_f64 v[28:29], s[8:9], v[28:29]
	v_fma_f64 v[26:27], s[8:9], v[72:73], -v[26:27]
	v_fmac_f64_e32 v[28:29], s[10:11], v[72:73]
	s_branch .LBB62_157
.LBB62_147:                             ;   in Loop: Header=BB62_89 Depth=1
                                        ; implicit-def: $vgpr28_vgpr29
                                        ; implicit-def: $vgpr26_vgpr27
	s_cbranch_execz .LBB62_157
; %bb.148:                              ;   in Loop: Header=BB62_89 Depth=1
                                        ; implicit-def: $vgpr28_vgpr29
                                        ; implicit-def: $vgpr26_vgpr27
	s_and_saveexec_b64 s[4:5], s[2:3]
	s_xor_b64 s[4:5], exec, s[4:5]
	s_cbranch_execz .LBB62_154
; %bb.149:                              ;   in Loop: Header=BB62_89 Depth=1
	v_cmp_neq_f64_e32 vcc, 0, v[22:23]
	v_cmp_neq_f64_e64 s[2:3], 0, v[24:25]
	s_or_b64 s[2:3], s[2:3], vcc
                                        ; implicit-def: $vgpr28_vgpr29
                                        ; implicit-def: $vgpr26_vgpr27
	s_and_saveexec_b64 s[28:29], s[2:3]
	s_xor_b64 s[2:3], exec, s[28:29]
	s_cbranch_execz .LBB62_151
; %bb.150:                              ;   in Loop: Header=BB62_89 Depth=1
	v_div_scale_f64 v[26:27], s[28:29], v[22:23], v[22:23], v[24:25]
	v_rcp_f64_e32 v[28:29], v[26:27]
	v_div_scale_f64 v[68:69], vcc, v[24:25], v[22:23], v[24:25]
	v_fma_f64 v[70:71], -v[26:27], v[28:29], 1.0
	v_fmac_f64_e32 v[28:29], v[28:29], v[70:71]
	v_fma_f64 v[70:71], -v[26:27], v[28:29], 1.0
	v_fmac_f64_e32 v[28:29], v[28:29], v[70:71]
	v_mul_f64 v[70:71], v[68:69], v[28:29]
	v_fma_f64 v[26:27], -v[26:27], v[70:71], v[68:69]
	v_div_fmas_f64 v[26:27], v[26:27], v[28:29], v[70:71]
	v_div_fixup_f64 v[28:29], v[26:27], v[22:23], v[24:25]
	v_fmac_f64_e32 v[22:23], v[24:25], v[28:29]
	v_div_scale_f64 v[24:25], s[28:29], v[22:23], v[22:23], 1.0
	v_rcp_f64_e32 v[26:27], v[24:25]
	v_fma_f64 v[68:69], -v[24:25], v[26:27], 1.0
	v_fmac_f64_e32 v[26:27], v[26:27], v[68:69]
	v_fma_f64 v[68:69], -v[24:25], v[26:27], 1.0
	v_fmac_f64_e32 v[26:27], v[26:27], v[68:69]
	v_div_scale_f64 v[68:69], vcc, 1.0, v[22:23], 1.0
	v_mul_f64 v[70:71], v[68:69], v[26:27]
	v_fma_f64 v[24:25], -v[24:25], v[70:71], v[68:69]
                                        ; implicit-def: $vgpr68_vgpr69
	s_nop 1
	v_div_fmas_f64 v[24:25], v[24:25], v[26:27], v[70:71]
	v_div_fixup_f64 v[22:23], v[24:25], v[22:23], 1.0
	v_pk_mov_b32 v[24:25], s[12:13], s[12:13] op_sel:[0,1]
	v_fma_f64 v[24:25], s[14:15], v[28:29], v[24:25]
	v_mul_f64 v[26:27], v[24:25], v[22:23]
	v_pk_mov_b32 v[24:25], s[14:15], s[14:15] op_sel:[0,1]
	v_fma_f64 v[24:25], -s[12:13], v[28:29], v[24:25]
	v_mul_f64 v[28:29], v[24:25], v[22:23]
                                        ; implicit-def: $vgpr70_vgpr71
.LBB62_151:                             ;   in Loop: Header=BB62_89 Depth=1
	s_andn2_saveexec_b64 s[2:3], s[2:3]
	s_cbranch_execz .LBB62_153
; %bb.152:                              ;   in Loop: Header=BB62_89 Depth=1
	v_div_scale_f64 v[22:23], s[28:29], v[70:71], v[70:71], s[12:13]
	v_rcp_f64_e32 v[24:25], v[22:23]
	v_div_scale_f64 v[72:73], s[28:29], v[68:69], v[68:69], s[14:15]
	v_div_scale_f64 v[26:27], vcc, s[12:13], v[70:71], s[12:13]
	v_fma_f64 v[28:29], -v[22:23], v[24:25], 1.0
	v_fmac_f64_e32 v[24:25], v[24:25], v[28:29]
	v_fma_f64 v[28:29], -v[22:23], v[24:25], 1.0
	v_fmac_f64_e32 v[24:25], v[24:25], v[28:29]
	v_rcp_f64_e32 v[74:75], v[72:73]
	v_mul_f64 v[28:29], v[26:27], v[24:25]
	v_fma_f64 v[22:23], -v[22:23], v[28:29], v[26:27]
	v_div_fmas_f64 v[22:23], v[22:23], v[24:25], v[28:29]
	v_div_fixup_f64 v[26:27], v[22:23], v[70:71], s[12:13]
	v_fma_f64 v[22:23], -v[72:73], v[74:75], 1.0
	v_fmac_f64_e32 v[74:75], v[74:75], v[22:23]
	v_fma_f64 v[22:23], -v[72:73], v[74:75], 1.0
	v_fmac_f64_e32 v[74:75], v[74:75], v[22:23]
	v_div_scale_f64 v[22:23], vcc, s[14:15], v[68:69], s[14:15]
	v_mul_f64 v[24:25], v[22:23], v[74:75]
	v_fma_f64 v[22:23], -v[72:73], v[24:25], v[22:23]
	s_nop 1
	v_div_fmas_f64 v[22:23], v[22:23], v[74:75], v[24:25]
	v_div_fixup_f64 v[28:29], v[22:23], v[68:69], s[14:15]
.LBB62_153:                             ;   in Loop: Header=BB62_89 Depth=1
	s_or_b64 exec, exec, s[2:3]
                                        ; implicit-def: $vgpr24_vgpr25
.LBB62_154:                             ;   in Loop: Header=BB62_89 Depth=1
	s_andn2_saveexec_b64 s[2:3], s[4:5]
	s_cbranch_execz .LBB62_156
; %bb.155:                              ;   in Loop: Header=BB62_89 Depth=1
	v_div_scale_f64 v[26:27], s[4:5], v[24:25], v[24:25], v[22:23]
	v_rcp_f64_e32 v[28:29], v[26:27]
	v_div_scale_f64 v[68:69], vcc, v[22:23], v[24:25], v[22:23]
	v_fma_f64 v[70:71], -v[26:27], v[28:29], 1.0
	v_fmac_f64_e32 v[28:29], v[28:29], v[70:71]
	v_fma_f64 v[70:71], -v[26:27], v[28:29], 1.0
	v_fmac_f64_e32 v[28:29], v[28:29], v[70:71]
	v_mul_f64 v[70:71], v[68:69], v[28:29]
	v_fma_f64 v[26:27], -v[26:27], v[70:71], v[68:69]
	v_div_fmas_f64 v[26:27], v[26:27], v[28:29], v[70:71]
	v_div_fixup_f64 v[28:29], v[26:27], v[24:25], v[22:23]
	v_fmac_f64_e32 v[24:25], v[22:23], v[28:29]
	v_div_scale_f64 v[22:23], s[4:5], v[24:25], v[24:25], 1.0
	v_rcp_f64_e32 v[26:27], v[22:23]
	v_fma_f64 v[68:69], -v[22:23], v[26:27], 1.0
	v_fmac_f64_e32 v[26:27], v[26:27], v[68:69]
	v_fma_f64 v[68:69], -v[22:23], v[26:27], 1.0
	v_fmac_f64_e32 v[26:27], v[26:27], v[68:69]
	v_div_scale_f64 v[68:69], vcc, 1.0, v[24:25], 1.0
	v_mul_f64 v[70:71], v[68:69], v[26:27]
	v_fma_f64 v[22:23], -v[22:23], v[70:71], v[68:69]
	s_nop 1
	v_div_fmas_f64 v[22:23], v[22:23], v[26:27], v[70:71]
	v_div_fixup_f64 v[22:23], v[22:23], v[24:25], 1.0
	v_pk_mov_b32 v[24:25], s[14:15], s[14:15] op_sel:[0,1]
	v_fma_f64 v[24:25], s[12:13], v[28:29], v[24:25]
	v_mul_f64 v[26:27], v[24:25], v[22:23]
	v_pk_mov_b32 v[24:25], s[12:13], s[12:13] op_sel:[0,1]
	v_fma_f64 v[24:25], s[14:15], v[28:29], -v[24:25]
	v_mul_f64 v[28:29], v[24:25], v[22:23]
.LBB62_156:                             ;   in Loop: Header=BB62_89 Depth=1
	s_or_b64 exec, exec, s[2:3]
.LBB62_157:                             ;   in Loop: Header=BB62_89 Depth=1
	v_xor_b32_e32 v22, 0x80000000, v19
	v_cmp_gt_f64_e32 vcc, 0, v[18:19]
	v_cndmask_b32_e32 v25, v19, v22, vcc
	v_cndmask_b32_e32 v24, v18, v18, vcc
	v_xor_b32_e32 v22, 0x80000000, v21
	v_cmp_gt_f64_e32 vcc, 0, v[20:21]
	v_cndmask_b32_e32 v23, v21, v22, vcc
	v_cndmask_b32_e32 v22, v20, v20, vcc
	s_and_b64 vcc, exec, s[0:1]
	v_cmp_ge_f64_e64 s[0:1], v[24:25], v[22:23]
	s_cbranch_vccnz .LBB62_167
; %bb.158:                              ;   in Loop: Header=BB62_89 Depth=1
                                        ; implicit-def: $vgpr70_vgpr71
                                        ; implicit-def: $vgpr72_vgpr73
	s_and_saveexec_b64 s[2:3], s[0:1]
	s_xor_b64 s[4:5], exec, s[2:3]
	s_cbranch_execz .LBB62_164
; %bb.159:                              ;   in Loop: Header=BB62_89 Depth=1
	v_cmp_neq_f64_e32 vcc, 0, v[18:19]
	v_cmp_neq_f64_e64 s[2:3], 0, v[20:21]
	s_or_b64 s[2:3], s[2:3], vcc
                                        ; implicit-def: $vgpr70_vgpr71
                                        ; implicit-def: $vgpr72_vgpr73
	s_and_saveexec_b64 s[28:29], s[2:3]
	s_xor_b64 s[2:3], exec, s[28:29]
	s_cbranch_execz .LBB62_161
; %bb.160:                              ;   in Loop: Header=BB62_89 Depth=1
	v_div_scale_f64 v[68:69], s[28:29], v[18:19], v[18:19], v[20:21]
	v_rcp_f64_e32 v[70:71], v[68:69]
	v_div_scale_f64 v[72:73], vcc, v[20:21], v[18:19], v[20:21]
	v_fma_f64 v[74:75], -v[68:69], v[70:71], 1.0
	v_fmac_f64_e32 v[70:71], v[70:71], v[74:75]
	v_fma_f64 v[74:75], -v[68:69], v[70:71], 1.0
	v_fmac_f64_e32 v[70:71], v[70:71], v[74:75]
	v_mul_f64 v[74:75], v[72:73], v[70:71]
	v_fma_f64 v[68:69], -v[68:69], v[74:75], v[72:73]
	v_div_fmas_f64 v[68:69], v[68:69], v[70:71], v[74:75]
	v_div_fixup_f64 v[68:69], v[68:69], v[18:19], v[20:21]
	v_fma_f64 v[70:71], v[20:21], v[68:69], v[18:19]
	v_div_scale_f64 v[72:73], s[28:29], v[70:71], v[70:71], 1.0
	v_rcp_f64_e32 v[74:75], v[72:73]
	v_fma_f64 v[76:77], -v[72:73], v[74:75], 1.0
	v_fmac_f64_e32 v[74:75], v[74:75], v[76:77]
	v_fma_f64 v[76:77], -v[72:73], v[74:75], 1.0
	v_fmac_f64_e32 v[74:75], v[74:75], v[76:77]
	v_div_scale_f64 v[76:77], vcc, 1.0, v[70:71], 1.0
	v_mul_f64 v[78:79], v[76:77], v[74:75]
	v_fma_f64 v[72:73], -v[72:73], v[78:79], v[76:77]
	s_nop 1
	v_div_fmas_f64 v[72:73], v[72:73], v[74:75], v[78:79]
	v_div_fixup_f64 v[70:71], v[72:73], v[70:71], 1.0
	v_pk_mov_b32 v[72:73], s[12:13], s[12:13] op_sel:[0,1]
	v_pk_mov_b32 v[74:75], s[14:15], s[14:15] op_sel:[0,1]
	v_fma_f64 v[72:73], s[14:15], v[68:69], v[72:73]
	v_fma_f64 v[68:69], -s[12:13], v[68:69], v[74:75]
	v_mul_f64 v[72:73], v[72:73], v[70:71]
	v_mul_f64 v[70:71], v[68:69], v[70:71]
.LBB62_161:                             ;   in Loop: Header=BB62_89 Depth=1
	s_andn2_saveexec_b64 s[2:3], s[2:3]
	s_cbranch_execz .LBB62_163
; %bb.162:                              ;   in Loop: Header=BB62_89 Depth=1
	v_div_scale_f64 v[68:69], s[28:29], v[24:25], v[24:25], s[12:13]
	v_rcp_f64_e32 v[70:71], v[68:69]
	v_div_scale_f64 v[76:77], s[28:29], v[22:23], v[22:23], s[14:15]
	v_div_scale_f64 v[72:73], vcc, s[12:13], v[24:25], s[12:13]
	v_fma_f64 v[74:75], -v[68:69], v[70:71], 1.0
	v_fmac_f64_e32 v[70:71], v[70:71], v[74:75]
	v_fma_f64 v[74:75], -v[68:69], v[70:71], 1.0
	v_fmac_f64_e32 v[70:71], v[70:71], v[74:75]
	v_rcp_f64_e32 v[78:79], v[76:77]
	v_mul_f64 v[74:75], v[72:73], v[70:71]
	v_fma_f64 v[68:69], -v[68:69], v[74:75], v[72:73]
	v_div_fmas_f64 v[68:69], v[68:69], v[70:71], v[74:75]
	v_div_fixup_f64 v[72:73], v[68:69], v[24:25], s[12:13]
	v_fma_f64 v[68:69], -v[76:77], v[78:79], 1.0
	v_fmac_f64_e32 v[78:79], v[78:79], v[68:69]
	v_fma_f64 v[68:69], -v[76:77], v[78:79], 1.0
	v_fmac_f64_e32 v[78:79], v[78:79], v[68:69]
	v_div_scale_f64 v[68:69], vcc, s[14:15], v[22:23], s[14:15]
	v_mul_f64 v[70:71], v[68:69], v[78:79]
	v_fma_f64 v[68:69], -v[76:77], v[70:71], v[68:69]
	s_nop 1
	v_div_fmas_f64 v[68:69], v[68:69], v[78:79], v[70:71]
	v_div_fixup_f64 v[70:71], v[68:69], v[22:23], s[14:15]
.LBB62_163:                             ;   in Loop: Header=BB62_89 Depth=1
	s_or_b64 exec, exec, s[2:3]
.LBB62_164:                             ;   in Loop: Header=BB62_89 Depth=1
	s_andn2_saveexec_b64 s[2:3], s[4:5]
	s_cbranch_execz .LBB62_166
; %bb.165:                              ;   in Loop: Header=BB62_89 Depth=1
	v_div_scale_f64 v[68:69], s[4:5], v[20:21], v[20:21], v[18:19]
	v_rcp_f64_e32 v[70:71], v[68:69]
	v_div_scale_f64 v[72:73], vcc, v[18:19], v[20:21], v[18:19]
	v_fma_f64 v[74:75], -v[68:69], v[70:71], 1.0
	v_fmac_f64_e32 v[70:71], v[70:71], v[74:75]
	v_fma_f64 v[74:75], -v[68:69], v[70:71], 1.0
	v_fmac_f64_e32 v[70:71], v[70:71], v[74:75]
	v_mul_f64 v[74:75], v[72:73], v[70:71]
	v_fma_f64 v[68:69], -v[68:69], v[74:75], v[72:73]
	v_div_fmas_f64 v[68:69], v[68:69], v[70:71], v[74:75]
	v_div_fixup_f64 v[68:69], v[68:69], v[20:21], v[18:19]
	v_fma_f64 v[70:71], v[18:19], v[68:69], v[20:21]
	v_div_scale_f64 v[72:73], s[4:5], v[70:71], v[70:71], 1.0
	v_rcp_f64_e32 v[74:75], v[72:73]
	v_fma_f64 v[76:77], -v[72:73], v[74:75], 1.0
	v_fmac_f64_e32 v[74:75], v[74:75], v[76:77]
	v_fma_f64 v[76:77], -v[72:73], v[74:75], 1.0
	v_fmac_f64_e32 v[74:75], v[74:75], v[76:77]
	v_div_scale_f64 v[76:77], vcc, 1.0, v[70:71], 1.0
	v_mul_f64 v[78:79], v[76:77], v[74:75]
	v_fma_f64 v[72:73], -v[72:73], v[78:79], v[76:77]
	s_nop 1
	v_div_fmas_f64 v[72:73], v[72:73], v[74:75], v[78:79]
	v_div_fixup_f64 v[70:71], v[72:73], v[70:71], 1.0
	v_pk_mov_b32 v[72:73], s[14:15], s[14:15] op_sel:[0,1]
	v_pk_mov_b32 v[74:75], s[12:13], s[12:13] op_sel:[0,1]
	v_fma_f64 v[72:73], s[12:13], v[68:69], v[72:73]
	v_fma_f64 v[68:69], s[14:15], v[68:69], -v[74:75]
	v_mul_f64 v[72:73], v[72:73], v[70:71]
	v_mul_f64 v[70:71], v[68:69], v[70:71]
.LBB62_166:                             ;   in Loop: Header=BB62_89 Depth=1
	s_or_b64 exec, exec, s[2:3]
	v_mul_f64 v[68:69], s[10:11], v[70:71]
	v_mul_f64 v[70:71], s[8:9], v[70:71]
	v_fma_f64 v[68:69], s[8:9], v[72:73], -v[68:69]
	v_fmac_f64_e32 v[70:71], s[10:11], v[72:73]
	s_branch .LBB62_177
.LBB62_167:                             ;   in Loop: Header=BB62_89 Depth=1
                                        ; implicit-def: $vgpr70_vgpr71
                                        ; implicit-def: $vgpr68_vgpr69
	s_cbranch_execz .LBB62_177
; %bb.168:                              ;   in Loop: Header=BB62_89 Depth=1
                                        ; implicit-def: $vgpr70_vgpr71
                                        ; implicit-def: $vgpr68_vgpr69
	s_and_saveexec_b64 s[2:3], s[0:1]
	s_xor_b64 s[2:3], exec, s[2:3]
	s_cbranch_execz .LBB62_174
; %bb.169:                              ;   in Loop: Header=BB62_89 Depth=1
	v_cmp_neq_f64_e32 vcc, 0, v[18:19]
	v_cmp_neq_f64_e64 s[0:1], 0, v[20:21]
	s_or_b64 s[0:1], s[0:1], vcc
                                        ; implicit-def: $vgpr70_vgpr71
                                        ; implicit-def: $vgpr68_vgpr69
	s_and_saveexec_b64 s[4:5], s[0:1]
	s_xor_b64 s[0:1], exec, s[4:5]
	s_cbranch_execz .LBB62_171
; %bb.170:                              ;   in Loop: Header=BB62_89 Depth=1
	v_div_scale_f64 v[22:23], s[4:5], v[18:19], v[18:19], v[20:21]
	v_rcp_f64_e32 v[24:25], v[22:23]
	v_div_scale_f64 v[68:69], vcc, v[20:21], v[18:19], v[20:21]
	v_fma_f64 v[70:71], -v[22:23], v[24:25], 1.0
	v_fmac_f64_e32 v[24:25], v[24:25], v[70:71]
	v_fma_f64 v[70:71], -v[22:23], v[24:25], 1.0
	v_fmac_f64_e32 v[24:25], v[24:25], v[70:71]
	v_mul_f64 v[70:71], v[68:69], v[24:25]
	v_fma_f64 v[22:23], -v[22:23], v[70:71], v[68:69]
	v_div_fmas_f64 v[22:23], v[22:23], v[24:25], v[70:71]
	v_div_fixup_f64 v[22:23], v[22:23], v[18:19], v[20:21]
	v_fmac_f64_e32 v[18:19], v[20:21], v[22:23]
	v_div_scale_f64 v[20:21], s[4:5], v[18:19], v[18:19], 1.0
	v_rcp_f64_e32 v[24:25], v[20:21]
	v_fma_f64 v[68:69], -v[20:21], v[24:25], 1.0
	v_fmac_f64_e32 v[24:25], v[24:25], v[68:69]
	v_fma_f64 v[68:69], -v[20:21], v[24:25], 1.0
	v_fmac_f64_e32 v[24:25], v[24:25], v[68:69]
	v_div_scale_f64 v[68:69], vcc, 1.0, v[18:19], 1.0
	v_mul_f64 v[70:71], v[68:69], v[24:25]
	v_fma_f64 v[20:21], -v[20:21], v[70:71], v[68:69]
	s_nop 1
	v_div_fmas_f64 v[20:21], v[20:21], v[24:25], v[70:71]
	v_div_fixup_f64 v[18:19], v[20:21], v[18:19], 1.0
	v_pk_mov_b32 v[20:21], s[12:13], s[12:13] op_sel:[0,1]
	v_fma_f64 v[20:21], s[14:15], v[22:23], v[20:21]
	v_mul_f64 v[68:69], v[20:21], v[18:19]
	v_pk_mov_b32 v[20:21], s[14:15], s[14:15] op_sel:[0,1]
	v_fma_f64 v[20:21], -s[12:13], v[22:23], v[20:21]
	v_mul_f64 v[70:71], v[20:21], v[18:19]
                                        ; implicit-def: $vgpr24_vgpr25
                                        ; implicit-def: $vgpr22_vgpr23
.LBB62_171:                             ;   in Loop: Header=BB62_89 Depth=1
	s_andn2_saveexec_b64 s[0:1], s[0:1]
	s_cbranch_execz .LBB62_173
; %bb.172:                              ;   in Loop: Header=BB62_89 Depth=1
	v_div_scale_f64 v[18:19], s[4:5], v[24:25], v[24:25], s[12:13]
	v_rcp_f64_e32 v[20:21], v[18:19]
	v_div_scale_f64 v[72:73], s[4:5], v[22:23], v[22:23], s[14:15]
	v_div_scale_f64 v[68:69], vcc, s[12:13], v[24:25], s[12:13]
	v_fma_f64 v[70:71], -v[18:19], v[20:21], 1.0
	v_fmac_f64_e32 v[20:21], v[20:21], v[70:71]
	v_fma_f64 v[70:71], -v[18:19], v[20:21], 1.0
	v_fmac_f64_e32 v[20:21], v[20:21], v[70:71]
	v_rcp_f64_e32 v[74:75], v[72:73]
	v_mul_f64 v[70:71], v[68:69], v[20:21]
	v_fma_f64 v[18:19], -v[18:19], v[70:71], v[68:69]
	v_div_fmas_f64 v[18:19], v[18:19], v[20:21], v[70:71]
	v_div_fixup_f64 v[68:69], v[18:19], v[24:25], s[12:13]
	v_fma_f64 v[18:19], -v[72:73], v[74:75], 1.0
	v_fmac_f64_e32 v[74:75], v[74:75], v[18:19]
	v_fma_f64 v[18:19], -v[72:73], v[74:75], 1.0
	v_fmac_f64_e32 v[74:75], v[74:75], v[18:19]
	v_div_scale_f64 v[18:19], vcc, s[14:15], v[22:23], s[14:15]
	v_mul_f64 v[20:21], v[18:19], v[74:75]
	v_fma_f64 v[18:19], -v[72:73], v[20:21], v[18:19]
	s_nop 1
	v_div_fmas_f64 v[18:19], v[18:19], v[74:75], v[20:21]
	v_div_fixup_f64 v[70:71], v[18:19], v[22:23], s[14:15]
.LBB62_173:                             ;   in Loop: Header=BB62_89 Depth=1
	s_or_b64 exec, exec, s[0:1]
                                        ; implicit-def: $vgpr20_vgpr21
.LBB62_174:                             ;   in Loop: Header=BB62_89 Depth=1
	s_andn2_saveexec_b64 s[0:1], s[2:3]
	s_cbranch_execz .LBB62_176
; %bb.175:                              ;   in Loop: Header=BB62_89 Depth=1
	v_div_scale_f64 v[22:23], s[2:3], v[20:21], v[20:21], v[18:19]
	v_rcp_f64_e32 v[24:25], v[22:23]
	v_div_scale_f64 v[68:69], vcc, v[18:19], v[20:21], v[18:19]
	v_fma_f64 v[70:71], -v[22:23], v[24:25], 1.0
	v_fmac_f64_e32 v[24:25], v[24:25], v[70:71]
	v_fma_f64 v[70:71], -v[22:23], v[24:25], 1.0
	v_fmac_f64_e32 v[24:25], v[24:25], v[70:71]
	v_mul_f64 v[70:71], v[68:69], v[24:25]
	v_fma_f64 v[22:23], -v[22:23], v[70:71], v[68:69]
	v_div_fmas_f64 v[22:23], v[22:23], v[24:25], v[70:71]
	v_div_fixup_f64 v[22:23], v[22:23], v[20:21], v[18:19]
	v_fmac_f64_e32 v[20:21], v[18:19], v[22:23]
	v_div_scale_f64 v[18:19], s[2:3], v[20:21], v[20:21], 1.0
	v_rcp_f64_e32 v[24:25], v[18:19]
	v_fma_f64 v[68:69], -v[18:19], v[24:25], 1.0
	v_fmac_f64_e32 v[24:25], v[24:25], v[68:69]
	v_fma_f64 v[68:69], -v[18:19], v[24:25], 1.0
	v_fmac_f64_e32 v[24:25], v[24:25], v[68:69]
	v_div_scale_f64 v[68:69], vcc, 1.0, v[20:21], 1.0
	v_mul_f64 v[70:71], v[68:69], v[24:25]
	v_fma_f64 v[18:19], -v[18:19], v[70:71], v[68:69]
	s_nop 1
	v_div_fmas_f64 v[18:19], v[18:19], v[24:25], v[70:71]
	v_div_fixup_f64 v[18:19], v[18:19], v[20:21], 1.0
	v_pk_mov_b32 v[20:21], s[14:15], s[14:15] op_sel:[0,1]
	v_fma_f64 v[20:21], s[12:13], v[22:23], v[20:21]
	v_mul_f64 v[68:69], v[20:21], v[18:19]
	v_pk_mov_b32 v[20:21], s[12:13], s[12:13] op_sel:[0,1]
	v_fma_f64 v[20:21], s[14:15], v[22:23], -v[20:21]
	v_mul_f64 v[70:71], v[20:21], v[18:19]
.LBB62_176:                             ;   in Loop: Header=BB62_89 Depth=1
	s_or_b64 exec, exec, s[0:1]
.LBB62_177:                             ;   in Loop: Header=BB62_89 Depth=1
	v_cmp_gt_u64_e32 vcc, s[22:23], v[0:1]
	s_and_saveexec_b64 s[0:1], vcc
	s_xor_b64 s[0:1], exec, s[0:1]
	s_cbranch_execz .LBB62_179
; %bb.178:                              ;   in Loop: Header=BB62_89 Depth=1
	v_mov_b32_e32 v19, s17
	v_add_co_u32_e32 v18, vcc, s16, v42
	v_add_f64 v[4:5], v[4:5], v[66:67]
	v_add_f64 v[2:3], v[2:3], v[64:65]
	v_addc_co_u32_e32 v19, vcc, v43, v19, vcc
	global_store_dwordx4 v[18:19], v[2:5], off offset:-8
.LBB62_179:                             ;   in Loop: Header=BB62_89 Depth=1
	s_or_b64 exec, exec, s[0:1]
	v_cmp_gt_u64_e32 vcc, s[22:23], v[58:59]
	s_and_saveexec_b64 s[0:1], vcc
	s_cbranch_execnz .LBB62_182
; %bb.180:                              ;   in Loop: Header=BB62_89 Depth=1
	s_or_b64 exec, exec, s[0:1]
	v_cmp_gt_u64_e32 vcc, s[22:23], v[60:61]
	s_and_saveexec_b64 s[0:1], vcc
	s_cbranch_execnz .LBB62_183
.LBB62_181:                             ;   in Loop: Header=BB62_89 Depth=1
	s_or_b64 exec, exec, s[0:1]
	v_cmp_gt_u64_e32 vcc, s[22:23], v[62:63]
	s_and_saveexec_b64 s[0:1], vcc
	s_cbranch_execz .LBB62_88
	s_branch .LBB62_184
.LBB62_182:                             ;   in Loop: Header=BB62_89 Depth=1
	v_add_f64 v[2:3], v[6:7], v[30:31]
	v_mov_b32_e32 v7, s17
	v_add_co_u32_e32 v6, vcc, s16, v36
	v_add_f64 v[4:5], v[8:9], v[32:33]
	v_addc_co_u32_e32 v7, vcc, v37, v7, vcc
	global_store_dwordx4 v[6:7], v[2:5], off
	s_or_b64 exec, exec, s[0:1]
	v_cmp_gt_u64_e32 vcc, s[22:23], v[60:61]
	s_and_saveexec_b64 s[0:1], vcc
	s_cbranch_execz .LBB62_181
.LBB62_183:                             ;   in Loop: Header=BB62_89 Depth=1
	v_mov_b32_e32 v7, s17
	v_add_co_u32_e32 v6, vcc, s16, v50
	v_add_f64 v[4:5], v[12:13], v[28:29]
	v_add_f64 v[2:3], v[10:11], v[26:27]
	v_addc_co_u32_e32 v7, vcc, v51, v7, vcc
	global_store_dwordx4 v[6:7], v[2:5], off
	s_or_b64 exec, exec, s[0:1]
	v_cmp_gt_u64_e32 vcc, s[22:23], v[62:63]
	s_and_saveexec_b64 s[0:1], vcc
	s_cbranch_execz .LBB62_88
.LBB62_184:                             ;   in Loop: Header=BB62_89 Depth=1
	v_mov_b32_e32 v7, s17
	v_add_co_u32_e32 v6, vcc, s16, v52
	v_add_f64 v[4:5], v[16:17], v[70:71]
	v_add_f64 v[2:3], v[14:15], v[68:69]
	v_addc_co_u32_e32 v7, vcc, v53, v7, vcc
	global_store_dwordx4 v[6:7], v[2:5], off offset:-8
	s_branch .LBB62_88
.LBB62_185:
	s_endpgm
	.section	.rodata,"a",@progbits
	.p2align	6, 0x0
	.amdhsa_kernel _ZN2at6native12_GLOBAL__N_125multi_tensor_apply_kernelINS1_18TensorListMetadataILi4EEENS1_32PointwiseOpScalar0dTensorFunctorIN3c107complexIdEELi4ELi2ELi3EEEJSt7dividesIS8_ES8_EEEvT_T0_DpT1_
		.amdhsa_group_segment_fixed_size 0
		.amdhsa_private_segment_fixed_size 0
		.amdhsa_kernarg_size 3328
		.amdhsa_user_sgpr_count 6
		.amdhsa_user_sgpr_private_segment_buffer 1
		.amdhsa_user_sgpr_dispatch_ptr 0
		.amdhsa_user_sgpr_queue_ptr 0
		.amdhsa_user_sgpr_kernarg_segment_ptr 1
		.amdhsa_user_sgpr_dispatch_id 0
		.amdhsa_user_sgpr_flat_scratch_init 0
		.amdhsa_user_sgpr_kernarg_preload_length 0
		.amdhsa_user_sgpr_kernarg_preload_offset 0
		.amdhsa_user_sgpr_private_segment_size 0
		.amdhsa_uses_dynamic_stack 0
		.amdhsa_system_sgpr_private_segment_wavefront_offset 0
		.amdhsa_system_sgpr_workgroup_id_x 1
		.amdhsa_system_sgpr_workgroup_id_y 0
		.amdhsa_system_sgpr_workgroup_id_z 0
		.amdhsa_system_sgpr_workgroup_info 0
		.amdhsa_system_vgpr_workitem_id 0
		.amdhsa_next_free_vgpr 80
		.amdhsa_next_free_sgpr 48
		.amdhsa_accum_offset 80
		.amdhsa_reserve_vcc 1
		.amdhsa_reserve_flat_scratch 0
		.amdhsa_float_round_mode_32 0
		.amdhsa_float_round_mode_16_64 0
		.amdhsa_float_denorm_mode_32 3
		.amdhsa_float_denorm_mode_16_64 3
		.amdhsa_dx10_clamp 1
		.amdhsa_ieee_mode 1
		.amdhsa_fp16_overflow 0
		.amdhsa_tg_split 0
		.amdhsa_exception_fp_ieee_invalid_op 0
		.amdhsa_exception_fp_denorm_src 0
		.amdhsa_exception_fp_ieee_div_zero 0
		.amdhsa_exception_fp_ieee_overflow 0
		.amdhsa_exception_fp_ieee_underflow 0
		.amdhsa_exception_fp_ieee_inexact 0
		.amdhsa_exception_int_div_zero 0
	.end_amdhsa_kernel
	.section	.text._ZN2at6native12_GLOBAL__N_125multi_tensor_apply_kernelINS1_18TensorListMetadataILi4EEENS1_32PointwiseOpScalar0dTensorFunctorIN3c107complexIdEELi4ELi2ELi3EEEJSt7dividesIS8_ES8_EEEvT_T0_DpT1_,"axG",@progbits,_ZN2at6native12_GLOBAL__N_125multi_tensor_apply_kernelINS1_18TensorListMetadataILi4EEENS1_32PointwiseOpScalar0dTensorFunctorIN3c107complexIdEELi4ELi2ELi3EEEJSt7dividesIS8_ES8_EEEvT_T0_DpT1_,comdat
.Lfunc_end62:
	.size	_ZN2at6native12_GLOBAL__N_125multi_tensor_apply_kernelINS1_18TensorListMetadataILi4EEENS1_32PointwiseOpScalar0dTensorFunctorIN3c107complexIdEELi4ELi2ELi3EEEJSt7dividesIS8_ES8_EEEvT_T0_DpT1_, .Lfunc_end62-_ZN2at6native12_GLOBAL__N_125multi_tensor_apply_kernelINS1_18TensorListMetadataILi4EEENS1_32PointwiseOpScalar0dTensorFunctorIN3c107complexIdEELi4ELi2ELi3EEEJSt7dividesIS8_ES8_EEEvT_T0_DpT1_
                                        ; -- End function
	.section	.AMDGPU.csdata,"",@progbits
; Kernel info:
; codeLenInByte = 12808
; NumSgprs: 52
; NumVgprs: 80
; NumAgprs: 0
; TotalNumVgprs: 80
; ScratchSize: 0
; MemoryBound: 1
; FloatMode: 240
; IeeeMode: 1
; LDSByteSize: 0 bytes/workgroup (compile time only)
; SGPRBlocks: 6
; VGPRBlocks: 9
; NumSGPRsForWavesPerEU: 52
; NumVGPRsForWavesPerEU: 80
; AccumOffset: 80
; Occupancy: 6
; WaveLimiterHint : 0
; COMPUTE_PGM_RSRC2:SCRATCH_EN: 0
; COMPUTE_PGM_RSRC2:USER_SGPR: 6
; COMPUTE_PGM_RSRC2:TRAP_HANDLER: 0
; COMPUTE_PGM_RSRC2:TGID_X_EN: 1
; COMPUTE_PGM_RSRC2:TGID_Y_EN: 0
; COMPUTE_PGM_RSRC2:TGID_Z_EN: 0
; COMPUTE_PGM_RSRC2:TIDIG_COMP_CNT: 0
; COMPUTE_PGM_RSRC3_GFX90A:ACCUM_OFFSET: 19
; COMPUTE_PGM_RSRC3_GFX90A:TG_SPLIT: 0
	.section	.text._ZN2at6native12_GLOBAL__N_125multi_tensor_apply_kernelINS1_18TensorListMetadataILi4EEENS1_32PointwiseOpScalar0dTensorFunctorIN3c107complexIfEELi4ELi2ELi3EEEJSt7dividesIS8_ES8_EEEvT_T0_DpT1_,"axG",@progbits,_ZN2at6native12_GLOBAL__N_125multi_tensor_apply_kernelINS1_18TensorListMetadataILi4EEENS1_32PointwiseOpScalar0dTensorFunctorIN3c107complexIfEELi4ELi2ELi3EEEJSt7dividesIS8_ES8_EEEvT_T0_DpT1_,comdat
	.globl	_ZN2at6native12_GLOBAL__N_125multi_tensor_apply_kernelINS1_18TensorListMetadataILi4EEENS1_32PointwiseOpScalar0dTensorFunctorIN3c107complexIfEELi4ELi2ELi3EEEJSt7dividesIS8_ES8_EEEvT_T0_DpT1_ ; -- Begin function _ZN2at6native12_GLOBAL__N_125multi_tensor_apply_kernelINS1_18TensorListMetadataILi4EEENS1_32PointwiseOpScalar0dTensorFunctorIN3c107complexIfEELi4ELi2ELi3EEEJSt7dividesIS8_ES8_EEEvT_T0_DpT1_
	.p2align	8
	.type	_ZN2at6native12_GLOBAL__N_125multi_tensor_apply_kernelINS1_18TensorListMetadataILi4EEENS1_32PointwiseOpScalar0dTensorFunctorIN3c107complexIfEELi4ELi2ELi3EEEJSt7dividesIS8_ES8_EEEvT_T0_DpT1_,@function
_ZN2at6native12_GLOBAL__N_125multi_tensor_apply_kernelINS1_18TensorListMetadataILi4EEENS1_32PointwiseOpScalar0dTensorFunctorIN3c107complexIfEELi4ELi2ELi3EEEJSt7dividesIS8_ES8_EEEvT_T0_DpT1_: ; @_ZN2at6native12_GLOBAL__N_125multi_tensor_apply_kernelINS1_18TensorListMetadataILi4EEENS1_32PointwiseOpScalar0dTensorFunctorIN3c107complexIfEELi4ELi2ELi3EEEJSt7dividesIS8_ES8_EEEvT_T0_DpT1_
; %bb.0:
	v_mov_b32_e32 v1, s6
	global_load_ubyte v1, v1, s[4:5] offset:1440
	s_add_u32 s0, s4, s6
	s_mul_hi_u32 s3, s6, 3
	s_mul_i32 s6, s6, 3
	s_addc_u32 s7, s5, 0
	s_add_u32 s2, s0, s6
	s_addc_u32 s3, s7, s3
	s_load_dword s2, s[2:3], 0x6e0
	s_mov_b32 s17, 0
	s_mov_b32 s1, s17
	s_waitcnt lgkmcnt(0)
	s_ashr_i32 s3, s2, 31
	s_lshl_b64 s[10:11], s[2:3], 19
	s_waitcnt vmcnt(0)
	v_lshlrev_b32_e32 v1, 3, v1
	v_readfirstlane_b32 s0, v1
	s_load_dwordx2 s[6:7], s[4:5], s0 offset:0x480
	s_load_dwordx2 s[8:9], s[4:5], 0xbf0
	s_load_dwordx2 s[28:29], s[4:5], s0 offset:0x0
	s_load_dwordx2 s[14:15], s[4:5], s0 offset:0x120
	;; [unrolled: 1-line block ×4, first 2 shown]
	s_waitcnt lgkmcnt(0)
	s_add_u32 s33, s28, s10
	s_addc_u32 s38, s29, s11
	s_add_u32 s0, s14, s10
	s_and_b32 s16, s0, 31
	s_add_u32 s39, s26, s10
	s_addc_u32 s40, s27, s11
	s_add_u32 s41, s24, s10
	s_addc_u32 s42, s25, s11
	s_or_b32 s0, s41, s39
	s_and_b32 s0, s0, 31
	s_cmp_lg_u32 s0, 0
	s_load_dwordx2 s[12:13], s[14:15], 0x0
	s_cselect_b64 s[14:15], -1, 0
	s_lshl_b64 s[2:3], s[2:3], 16
	s_and_b32 s0, s33, 31
	s_cmp_lg_u64 s[16:17], 0
	s_cselect_b64 s[18:19], -1, 0
	s_or_b64 s[18:19], s[14:15], s[18:19]
	s_sub_u32 s14, s6, s2
	s_subb_u32 s15, s7, s3
	s_and_b32 s16, s6, 3
	s_or_b64 s[0:1], s[0:1], s[16:17]
	s_cmp_lg_u64 s[0:1], 0
	s_cselect_b64 s[0:1], -1, 0
	s_or_b64 s[0:1], s[18:19], s[0:1]
	s_andn2_b64 vcc, exec, s[0:1]
	s_mov_b64 s[0:1], -1
	s_cbranch_vccz .LBB63_85
; %bb.1:
	v_mov_b32_e32 v19, 0
	v_lshlrev_b32_e32 v18, 2, v0
	v_cmp_gt_i64_e32 vcc, s[14:15], v[18:19]
	s_and_saveexec_b64 s[18:19], vcc
	s_cbranch_execz .LBB63_84
; %bb.2:
	s_load_dword s6, s[4:5], 0xc04
	s_and_b32 s0, s9, 0x7fffffff
	s_cmp_lg_u32 s0, 0
	s_cselect_b64 s[0:1], -1, 0
	v_cmp_neq_f32_e64 s[2:3], s8, 1.0
	s_or_b64 s[20:21], s[2:3], s[0:1]
	s_waitcnt lgkmcnt(0)
	s_and_b32 s0, s6, 0xffff
	s_mov_b32 s22, s13
	s_mov_b32 s23, s12
	v_add_lshl_u32 v18, v0, s0, 2
	s_lshl_b32 s16, s0, 2
	v_lshlrev_b32_e32 v20, 5, v0
	s_lshl_b32 s43, s0, 5
	s_mov_b64 s[30:31], 0
	s_mov_b64 s[34:35], 0xffff
	s_branch .LBB63_5
.LBB63_3:                               ;   in Loop: Header=BB63_5 Depth=1
	s_or_b64 exec, exec, s[0:1]
.LBB63_4:                               ;   in Loop: Header=BB63_5 Depth=1
	v_mov_b32_e32 v1, s42
	v_add_co_u32_e32 v10, vcc, s41, v20
	v_addc_co_u32_e32 v11, vcc, 0, v1, vcc
	v_cmp_le_i64_e32 vcc, s[14:15], v[18:19]
	v_cmp_lt_u64_e64 s[0:1], s[34:35], v[18:19]
	s_or_b64 s[0:1], vcc, s[0:1]
	s_add_u32 s33, s33, s43
	s_addc_u32 s38, s38, 0
	s_add_u32 s41, s41, s43
	s_addc_u32 s42, s42, 0
	;; [unrolled: 2-line block ×3, first 2 shown]
	v_mov_b32_e32 v1, s17
	s_and_b64 s[0:1], exec, s[0:1]
	v_add_co_u32_e32 v18, vcc, s16, v18
	s_waitcnt vmcnt(0)
	v_pk_add_f32 v[8:9], v[8:9], v[24:25]
	v_pk_add_f32 v[6:7], v[6:7], v[22:23]
	s_or_b64 s[30:31], s[0:1], s[30:31]
	v_addc_co_u32_e32 v19, vcc, v19, v1, vcc
	v_pk_add_f32 v[2:3], v[2:3], v[14:15]
	v_pk_add_f32 v[4:5], v[4:5], v[16:17]
	global_store_dwordx4 v[10:11], v[6:9], off
	global_store_dwordx4 v[10:11], v[2:5], off offset:16
	s_andn2_b64 exec, exec, s[30:31]
	s_cbranch_execz .LBB63_84
.LBB63_5:                               ; =>This Inner Loop Header: Depth=1
	v_mov_b32_e32 v1, s40
	v_add_co_u32_e32 v2, vcc, s39, v20
	v_addc_co_u32_e32 v3, vcc, 0, v1, vcc
	global_load_dwordx4 v[10:13], v[2:3], off offset:16
	global_load_dwordx4 v[14:17], v[2:3], off
	v_mov_b32_e32 v1, s38
	v_add_co_u32_e32 v22, vcc, s33, v20
	v_addc_co_u32_e32 v23, vcc, 0, v1, vcc
	global_load_dwordx4 v[2:5], v[22:23], off offset:16
	global_load_dwordx4 v[6:9], v[22:23], off
	s_and_b64 vcc, exec, s[20:21]
	s_waitcnt vmcnt(2)
	v_cmp_gt_f32_e64 s[0:1], 0, v15
	v_cndmask_b32_e64 v1, v15, -v15, s[0:1]
	v_cmp_gt_f32_e64 s[0:1], 0, v14
	v_cndmask_b32_e64 v21, v14, -v14, s[0:1]
	v_cmp_ge_f32_e64 s[0:1], v21, v1
	s_cbranch_vccz .LBB63_15
; %bb.6:                                ;   in Loop: Header=BB63_5 Depth=1
                                        ; implicit-def: $vgpr24
                                        ; implicit-def: $vgpr22
	s_and_saveexec_b64 s[2:3], s[0:1]
	s_xor_b64 s[6:7], exec, s[2:3]
	s_cbranch_execz .LBB63_12
; %bb.7:                                ;   in Loop: Header=BB63_5 Depth=1
	v_cmp_neq_f32_e32 vcc, 0, v14
	v_cmp_neq_f32_e64 s[2:3], 0, v15
	s_or_b64 s[2:3], vcc, s[2:3]
                                        ; implicit-def: $vgpr24
                                        ; implicit-def: $vgpr22
	s_and_saveexec_b64 s[36:37], s[2:3]
	s_xor_b64 s[2:3], exec, s[36:37]
	s_cbranch_execz .LBB63_9
; %bb.8:                                ;   in Loop: Header=BB63_5 Depth=1
	v_div_scale_f32 v22, s[36:37], v14, v14, v15
	v_rcp_f32_e32 v23, v22
	v_div_scale_f32 v24, vcc, v15, v14, v15
	v_fma_f32 v25, -v22, v23, 1.0
	v_fmac_f32_e32 v23, v25, v23
	v_mul_f32_e32 v25, v24, v23
	v_fma_f32 v26, -v22, v25, v24
	v_fmac_f32_e32 v25, v26, v23
	v_fma_f32 v22, -v22, v25, v24
	v_div_fmas_f32 v22, v22, v23, v25
	v_div_fixup_f32 v23, v22, v14, v15
	v_fma_f32 v22, v15, v23, v14
	v_div_scale_f32 v24, s[36:37], v22, v22, 1.0
	v_rcp_f32_e32 v25, v24
	v_fma_f32 v26, -v24, v25, 1.0
	v_fmac_f32_e32 v25, v26, v25
	v_div_scale_f32 v26, vcc, 1.0, v22, 1.0
	v_mul_f32_e32 v27, v26, v25
	v_fma_f32 v28, -v24, v27, v26
	v_fmac_f32_e32 v27, v28, v25
	v_fma_f32 v24, -v24, v27, v26
	v_div_fmas_f32 v24, v24, v25, v27
	v_div_fixup_f32 v24, v24, v22, 1.0
	v_mov_b32_e32 v22, s12
	v_mov_b32_e32 v25, s13
	v_fma_f32 v22, s13, v23, v22
	v_fma_f32 v23, -v23, s12, v25
	v_mul_f32_e32 v22, v22, v24
	v_mul_f32_e32 v24, v23, v24
.LBB63_9:                               ;   in Loop: Header=BB63_5 Depth=1
	s_andn2_saveexec_b64 s[2:3], s[2:3]
	s_cbranch_execz .LBB63_11
; %bb.10:                               ;   in Loop: Header=BB63_5 Depth=1
	v_div_scale_f32 v22, s[36:37], v21, v21, s12
	v_rcp_f32_e32 v23, v22
	v_div_scale_f32 v24, vcc, s12, v21, s12
	v_fma_f32 v25, -v22, v23, 1.0
	v_fmac_f32_e32 v23, v25, v23
	v_mul_f32_e32 v25, v24, v23
	v_fma_f32 v26, -v22, v25, v24
	v_fmac_f32_e32 v25, v26, v23
	v_fma_f32 v22, -v22, v25, v24
	v_div_scale_f32 v24, s[36:37], v1, v1, s13
	v_rcp_f32_e32 v26, v24
	v_div_fmas_f32 v22, v22, v23, v25
	v_div_fixup_f32 v22, v22, v21, s12
	v_fma_f32 v23, -v24, v26, 1.0
	v_fmac_f32_e32 v26, v23, v26
	v_div_scale_f32 v23, vcc, s13, v1, s13
	v_mul_f32_e32 v25, v23, v26
	v_fma_f32 v27, -v24, v25, v23
	v_fmac_f32_e32 v25, v27, v26
	v_fma_f32 v23, -v24, v25, v23
	v_div_fmas_f32 v23, v23, v26, v25
	v_div_fixup_f32 v24, v23, v1, s13
.LBB63_11:                              ;   in Loop: Header=BB63_5 Depth=1
	s_or_b64 exec, exec, s[2:3]
.LBB63_12:                              ;   in Loop: Header=BB63_5 Depth=1
	s_andn2_saveexec_b64 s[2:3], s[6:7]
	s_cbranch_execz .LBB63_14
; %bb.13:                               ;   in Loop: Header=BB63_5 Depth=1
	v_div_scale_f32 v22, s[6:7], v15, v15, v14
	v_rcp_f32_e32 v23, v22
	v_div_scale_f32 v24, vcc, v14, v15, v14
	v_fma_f32 v25, -v22, v23, 1.0
	v_fmac_f32_e32 v23, v25, v23
	v_mul_f32_e32 v25, v24, v23
	v_fma_f32 v26, -v22, v25, v24
	v_fmac_f32_e32 v25, v26, v23
	v_fma_f32 v22, -v22, v25, v24
	v_div_fmas_f32 v22, v22, v23, v25
	v_div_fixup_f32 v23, v22, v15, v14
	v_fma_f32 v22, v14, v23, v15
	v_div_scale_f32 v24, s[6:7], v22, v22, 1.0
	v_rcp_f32_e32 v25, v24
	v_fma_f32 v26, -v24, v25, 1.0
	v_fmac_f32_e32 v25, v26, v25
	v_div_scale_f32 v26, vcc, 1.0, v22, 1.0
	v_mul_f32_e32 v27, v26, v25
	v_fma_f32 v28, -v24, v27, v26
	v_fmac_f32_e32 v27, v28, v25
	v_fma_f32 v24, -v24, v27, v26
	v_div_fmas_f32 v24, v24, v25, v27
	v_div_fixup_f32 v24, v24, v22, 1.0
	v_mov_b32_e32 v22, s13
	v_mov_b32_e32 v25, s12
	v_fma_f32 v22, s12, v23, v22
	v_fma_f32 v23, v23, s13, -v25
	v_mul_f32_e32 v22, v22, v24
	v_mul_f32_e32 v24, v23, v24
.LBB63_14:                              ;   in Loop: Header=BB63_5 Depth=1
	s_or_b64 exec, exec, s[2:3]
	v_pk_mul_f32 v[24:25], v[24:25], s[8:9] op_sel_hi:[0,1]
	v_pk_mul_f32 v[26:27], v[22:23], s[8:9] op_sel_hi:[0,1]
	v_pk_fma_f32 v[22:23], v[22:23], s[8:9], v[24:25] op_sel:[0,0,1] op_sel_hi:[0,1,0]
	v_sub_f32_e32 v22, v26, v25
	s_branch .LBB63_25
.LBB63_15:                              ;   in Loop: Header=BB63_5 Depth=1
                                        ; implicit-def: $vgpr23
	s_cbranch_execz .LBB63_25
; %bb.16:                               ;   in Loop: Header=BB63_5 Depth=1
                                        ; implicit-def: $vgpr23
	s_and_saveexec_b64 s[2:3], s[0:1]
	s_xor_b64 s[2:3], exec, s[2:3]
	s_cbranch_execz .LBB63_22
; %bb.17:                               ;   in Loop: Header=BB63_5 Depth=1
	v_cmp_neq_f32_e32 vcc, 0, v14
	v_cmp_neq_f32_e64 s[0:1], 0, v15
	s_or_b64 s[0:1], vcc, s[0:1]
                                        ; implicit-def: $vgpr23
	s_and_saveexec_b64 s[6:7], s[0:1]
	s_xor_b64 s[0:1], exec, s[6:7]
	s_cbranch_execz .LBB63_19
; %bb.18:                               ;   in Loop: Header=BB63_5 Depth=1
	v_div_scale_f32 v1, s[6:7], v14, v14, v15
	v_rcp_f32_e32 v21, v1
	v_div_scale_f32 v22, vcc, v15, v14, v15
	v_fma_f32 v23, -v1, v21, 1.0
	v_fmac_f32_e32 v21, v23, v21
	v_mul_f32_e32 v23, v22, v21
	v_fma_f32 v24, -v1, v23, v22
	v_fmac_f32_e32 v23, v24, v21
	v_fma_f32 v1, -v1, v23, v22
	v_div_fmas_f32 v1, v1, v21, v23
	v_div_fixup_f32 v22, v1, v14, v15
	v_fma_f32 v1, v15, v22, v14
	v_div_scale_f32 v21, s[6:7], v1, v1, 1.0
	v_rcp_f32_e32 v23, v21
	v_fma_f32 v24, -v21, v23, 1.0
	v_fmac_f32_e32 v23, v24, v23
	v_div_scale_f32 v24, vcc, 1.0, v1, 1.0
	v_mul_f32_e32 v25, v24, v23
	v_fma_f32 v26, -v21, v25, v24
	v_fmac_f32_e32 v25, v26, v23
	v_fma_f32 v21, -v21, v25, v24
	v_div_fmas_f32 v21, v21, v23, v25
	v_pk_mul_f32 v[22:23], v[22:23], s[12:13] op_sel_hi:[0,1]
	v_pk_add_f32 v[26:27], v[22:23], s[12:13] op_sel:[1,0] op_sel_hi:[0,1]
	v_pk_add_f32 v[22:23], s[12:13], v[22:23] op_sel:[0,1] op_sel_hi:[1,0] neg_lo:[0,1] neg_hi:[0,1]
	v_div_fixup_f32 v24, v21, v1, 1.0
	v_mov_b32_e32 v27, v23
	v_pk_mul_f32 v[22:23], v[26:27], v[24:25] op_sel_hi:[1,0]
                                        ; implicit-def: $vgpr21
                                        ; implicit-def: $vgpr1
.LBB63_19:                              ;   in Loop: Header=BB63_5 Depth=1
	s_andn2_saveexec_b64 s[0:1], s[0:1]
	s_cbranch_execz .LBB63_21
; %bb.20:                               ;   in Loop: Header=BB63_5 Depth=1
	v_div_scale_f32 v22, s[6:7], v21, v21, s12
	v_rcp_f32_e32 v23, v22
	v_div_scale_f32 v24, vcc, s12, v21, s12
	v_fma_f32 v25, -v22, v23, 1.0
	v_fmac_f32_e32 v23, v25, v23
	v_mul_f32_e32 v25, v24, v23
	v_fma_f32 v26, -v22, v25, v24
	v_fmac_f32_e32 v25, v26, v23
	v_fma_f32 v22, -v22, v25, v24
	v_div_scale_f32 v24, s[6:7], v1, v1, s13
	v_rcp_f32_e32 v26, v24
	v_div_fmas_f32 v22, v22, v23, v25
	v_div_fixup_f32 v22, v22, v21, s12
	v_fma_f32 v21, -v24, v26, 1.0
	v_fmac_f32_e32 v26, v21, v26
	v_div_scale_f32 v21, vcc, s13, v1, s13
	v_mul_f32_e32 v23, v21, v26
	v_fma_f32 v25, -v24, v23, v21
	v_fmac_f32_e32 v23, v25, v26
	v_fma_f32 v21, -v24, v23, v21
	v_div_fmas_f32 v21, v21, v26, v23
	v_div_fixup_f32 v23, v21, v1, s13
.LBB63_21:                              ;   in Loop: Header=BB63_5 Depth=1
	s_or_b64 exec, exec, s[0:1]
.LBB63_22:                              ;   in Loop: Header=BB63_5 Depth=1
	s_andn2_saveexec_b64 s[0:1], s[2:3]
	s_cbranch_execz .LBB63_24
; %bb.23:                               ;   in Loop: Header=BB63_5 Depth=1
	v_div_scale_f32 v1, s[2:3], v15, v15, v14
	v_rcp_f32_e32 v21, v1
	v_div_scale_f32 v22, vcc, v14, v15, v14
	v_fma_f32 v23, -v1, v21, 1.0
	v_fmac_f32_e32 v21, v23, v21
	v_mul_f32_e32 v23, v22, v21
	v_fma_f32 v24, -v1, v23, v22
	v_fmac_f32_e32 v23, v24, v21
	v_fma_f32 v1, -v1, v23, v22
	v_div_fmas_f32 v1, v1, v21, v23
	v_div_fixup_f32 v22, v1, v15, v14
	v_fma_f32 v1, v14, v22, v15
	v_div_scale_f32 v14, s[2:3], v1, v1, 1.0
	v_rcp_f32_e32 v15, v14
	v_fma_f32 v21, -v14, v15, 1.0
	v_fmac_f32_e32 v15, v21, v15
	v_div_scale_f32 v21, vcc, 1.0, v1, 1.0
	v_mul_f32_e32 v23, v21, v15
	v_fma_f32 v24, -v14, v23, v21
	v_fmac_f32_e32 v23, v24, v15
	v_fma_f32 v14, -v14, v23, v21
	v_pk_mov_b32 v[24:25], s[22:23], s[22:23] op_sel:[0,1]
	v_div_fmas_f32 v14, v14, v15, v23
	v_pk_fma_f32 v[26:27], v[22:23], s[12:13], v[24:25]
	v_pk_fma_f32 v[22:23], v[22:23], s[12:13], v[24:25] op_sel_hi:[0,1,1] neg_lo:[0,0,1] neg_hi:[0,0,1]
	v_div_fixup_f32 v14, v14, v1, 1.0
	v_mov_b32_e32 v27, v23
	v_pk_mul_f32 v[22:23], v[26:27], v[14:15] op_sel_hi:[1,0]
.LBB63_24:                              ;   in Loop: Header=BB63_5 Depth=1
	s_or_b64 exec, exec, s[0:1]
.LBB63_25:                              ;   in Loop: Header=BB63_5 Depth=1
	v_cmp_gt_f32_e32 vcc, 0, v17
	v_cndmask_b32_e64 v1, v17, -v17, vcc
	v_cmp_gt_f32_e32 vcc, 0, v16
	v_cndmask_b32_e64 v15, v16, -v16, vcc
	v_cndmask_b32_e64 v14, 0, 1, s[20:21]
	v_cmp_ne_u32_e64 s[0:1], 1, v14
	s_andn2_b64 vcc, exec, s[20:21]
	v_cmp_ge_f32_e64 s[2:3], v15, v1
	s_cbranch_vccnz .LBB63_35
; %bb.26:                               ;   in Loop: Header=BB63_5 Depth=1
                                        ; implicit-def: $vgpr24
                                        ; implicit-def: $vgpr14
	s_and_saveexec_b64 s[6:7], s[2:3]
	s_xor_b64 s[36:37], exec, s[6:7]
	s_cbranch_execz .LBB63_32
; %bb.27:                               ;   in Loop: Header=BB63_5 Depth=1
	v_cmp_neq_f32_e32 vcc, 0, v16
	v_cmp_neq_f32_e64 s[6:7], 0, v17
	s_or_b64 s[6:7], vcc, s[6:7]
                                        ; implicit-def: $vgpr24
                                        ; implicit-def: $vgpr14
	s_and_saveexec_b64 s[44:45], s[6:7]
	s_xor_b64 s[6:7], exec, s[44:45]
	s_cbranch_execz .LBB63_29
; %bb.28:                               ;   in Loop: Header=BB63_5 Depth=1
	v_div_scale_f32 v14, s[44:45], v16, v16, v17
	v_rcp_f32_e32 v21, v14
	v_div_scale_f32 v24, vcc, v17, v16, v17
	v_fma_f32 v25, -v14, v21, 1.0
	v_fmac_f32_e32 v21, v25, v21
	v_mul_f32_e32 v25, v24, v21
	v_fma_f32 v26, -v14, v25, v24
	v_fmac_f32_e32 v25, v26, v21
	v_fma_f32 v14, -v14, v25, v24
	v_div_fmas_f32 v14, v14, v21, v25
	v_div_fixup_f32 v21, v14, v16, v17
	v_fma_f32 v14, v17, v21, v16
	v_div_scale_f32 v24, s[44:45], v14, v14, 1.0
	v_rcp_f32_e32 v25, v24
	v_fma_f32 v26, -v24, v25, 1.0
	v_fmac_f32_e32 v25, v26, v25
	v_div_scale_f32 v26, vcc, 1.0, v14, 1.0
	v_mul_f32_e32 v27, v26, v25
	v_fma_f32 v28, -v24, v27, v26
	v_fmac_f32_e32 v27, v28, v25
	v_fma_f32 v24, -v24, v27, v26
	v_div_fmas_f32 v24, v24, v25, v27
	v_div_fixup_f32 v24, v24, v14, 1.0
	v_mov_b32_e32 v14, s12
	v_mov_b32_e32 v25, s13
	v_fma_f32 v14, s13, v21, v14
	v_fma_f32 v21, -v21, s12, v25
	v_mul_f32_e32 v14, v14, v24
	v_mul_f32_e32 v24, v21, v24
.LBB63_29:                              ;   in Loop: Header=BB63_5 Depth=1
	s_andn2_saveexec_b64 s[6:7], s[6:7]
	s_cbranch_execz .LBB63_31
; %bb.30:                               ;   in Loop: Header=BB63_5 Depth=1
	v_div_scale_f32 v14, s[44:45], v15, v15, s12
	v_rcp_f32_e32 v21, v14
	v_div_scale_f32 v24, vcc, s12, v15, s12
	v_fma_f32 v25, -v14, v21, 1.0
	v_fmac_f32_e32 v21, v25, v21
	v_mul_f32_e32 v25, v24, v21
	v_fma_f32 v26, -v14, v25, v24
	v_fmac_f32_e32 v25, v26, v21
	v_fma_f32 v14, -v14, v25, v24
	v_div_scale_f32 v24, s[44:45], v1, v1, s13
	v_rcp_f32_e32 v26, v24
	v_div_fmas_f32 v14, v14, v21, v25
	v_div_fixup_f32 v14, v14, v15, s12
	v_fma_f32 v21, -v24, v26, 1.0
	v_fmac_f32_e32 v26, v21, v26
	v_div_scale_f32 v21, vcc, s13, v1, s13
	v_mul_f32_e32 v25, v21, v26
	v_fma_f32 v27, -v24, v25, v21
	v_fmac_f32_e32 v25, v27, v26
	v_fma_f32 v21, -v24, v25, v21
	v_div_fmas_f32 v21, v21, v26, v25
	v_div_fixup_f32 v24, v21, v1, s13
.LBB63_31:                              ;   in Loop: Header=BB63_5 Depth=1
	s_or_b64 exec, exec, s[6:7]
.LBB63_32:                              ;   in Loop: Header=BB63_5 Depth=1
	s_andn2_saveexec_b64 s[6:7], s[36:37]
	s_cbranch_execz .LBB63_34
; %bb.33:                               ;   in Loop: Header=BB63_5 Depth=1
	v_div_scale_f32 v14, s[36:37], v17, v17, v16
	v_rcp_f32_e32 v21, v14
	v_div_scale_f32 v24, vcc, v16, v17, v16
	v_fma_f32 v25, -v14, v21, 1.0
	v_fmac_f32_e32 v21, v25, v21
	v_mul_f32_e32 v25, v24, v21
	v_fma_f32 v26, -v14, v25, v24
	v_fmac_f32_e32 v25, v26, v21
	v_fma_f32 v14, -v14, v25, v24
	v_div_fmas_f32 v14, v14, v21, v25
	v_div_fixup_f32 v21, v14, v17, v16
	v_fma_f32 v14, v16, v21, v17
	v_div_scale_f32 v24, s[36:37], v14, v14, 1.0
	v_rcp_f32_e32 v25, v24
	v_fma_f32 v26, -v24, v25, 1.0
	v_fmac_f32_e32 v25, v26, v25
	v_div_scale_f32 v26, vcc, 1.0, v14, 1.0
	v_mul_f32_e32 v27, v26, v25
	v_fma_f32 v28, -v24, v27, v26
	v_fmac_f32_e32 v27, v28, v25
	v_fma_f32 v24, -v24, v27, v26
	v_div_fmas_f32 v24, v24, v25, v27
	v_div_fixup_f32 v24, v24, v14, 1.0
	v_mov_b32_e32 v14, s13
	v_mov_b32_e32 v25, s12
	v_fma_f32 v14, s12, v21, v14
	v_fma_f32 v21, v21, s13, -v25
	v_mul_f32_e32 v14, v14, v24
	v_mul_f32_e32 v24, v21, v24
.LBB63_34:                              ;   in Loop: Header=BB63_5 Depth=1
	s_or_b64 exec, exec, s[6:7]
	v_pk_mul_f32 v[26:27], v[24:25], s[8:9] op_sel_hi:[0,1]
	v_pk_mul_f32 v[28:29], v[14:15], s[8:9] op_sel_hi:[0,1]
	v_pk_fma_f32 v[24:25], v[14:15], s[8:9], v[26:27] op_sel:[0,0,1] op_sel_hi:[0,1,0]
	v_sub_f32_e32 v24, v28, v27
	s_branch .LBB63_45
.LBB63_35:                              ;   in Loop: Header=BB63_5 Depth=1
                                        ; implicit-def: $vgpr25
	s_cbranch_execz .LBB63_45
; %bb.36:                               ;   in Loop: Header=BB63_5 Depth=1
                                        ; implicit-def: $vgpr25
	s_and_saveexec_b64 s[6:7], s[2:3]
	s_xor_b64 s[6:7], exec, s[6:7]
	s_cbranch_execz .LBB63_42
; %bb.37:                               ;   in Loop: Header=BB63_5 Depth=1
	v_cmp_neq_f32_e32 vcc, 0, v16
	v_cmp_neq_f32_e64 s[2:3], 0, v17
	s_or_b64 s[2:3], vcc, s[2:3]
                                        ; implicit-def: $vgpr25
	s_and_saveexec_b64 s[36:37], s[2:3]
	s_xor_b64 s[2:3], exec, s[36:37]
	s_cbranch_execz .LBB63_39
; %bb.38:                               ;   in Loop: Header=BB63_5 Depth=1
	v_div_scale_f32 v1, s[36:37], v16, v16, v17
	v_rcp_f32_e32 v14, v1
	v_div_scale_f32 v15, vcc, v17, v16, v17
	v_fma_f32 v21, -v1, v14, 1.0
	v_fmac_f32_e32 v14, v21, v14
	v_mul_f32_e32 v21, v15, v14
	v_fma_f32 v24, -v1, v21, v15
	v_fmac_f32_e32 v21, v24, v14
	v_fma_f32 v1, -v1, v21, v15
	v_div_fmas_f32 v1, v1, v14, v21
	v_div_fixup_f32 v14, v1, v16, v17
	v_fmac_f32_e32 v16, v17, v14
	v_div_scale_f32 v1, s[36:37], v16, v16, 1.0
	v_rcp_f32_e32 v15, v1
	v_fma_f32 v17, -v1, v15, 1.0
	v_fmac_f32_e32 v15, v17, v15
	v_div_scale_f32 v17, vcc, 1.0, v16, 1.0
	v_mul_f32_e32 v21, v17, v15
	v_fma_f32 v24, -v1, v21, v17
	v_fmac_f32_e32 v21, v24, v15
	v_fma_f32 v1, -v1, v21, v17
	v_div_fmas_f32 v1, v1, v15, v21
	v_pk_mul_f32 v[14:15], v[14:15], s[12:13] op_sel_hi:[0,1]
	v_pk_add_f32 v[24:25], v[14:15], s[12:13] op_sel:[1,0] op_sel_hi:[0,1]
	v_pk_add_f32 v[14:15], s[12:13], v[14:15] op_sel:[0,1] op_sel_hi:[1,0] neg_lo:[0,1] neg_hi:[0,1]
	v_div_fixup_f32 v16, v1, v16, 1.0
	v_mov_b32_e32 v25, v15
	v_pk_mul_f32 v[24:25], v[24:25], v[16:17] op_sel_hi:[1,0]
                                        ; implicit-def: $vgpr15
                                        ; implicit-def: $vgpr1
.LBB63_39:                              ;   in Loop: Header=BB63_5 Depth=1
	s_andn2_saveexec_b64 s[2:3], s[2:3]
	s_cbranch_execz .LBB63_41
; %bb.40:                               ;   in Loop: Header=BB63_5 Depth=1
	v_div_scale_f32 v14, s[36:37], v15, v15, s12
	v_rcp_f32_e32 v16, v14
	v_div_scale_f32 v17, vcc, s12, v15, s12
	v_fma_f32 v21, -v14, v16, 1.0
	v_fmac_f32_e32 v16, v21, v16
	v_mul_f32_e32 v21, v17, v16
	v_fma_f32 v24, -v14, v21, v17
	v_fmac_f32_e32 v21, v24, v16
	v_fma_f32 v14, -v14, v21, v17
	v_div_scale_f32 v17, s[36:37], v1, v1, s13
	v_rcp_f32_e32 v25, v17
	v_div_fmas_f32 v14, v14, v16, v21
	v_div_fixup_f32 v24, v14, v15, s12
	v_fma_f32 v14, -v17, v25, 1.0
	v_fmac_f32_e32 v25, v14, v25
	v_div_scale_f32 v14, vcc, s13, v1, s13
	v_mul_f32_e32 v15, v14, v25
	v_fma_f32 v16, -v17, v15, v14
	v_fmac_f32_e32 v15, v16, v25
	v_fma_f32 v14, -v17, v15, v14
	v_div_fmas_f32 v14, v14, v25, v15
	v_div_fixup_f32 v25, v14, v1, s13
.LBB63_41:                              ;   in Loop: Header=BB63_5 Depth=1
	s_or_b64 exec, exec, s[2:3]
                                        ; implicit-def: $vgpr14_vgpr15_vgpr16_vgpr17
.LBB63_42:                              ;   in Loop: Header=BB63_5 Depth=1
	s_andn2_saveexec_b64 s[2:3], s[6:7]
	s_cbranch_execz .LBB63_44
; %bb.43:                               ;   in Loop: Header=BB63_5 Depth=1
	v_div_scale_f32 v1, s[6:7], v17, v17, v16
	v_rcp_f32_e32 v14, v1
	v_div_scale_f32 v15, vcc, v16, v17, v16
	v_fma_f32 v21, -v1, v14, 1.0
	v_fmac_f32_e32 v14, v21, v14
	v_mul_f32_e32 v21, v15, v14
	v_fma_f32 v24, -v1, v21, v15
	v_fmac_f32_e32 v21, v24, v14
	v_fma_f32 v1, -v1, v21, v15
	v_div_fmas_f32 v1, v1, v14, v21
	v_div_fixup_f32 v14, v1, v17, v16
	v_fmac_f32_e32 v17, v16, v14
	v_div_scale_f32 v1, s[6:7], v17, v17, 1.0
	v_rcp_f32_e32 v15, v1
	v_fma_f32 v16, -v1, v15, 1.0
	v_fmac_f32_e32 v15, v16, v15
	v_div_scale_f32 v16, vcc, 1.0, v17, 1.0
	v_mul_f32_e32 v21, v16, v15
	v_fma_f32 v24, -v1, v21, v16
	v_fmac_f32_e32 v21, v24, v15
	v_fma_f32 v1, -v1, v21, v16
	v_pk_mov_b32 v[24:25], s[22:23], s[22:23] op_sel:[0,1]
	v_div_fmas_f32 v1, v1, v15, v21
	v_pk_fma_f32 v[26:27], v[14:15], s[12:13], v[24:25]
	v_pk_fma_f32 v[14:15], v[14:15], s[12:13], v[24:25] op_sel_hi:[0,1,1] neg_lo:[0,0,1] neg_hi:[0,0,1]
	v_div_fixup_f32 v16, v1, v17, 1.0
	v_mov_b32_e32 v27, v15
	v_pk_mul_f32 v[24:25], v[26:27], v[16:17] op_sel_hi:[1,0]
.LBB63_44:                              ;   in Loop: Header=BB63_5 Depth=1
	s_or_b64 exec, exec, s[2:3]
.LBB63_45:                              ;   in Loop: Header=BB63_5 Depth=1
	v_cmp_gt_f32_e32 vcc, 0, v11
	v_cndmask_b32_e64 v1, v11, -v11, vcc
	v_cmp_gt_f32_e32 vcc, 0, v10
	v_cndmask_b32_e64 v17, v10, -v10, vcc
	s_and_b64 vcc, exec, s[0:1]
	v_cmp_ge_f32_e64 s[2:3], v17, v1
	s_cbranch_vccnz .LBB63_55
; %bb.46:                               ;   in Loop: Header=BB63_5 Depth=1
                                        ; implicit-def: $vgpr16
                                        ; implicit-def: $vgpr14
	s_and_saveexec_b64 s[6:7], s[2:3]
	s_xor_b64 s[36:37], exec, s[6:7]
	s_cbranch_execz .LBB63_52
; %bb.47:                               ;   in Loop: Header=BB63_5 Depth=1
	v_cmp_neq_f32_e32 vcc, 0, v10
	v_cmp_neq_f32_e64 s[6:7], 0, v11
	s_or_b64 s[6:7], vcc, s[6:7]
                                        ; implicit-def: $vgpr16
                                        ; implicit-def: $vgpr14
	s_and_saveexec_b64 s[44:45], s[6:7]
	s_xor_b64 s[6:7], exec, s[44:45]
	s_cbranch_execz .LBB63_49
; %bb.48:                               ;   in Loop: Header=BB63_5 Depth=1
	v_div_scale_f32 v14, s[44:45], v10, v10, v11
	v_rcp_f32_e32 v15, v14
	v_div_scale_f32 v16, vcc, v11, v10, v11
	v_fma_f32 v21, -v14, v15, 1.0
	v_fmac_f32_e32 v15, v21, v15
	v_mul_f32_e32 v21, v16, v15
	v_fma_f32 v26, -v14, v21, v16
	v_fmac_f32_e32 v21, v26, v15
	v_fma_f32 v14, -v14, v21, v16
	v_div_fmas_f32 v14, v14, v15, v21
	v_div_fixup_f32 v15, v14, v10, v11
	v_fma_f32 v14, v11, v15, v10
	v_div_scale_f32 v16, s[44:45], v14, v14, 1.0
	v_rcp_f32_e32 v21, v16
	v_fma_f32 v26, -v16, v21, 1.0
	v_fmac_f32_e32 v21, v26, v21
	v_div_scale_f32 v26, vcc, 1.0, v14, 1.0
	v_mul_f32_e32 v27, v26, v21
	v_fma_f32 v28, -v16, v27, v26
	v_fmac_f32_e32 v27, v28, v21
	v_fma_f32 v16, -v16, v27, v26
	v_div_fmas_f32 v16, v16, v21, v27
	v_div_fixup_f32 v16, v16, v14, 1.0
	v_mov_b32_e32 v14, s12
	v_mov_b32_e32 v21, s13
	v_fma_f32 v14, s13, v15, v14
	v_fma_f32 v15, -v15, s12, v21
	v_mul_f32_e32 v14, v14, v16
	v_mul_f32_e32 v16, v15, v16
.LBB63_49:                              ;   in Loop: Header=BB63_5 Depth=1
	s_andn2_saveexec_b64 s[6:7], s[6:7]
	s_cbranch_execz .LBB63_51
; %bb.50:                               ;   in Loop: Header=BB63_5 Depth=1
	v_div_scale_f32 v14, s[44:45], v17, v17, s12
	v_rcp_f32_e32 v15, v14
	v_div_scale_f32 v16, vcc, s12, v17, s12
	v_fma_f32 v21, -v14, v15, 1.0
	v_fmac_f32_e32 v15, v21, v15
	v_mul_f32_e32 v21, v16, v15
	v_fma_f32 v26, -v14, v21, v16
	v_fmac_f32_e32 v21, v26, v15
	v_fma_f32 v14, -v14, v21, v16
	v_div_scale_f32 v16, s[44:45], v1, v1, s13
	v_rcp_f32_e32 v26, v16
	v_div_fmas_f32 v14, v14, v15, v21
	v_div_fixup_f32 v14, v14, v17, s12
	v_fma_f32 v15, -v16, v26, 1.0
	v_fmac_f32_e32 v26, v15, v26
	v_div_scale_f32 v15, vcc, s13, v1, s13
	v_mul_f32_e32 v21, v15, v26
	v_fma_f32 v27, -v16, v21, v15
	v_fmac_f32_e32 v21, v27, v26
	v_fma_f32 v15, -v16, v21, v15
	v_div_fmas_f32 v15, v15, v26, v21
	v_div_fixup_f32 v16, v15, v1, s13
.LBB63_51:                              ;   in Loop: Header=BB63_5 Depth=1
	s_or_b64 exec, exec, s[6:7]
.LBB63_52:                              ;   in Loop: Header=BB63_5 Depth=1
	s_andn2_saveexec_b64 s[6:7], s[36:37]
	s_cbranch_execz .LBB63_54
; %bb.53:                               ;   in Loop: Header=BB63_5 Depth=1
	v_div_scale_f32 v14, s[36:37], v11, v11, v10
	v_rcp_f32_e32 v15, v14
	v_div_scale_f32 v16, vcc, v10, v11, v10
	v_fma_f32 v21, -v14, v15, 1.0
	v_fmac_f32_e32 v15, v21, v15
	v_mul_f32_e32 v21, v16, v15
	v_fma_f32 v26, -v14, v21, v16
	v_fmac_f32_e32 v21, v26, v15
	v_fma_f32 v14, -v14, v21, v16
	v_div_fmas_f32 v14, v14, v15, v21
	v_div_fixup_f32 v15, v14, v11, v10
	v_fma_f32 v14, v10, v15, v11
	v_div_scale_f32 v16, s[36:37], v14, v14, 1.0
	v_rcp_f32_e32 v21, v16
	v_fma_f32 v26, -v16, v21, 1.0
	v_fmac_f32_e32 v21, v26, v21
	v_div_scale_f32 v26, vcc, 1.0, v14, 1.0
	v_mul_f32_e32 v27, v26, v21
	v_fma_f32 v28, -v16, v27, v26
	v_fmac_f32_e32 v27, v28, v21
	v_fma_f32 v16, -v16, v27, v26
	v_div_fmas_f32 v16, v16, v21, v27
	v_div_fixup_f32 v16, v16, v14, 1.0
	v_mov_b32_e32 v14, s13
	v_mov_b32_e32 v21, s12
	v_fma_f32 v14, s12, v15, v14
	v_fma_f32 v15, v15, s13, -v21
	v_mul_f32_e32 v14, v14, v16
	v_mul_f32_e32 v16, v15, v16
.LBB63_54:                              ;   in Loop: Header=BB63_5 Depth=1
	s_or_b64 exec, exec, s[6:7]
	v_pk_mul_f32 v[26:27], v[16:17], s[8:9] op_sel_hi:[0,1]
	v_pk_mul_f32 v[28:29], v[14:15], s[8:9] op_sel_hi:[0,1]
	v_pk_fma_f32 v[14:15], v[14:15], s[8:9], v[26:27] op_sel:[0,0,1] op_sel_hi:[0,1,0]
	v_sub_f32_e32 v14, v28, v27
	s_branch .LBB63_65
.LBB63_55:                              ;   in Loop: Header=BB63_5 Depth=1
                                        ; implicit-def: $vgpr15
	s_cbranch_execz .LBB63_65
; %bb.56:                               ;   in Loop: Header=BB63_5 Depth=1
                                        ; implicit-def: $vgpr15
	s_and_saveexec_b64 s[6:7], s[2:3]
	s_xor_b64 s[6:7], exec, s[6:7]
	s_cbranch_execz .LBB63_62
; %bb.57:                               ;   in Loop: Header=BB63_5 Depth=1
	v_cmp_neq_f32_e32 vcc, 0, v10
	v_cmp_neq_f32_e64 s[2:3], 0, v11
	s_or_b64 s[2:3], vcc, s[2:3]
                                        ; implicit-def: $vgpr15
	s_and_saveexec_b64 s[36:37], s[2:3]
	s_xor_b64 s[2:3], exec, s[36:37]
	s_cbranch_execz .LBB63_59
; %bb.58:                               ;   in Loop: Header=BB63_5 Depth=1
	v_div_scale_f32 v1, s[36:37], v10, v10, v11
	v_rcp_f32_e32 v14, v1
	v_div_scale_f32 v15, vcc, v11, v10, v11
	v_fma_f32 v16, -v1, v14, 1.0
	v_fmac_f32_e32 v14, v16, v14
	v_mul_f32_e32 v16, v15, v14
	v_fma_f32 v17, -v1, v16, v15
	v_fmac_f32_e32 v16, v17, v14
	v_fma_f32 v1, -v1, v16, v15
	v_div_fmas_f32 v1, v1, v14, v16
	v_div_fixup_f32 v14, v1, v10, v11
	v_fma_f32 v1, v11, v14, v10
	v_div_scale_f32 v15, s[36:37], v1, v1, 1.0
	v_rcp_f32_e32 v16, v15
	v_fma_f32 v17, -v15, v16, 1.0
	v_fmac_f32_e32 v16, v17, v16
	v_div_scale_f32 v17, vcc, 1.0, v1, 1.0
	v_mul_f32_e32 v21, v17, v16
	v_fma_f32 v26, -v15, v21, v17
	v_fmac_f32_e32 v21, v26, v16
	v_fma_f32 v15, -v15, v21, v17
	v_div_fmas_f32 v15, v15, v16, v21
	v_div_fixup_f32 v16, v15, v1, 1.0
	v_pk_mul_f32 v[14:15], v[14:15], s[12:13] op_sel_hi:[0,1]
	v_pk_add_f32 v[26:27], v[14:15], s[12:13] op_sel:[1,0] op_sel_hi:[0,1]
	v_pk_add_f32 v[14:15], s[12:13], v[14:15] op_sel:[0,1] op_sel_hi:[1,0] neg_lo:[0,1] neg_hi:[0,1]
	v_mov_b32_e32 v27, v15
	v_pk_mul_f32 v[14:15], v[26:27], v[16:17] op_sel_hi:[1,0]
                                        ; implicit-def: $vgpr17
                                        ; implicit-def: $vgpr1
.LBB63_59:                              ;   in Loop: Header=BB63_5 Depth=1
	s_andn2_saveexec_b64 s[2:3], s[2:3]
	s_cbranch_execz .LBB63_61
; %bb.60:                               ;   in Loop: Header=BB63_5 Depth=1
	v_div_scale_f32 v14, s[36:37], v17, v17, s12
	v_rcp_f32_e32 v15, v14
	v_div_scale_f32 v16, vcc, s12, v17, s12
	v_fma_f32 v21, -v14, v15, 1.0
	v_fmac_f32_e32 v15, v21, v15
	v_mul_f32_e32 v21, v16, v15
	v_fma_f32 v26, -v14, v21, v16
	v_fmac_f32_e32 v21, v26, v15
	v_fma_f32 v14, -v14, v21, v16
	v_div_scale_f32 v16, s[36:37], v1, v1, s13
	v_rcp_f32_e32 v26, v16
	v_div_fmas_f32 v14, v14, v15, v21
	v_div_fixup_f32 v14, v14, v17, s12
	v_fma_f32 v15, -v16, v26, 1.0
	v_fmac_f32_e32 v26, v15, v26
	v_div_scale_f32 v15, vcc, s13, v1, s13
	v_mul_f32_e32 v17, v15, v26
	v_fma_f32 v21, -v16, v17, v15
	v_fmac_f32_e32 v17, v21, v26
	v_fma_f32 v15, -v16, v17, v15
	v_div_fmas_f32 v15, v15, v26, v17
	v_div_fixup_f32 v15, v15, v1, s13
.LBB63_61:                              ;   in Loop: Header=BB63_5 Depth=1
	s_or_b64 exec, exec, s[2:3]
.LBB63_62:                              ;   in Loop: Header=BB63_5 Depth=1
	s_andn2_saveexec_b64 s[2:3], s[6:7]
	s_cbranch_execz .LBB63_64
; %bb.63:                               ;   in Loop: Header=BB63_5 Depth=1
	v_div_scale_f32 v1, s[6:7], v11, v11, v10
	v_rcp_f32_e32 v14, v1
	v_div_scale_f32 v15, vcc, v10, v11, v10
	v_fma_f32 v16, -v1, v14, 1.0
	v_fmac_f32_e32 v14, v16, v14
	v_mul_f32_e32 v16, v15, v14
	v_fma_f32 v17, -v1, v16, v15
	v_fmac_f32_e32 v16, v17, v14
	v_fma_f32 v1, -v1, v16, v15
	v_div_fmas_f32 v1, v1, v14, v16
	v_div_fixup_f32 v14, v1, v11, v10
	v_fma_f32 v1, v10, v14, v11
	v_div_scale_f32 v10, s[6:7], v1, v1, 1.0
	v_rcp_f32_e32 v11, v10
	v_fma_f32 v15, -v10, v11, 1.0
	v_fmac_f32_e32 v11, v15, v11
	v_div_scale_f32 v15, vcc, 1.0, v1, 1.0
	v_mul_f32_e32 v16, v15, v11
	v_fma_f32 v17, -v10, v16, v15
	v_fmac_f32_e32 v16, v17, v11
	v_fma_f32 v10, -v10, v16, v15
	v_div_fmas_f32 v10, v10, v11, v16
	v_pk_mov_b32 v[16:17], s[22:23], s[22:23] op_sel:[0,1]
	v_pk_fma_f32 v[26:27], v[14:15], s[12:13], v[16:17]
	v_pk_fma_f32 v[14:15], v[14:15], s[12:13], v[16:17] op_sel_hi:[0,1,1] neg_lo:[0,0,1] neg_hi:[0,0,1]
	v_div_fixup_f32 v10, v10, v1, 1.0
	v_mov_b32_e32 v27, v15
	v_pk_mul_f32 v[14:15], v[26:27], v[10:11] op_sel_hi:[1,0]
.LBB63_64:                              ;   in Loop: Header=BB63_5 Depth=1
	s_or_b64 exec, exec, s[2:3]
.LBB63_65:                              ;   in Loop: Header=BB63_5 Depth=1
	v_cmp_gt_f32_e32 vcc, 0, v13
	v_cndmask_b32_e64 v1, v13, -v13, vcc
	v_cmp_gt_f32_e32 vcc, 0, v12
	v_cndmask_b32_e64 v11, v12, -v12, vcc
	s_and_b64 vcc, exec, s[0:1]
	v_cmp_ge_f32_e64 s[0:1], v11, v1
	s_cbranch_vccnz .LBB63_75
; %bb.66:                               ;   in Loop: Header=BB63_5 Depth=1
                                        ; implicit-def: $vgpr16
                                        ; implicit-def: $vgpr10
	s_and_saveexec_b64 s[2:3], s[0:1]
	s_xor_b64 s[6:7], exec, s[2:3]
	s_cbranch_execz .LBB63_72
; %bb.67:                               ;   in Loop: Header=BB63_5 Depth=1
	v_cmp_neq_f32_e32 vcc, 0, v12
	v_cmp_neq_f32_e64 s[2:3], 0, v13
	s_or_b64 s[2:3], vcc, s[2:3]
                                        ; implicit-def: $vgpr16
                                        ; implicit-def: $vgpr10
	s_and_saveexec_b64 s[36:37], s[2:3]
	s_xor_b64 s[2:3], exec, s[36:37]
	s_cbranch_execz .LBB63_69
; %bb.68:                               ;   in Loop: Header=BB63_5 Depth=1
	v_div_scale_f32 v10, s[36:37], v12, v12, v13
	v_rcp_f32_e32 v16, v10
	v_div_scale_f32 v17, vcc, v13, v12, v13
	v_fma_f32 v21, -v10, v16, 1.0
	v_fmac_f32_e32 v16, v21, v16
	v_mul_f32_e32 v21, v17, v16
	v_fma_f32 v26, -v10, v21, v17
	v_fmac_f32_e32 v21, v26, v16
	v_fma_f32 v10, -v10, v21, v17
	v_div_fmas_f32 v10, v10, v16, v21
	v_div_fixup_f32 v16, v10, v12, v13
	v_fma_f32 v10, v13, v16, v12
	v_div_scale_f32 v17, s[36:37], v10, v10, 1.0
	v_rcp_f32_e32 v21, v17
	v_fma_f32 v26, -v17, v21, 1.0
	v_fmac_f32_e32 v21, v26, v21
	v_div_scale_f32 v26, vcc, 1.0, v10, 1.0
	v_mul_f32_e32 v27, v26, v21
	v_fma_f32 v28, -v17, v27, v26
	v_fmac_f32_e32 v27, v28, v21
	v_fma_f32 v17, -v17, v27, v26
	v_div_fmas_f32 v17, v17, v21, v27
	v_div_fixup_f32 v17, v17, v10, 1.0
	v_mov_b32_e32 v10, s12
	v_mov_b32_e32 v21, s13
	v_fma_f32 v10, s13, v16, v10
	v_fma_f32 v16, -v16, s12, v21
	v_mul_f32_e32 v10, v10, v17
	v_mul_f32_e32 v16, v16, v17
.LBB63_69:                              ;   in Loop: Header=BB63_5 Depth=1
	s_andn2_saveexec_b64 s[2:3], s[2:3]
	s_cbranch_execz .LBB63_71
; %bb.70:                               ;   in Loop: Header=BB63_5 Depth=1
	v_div_scale_f32 v10, s[36:37], v11, v11, s12
	v_rcp_f32_e32 v16, v10
	v_div_scale_f32 v17, vcc, s12, v11, s12
	v_fma_f32 v21, -v10, v16, 1.0
	v_fmac_f32_e32 v16, v21, v16
	v_mul_f32_e32 v21, v17, v16
	v_fma_f32 v26, -v10, v21, v17
	v_fmac_f32_e32 v21, v26, v16
	v_fma_f32 v10, -v10, v21, v17
	v_div_scale_f32 v17, s[36:37], v1, v1, s13
	v_rcp_f32_e32 v26, v17
	v_div_fmas_f32 v10, v10, v16, v21
	v_div_fixup_f32 v10, v10, v11, s12
	v_fma_f32 v16, -v17, v26, 1.0
	v_fmac_f32_e32 v26, v16, v26
	v_div_scale_f32 v16, vcc, s13, v1, s13
	v_mul_f32_e32 v21, v16, v26
	v_fma_f32 v27, -v17, v21, v16
	v_fmac_f32_e32 v21, v27, v26
	v_fma_f32 v16, -v17, v21, v16
	v_div_fmas_f32 v16, v16, v26, v21
	v_div_fixup_f32 v16, v16, v1, s13
.LBB63_71:                              ;   in Loop: Header=BB63_5 Depth=1
	s_or_b64 exec, exec, s[2:3]
.LBB63_72:                              ;   in Loop: Header=BB63_5 Depth=1
	s_andn2_saveexec_b64 s[2:3], s[6:7]
	s_cbranch_execz .LBB63_74
; %bb.73:                               ;   in Loop: Header=BB63_5 Depth=1
	v_div_scale_f32 v10, s[6:7], v13, v13, v12
	v_rcp_f32_e32 v16, v10
	v_div_scale_f32 v17, vcc, v12, v13, v12
	v_fma_f32 v21, -v10, v16, 1.0
	v_fmac_f32_e32 v16, v21, v16
	v_mul_f32_e32 v21, v17, v16
	v_fma_f32 v26, -v10, v21, v17
	v_fmac_f32_e32 v21, v26, v16
	v_fma_f32 v10, -v10, v21, v17
	v_div_fmas_f32 v10, v10, v16, v21
	v_div_fixup_f32 v16, v10, v13, v12
	v_fma_f32 v10, v12, v16, v13
	v_div_scale_f32 v17, s[6:7], v10, v10, 1.0
	v_rcp_f32_e32 v21, v17
	v_fma_f32 v26, -v17, v21, 1.0
	v_fmac_f32_e32 v21, v26, v21
	v_div_scale_f32 v26, vcc, 1.0, v10, 1.0
	v_mul_f32_e32 v27, v26, v21
	v_fma_f32 v28, -v17, v27, v26
	v_fmac_f32_e32 v27, v28, v21
	v_fma_f32 v17, -v17, v27, v26
	v_div_fmas_f32 v17, v17, v21, v27
	v_div_fixup_f32 v17, v17, v10, 1.0
	v_mov_b32_e32 v10, s13
	v_mov_b32_e32 v21, s12
	v_fma_f32 v10, s12, v16, v10
	v_fma_f32 v16, v16, s13, -v21
	v_mul_f32_e32 v10, v10, v17
	v_mul_f32_e32 v16, v16, v17
.LBB63_74:                              ;   in Loop: Header=BB63_5 Depth=1
	s_or_b64 exec, exec, s[2:3]
	v_pk_mul_f32 v[26:27], v[16:17], s[8:9] op_sel_hi:[0,1]
	v_pk_mul_f32 v[28:29], v[10:11], s[8:9] op_sel_hi:[0,1]
	v_pk_fma_f32 v[16:17], v[10:11], s[8:9], v[26:27] op_sel:[0,0,1] op_sel_hi:[0,1,0]
	v_sub_f32_e32 v16, v28, v27
	s_branch .LBB63_4
.LBB63_75:                              ;   in Loop: Header=BB63_5 Depth=1
                                        ; implicit-def: $vgpr17
	s_cbranch_execz .LBB63_4
; %bb.76:                               ;   in Loop: Header=BB63_5 Depth=1
                                        ; implicit-def: $vgpr17
	s_and_saveexec_b64 s[2:3], s[0:1]
	s_xor_b64 s[2:3], exec, s[2:3]
	s_cbranch_execz .LBB63_82
; %bb.77:                               ;   in Loop: Header=BB63_5 Depth=1
	v_cmp_neq_f32_e32 vcc, 0, v12
	v_cmp_neq_f32_e64 s[0:1], 0, v13
	s_or_b64 s[0:1], vcc, s[0:1]
                                        ; implicit-def: $vgpr17
	s_and_saveexec_b64 s[6:7], s[0:1]
	s_xor_b64 s[0:1], exec, s[6:7]
	s_cbranch_execz .LBB63_79
; %bb.78:                               ;   in Loop: Header=BB63_5 Depth=1
	v_div_scale_f32 v1, s[6:7], v12, v12, v13
	v_rcp_f32_e32 v10, v1
	v_div_scale_f32 v11, vcc, v13, v12, v13
	v_fma_f32 v16, -v1, v10, 1.0
	v_fmac_f32_e32 v10, v16, v10
	v_mul_f32_e32 v16, v11, v10
	v_fma_f32 v17, -v1, v16, v11
	v_fmac_f32_e32 v16, v17, v10
	v_fma_f32 v1, -v1, v16, v11
	v_div_fmas_f32 v1, v1, v10, v16
	v_div_fixup_f32 v10, v1, v12, v13
	v_fmac_f32_e32 v12, v13, v10
	v_div_scale_f32 v1, s[6:7], v12, v12, 1.0
	v_rcp_f32_e32 v11, v1
	v_fma_f32 v13, -v1, v11, 1.0
	v_fmac_f32_e32 v11, v13, v11
	v_div_scale_f32 v13, vcc, 1.0, v12, 1.0
	v_mul_f32_e32 v16, v13, v11
	v_fma_f32 v17, -v1, v16, v13
	v_fmac_f32_e32 v16, v17, v11
	v_fma_f32 v1, -v1, v16, v13
	v_div_fmas_f32 v1, v1, v11, v16
	v_pk_mul_f32 v[10:11], v[10:11], s[12:13] op_sel_hi:[0,1]
	v_pk_add_f32 v[16:17], v[10:11], s[12:13] op_sel:[1,0] op_sel_hi:[0,1]
	v_pk_add_f32 v[10:11], s[12:13], v[10:11] op_sel:[0,1] op_sel_hi:[1,0] neg_lo:[0,1] neg_hi:[0,1]
	v_div_fixup_f32 v12, v1, v12, 1.0
	v_mov_b32_e32 v17, v11
	v_pk_mul_f32 v[16:17], v[16:17], v[12:13] op_sel_hi:[1,0]
                                        ; implicit-def: $vgpr11
                                        ; implicit-def: $vgpr1
.LBB63_79:                              ;   in Loop: Header=BB63_5 Depth=1
	s_andn2_saveexec_b64 s[0:1], s[0:1]
	s_cbranch_execz .LBB63_81
; %bb.80:                               ;   in Loop: Header=BB63_5 Depth=1
	v_div_scale_f32 v10, s[6:7], v11, v11, s12
	v_rcp_f32_e32 v12, v10
	v_div_scale_f32 v13, vcc, s12, v11, s12
	v_fma_f32 v16, -v10, v12, 1.0
	v_fmac_f32_e32 v12, v16, v12
	v_mul_f32_e32 v16, v13, v12
	v_fma_f32 v17, -v10, v16, v13
	v_fmac_f32_e32 v16, v17, v12
	v_fma_f32 v10, -v10, v16, v13
	v_div_scale_f32 v13, s[6:7], v1, v1, s13
	v_rcp_f32_e32 v17, v13
	v_div_fmas_f32 v10, v10, v12, v16
	v_div_fixup_f32 v16, v10, v11, s12
	v_fma_f32 v10, -v13, v17, 1.0
	v_fmac_f32_e32 v17, v10, v17
	v_div_scale_f32 v10, vcc, s13, v1, s13
	v_mul_f32_e32 v11, v10, v17
	v_fma_f32 v12, -v13, v11, v10
	v_fmac_f32_e32 v11, v12, v17
	v_fma_f32 v10, -v13, v11, v10
	v_div_fmas_f32 v10, v10, v17, v11
	v_div_fixup_f32 v17, v10, v1, s13
.LBB63_81:                              ;   in Loop: Header=BB63_5 Depth=1
	s_or_b64 exec, exec, s[0:1]
                                        ; implicit-def: $vgpr10_vgpr11_vgpr12_vgpr13
.LBB63_82:                              ;   in Loop: Header=BB63_5 Depth=1
	s_andn2_saveexec_b64 s[0:1], s[2:3]
	s_cbranch_execz .LBB63_3
; %bb.83:                               ;   in Loop: Header=BB63_5 Depth=1
	v_div_scale_f32 v1, s[2:3], v13, v13, v12
	v_rcp_f32_e32 v10, v1
	v_div_scale_f32 v11, vcc, v12, v13, v12
	v_fma_f32 v16, -v1, v10, 1.0
	v_fmac_f32_e32 v10, v16, v10
	v_mul_f32_e32 v16, v11, v10
	v_fma_f32 v17, -v1, v16, v11
	v_fmac_f32_e32 v16, v17, v10
	v_fma_f32 v1, -v1, v16, v11
	v_div_fmas_f32 v1, v1, v10, v16
	v_div_fixup_f32 v10, v1, v13, v12
	v_fmac_f32_e32 v13, v12, v10
	v_div_scale_f32 v1, s[2:3], v13, v13, 1.0
	v_rcp_f32_e32 v11, v1
	v_fma_f32 v12, -v1, v11, 1.0
	v_fmac_f32_e32 v11, v12, v11
	v_div_scale_f32 v12, vcc, 1.0, v13, 1.0
	v_mul_f32_e32 v16, v12, v11
	v_fma_f32 v17, -v1, v16, v12
	v_fmac_f32_e32 v16, v17, v11
	v_fma_f32 v1, -v1, v16, v12
	v_div_fmas_f32 v1, v1, v11, v16
	v_pk_mov_b32 v[16:17], s[22:23], s[22:23] op_sel:[0,1]
	v_pk_fma_f32 v[26:27], v[10:11], s[12:13], v[16:17]
	v_pk_fma_f32 v[10:11], v[10:11], s[12:13], v[16:17] op_sel_hi:[0,1,1] neg_lo:[0,0,1] neg_hi:[0,0,1]
	v_div_fixup_f32 v12, v1, v13, 1.0
	v_mov_b32_e32 v27, v11
	v_pk_mul_f32 v[16:17], v[26:27], v[12:13] op_sel_hi:[1,0]
	s_branch .LBB63_3
.LBB63_84:
	s_or_b64 exec, exec, s[18:19]
	s_mov_b64 s[0:1], 0
.LBB63_85:
	s_andn2_b64 vcc, exec, s[0:1]
	s_cbranch_vccnz .LBB63_185
; %bb.86:
	v_cmp_lt_i64_e64 s[0:1], s[14:15], 1
	s_and_b64 vcc, exec, s[0:1]
	s_cbranch_vccnz .LBB63_185
; %bb.87:
	s_load_dword s2, s[4:5], 0xc04
	s_and_b32 s3, s9, 0x7fffffff
	v_mov_b32_e32 v2, 0x10000
	v_cmp_neq_f32_e64 s[0:1], s8, 1.0
	v_mov_b32_e32 v3, 0
	s_waitcnt lgkmcnt(0)
	s_and_b32 s31, s2, 0xffff
	s_cmp_lg_u32 s3, 0
	s_cselect_b64 s[2:3], -1, 0
	s_or_b64 s[6:7], s[0:1], s[2:3]
	v_cmp_lt_u64_e32 vcc, s[14:15], v[2:3]
	v_lshlrev_b32_e32 v14, 3, v0
	s_and_b64 s[0:1], vcc, exec
	v_mov_b32_e32 v21, s29
	v_add_co_u32_e32 v2, vcc, s28, v14
	v_addc_co_u32_e32 v3, vcc, 0, v21, vcc
	v_mov_b32_e32 v23, s27
	v_add_co_u32_e32 v4, vcc, s26, v14
	v_mov_b32_e32 v1, 0
	v_addc_co_u32_e32 v5, vcc, 0, v23, vcc
	v_mov_b32_e32 v15, v1
	v_mov_b32_e32 v25, s25
	v_add_co_u32_e32 v6, vcc, s24, v14
	v_addc_co_u32_e32 v7, vcc, 0, v25, vcc
	v_mad_u64_u32 v[12:13], s[0:1], s31, 24, v[14:15]
	v_add_co_u32_e32 v8, vcc, s28, v12
	v_addc_co_u32_e32 v9, vcc, v21, v13, vcc
	v_add_co_u32_e32 v10, vcc, s26, v12
	v_addc_co_u32_e32 v11, vcc, v23, v13, vcc
	v_add_co_u32_e32 v12, vcc, s24, v12
	s_cselect_b32 s21, s15, 0
	s_cselect_b32 s20, s14, 0x10000
	v_addc_co_u32_e32 v13, vcc, v25, v13, vcc
	s_lshl_b32 s0, s31, 4
	v_add_co_u32_e32 v18, vcc, s0, v14
	v_addc_co_u32_e64 v19, s[0:1], 0, 0, vcc
	v_add_co_u32_e32 v14, vcc, s28, v18
	v_addc_co_u32_e32 v15, vcc, v21, v19, vcc
	v_add_co_u32_e32 v16, vcc, s26, v18
	v_addc_co_u32_e32 v17, vcc, v23, v19, vcc
	;; [unrolled: 2-line block ×3, first 2 shown]
	v_add_lshl_u32 v24, v0, s31, 3
	v_add_co_u32_e32 v20, vcc, s28, v24
	v_addc_co_u32_e32 v21, vcc, 0, v21, vcc
	v_add_co_u32_e32 v22, vcc, s26, v24
	s_mov_b32 s30, 0
	v_addc_co_u32_e32 v23, vcc, 0, v23, vcc
	s_lshl_b32 s22, s31, 2
	s_mov_b32 s23, s30
	v_add_co_u32_e32 v24, vcc, s24, v24
	s_mov_b32 s16, s13
	s_mov_b32 s17, s12
	s_mov_b64 s[18:19], 0x10000
	s_lshl_b32 s33, s31, 1
	s_mov_b32 s34, s30
	s_mul_i32 s35, s31, 3
	s_mov_b32 s36, s30
	s_lshl_b32 s29, s31, 5
	s_mov_b32 s37, s30
	v_addc_co_u32_e32 v25, vcc, 0, v25, vcc
	s_mov_b64 s[24:25], s[22:23]
	s_branch .LBB63_89
.LBB63_88:                              ;   in Loop: Header=BB63_89 Depth=1
	s_or_b64 exec, exec, s[0:1]
	v_pk_mov_b32 v[26:27], s[14:15], s[14:15] op_sel:[0,1]
	v_cmp_ge_i64_e32 vcc, s[24:25], v[26:27]
	v_mov_b32_e32 v26, 0xffff
	v_mov_b32_e32 v27, 0
	v_cmp_gt_u64_e64 s[0:1], s[24:25], v[26:27]
	s_or_b64 s[0:1], vcc, s[0:1]
	v_mov_b32_e32 v26, s37
	v_add_co_u32_e32 v2, vcc, s29, v2
	v_addc_co_u32_e32 v3, vcc, v3, v26, vcc
	v_add_co_u32_e32 v4, vcc, s29, v4
	v_addc_co_u32_e32 v5, vcc, v5, v26, vcc
	;; [unrolled: 2-line block ×3, first 2 shown]
	v_mov_b32_e32 v27, s23
	v_add_co_u32_e32 v0, vcc, s22, v0
	v_addc_co_u32_e32 v1, vcc, v1, v27, vcc
	v_add_co_u32_e32 v8, vcc, s29, v8
	v_addc_co_u32_e32 v9, vcc, v9, v26, vcc
	;; [unrolled: 2-line block ×9, first 2 shown]
	v_add_co_u32_e32 v24, vcc, s29, v24
	s_add_u32 s24, s24, s22
	v_addc_co_u32_e32 v25, vcc, v25, v26, vcc
	s_addc_u32 s25, s25, 0
	s_and_b64 vcc, exec, s[0:1]
	s_cbranch_vccnz .LBB63_185
.LBB63_89:                              ; =>This Inner Loop Header: Depth=1
	v_cmp_gt_i64_e32 vcc, s[14:15], v[0:1]
	v_cmp_gt_u64_e64 s[0:1], s[18:19], v[0:1]
	s_and_b64 s[2:3], vcc, s[0:1]
	v_mov_b32_e32 v26, 0
	v_mov_b32_e32 v27, 0
	;; [unrolled: 1-line block ×4, first 2 shown]
	s_and_saveexec_b64 s[0:1], s[2:3]
	s_cbranch_execz .LBB63_91
; %bb.90:                               ;   in Loop: Header=BB63_89 Depth=1
	v_mov_b32_e32 v26, s11
	v_add_co_u32_e32 v28, vcc, s10, v4
	v_addc_co_u32_e32 v29, vcc, v5, v26, vcc
	v_add_co_u32_e32 v30, vcc, s10, v2
	v_addc_co_u32_e32 v31, vcc, v3, v26, vcc
	global_load_dwordx2 v[26:27], v[30:31], off
	global_load_dwordx2 v[46:47], v[28:29], off
.LBB63_91:                              ;   in Loop: Header=BB63_89 Depth=1
	s_or_b64 exec, exec, s[0:1]
	v_mov_b32_e32 v28, s30
	v_add_co_u32_e32 v30, vcc, s31, v0
	v_addc_co_u32_e32 v31, vcc, v28, v1, vcc
	v_cmp_gt_i64_e32 vcc, s[14:15], v[30:31]
	v_cmp_gt_u64_e64 s[0:1], s[18:19], v[30:31]
	s_and_b64 s[2:3], vcc, s[0:1]
	v_mov_b32_e32 v28, 0
	v_mov_b32_e32 v32, 0
	;; [unrolled: 1-line block ×5, first 2 shown]
	s_and_saveexec_b64 s[0:1], s[2:3]
	s_cbranch_execz .LBB63_93
; %bb.92:                               ;   in Loop: Header=BB63_89 Depth=1
	v_mov_b32_e32 v29, s11
	v_add_co_u32_e32 v34, vcc, s10, v22
	v_addc_co_u32_e32 v35, vcc, v23, v29, vcc
	v_add_co_u32_e32 v36, vcc, s10, v20
	v_addc_co_u32_e32 v37, vcc, v21, v29, vcc
	global_load_dwordx2 v[32:33], v[36:37], off
	global_load_dwordx2 v[48:49], v[34:35], off
.LBB63_93:                              ;   in Loop: Header=BB63_89 Depth=1
	s_or_b64 exec, exec, s[0:1]
	v_mov_b32_e32 v29, s34
	v_add_co_u32_e32 v34, vcc, s33, v0
	v_addc_co_u32_e32 v35, vcc, v29, v1, vcc
	v_cmp_gt_i64_e32 vcc, s[14:15], v[34:35]
	v_cmp_gt_u64_e64 s[0:1], s[18:19], v[34:35]
	s_and_b64 s[2:3], vcc, s[0:1]
	v_mov_b32_e32 v29, 0
	v_mov_b32_e32 v44, 0
	;; [unrolled: 1-line block ×3, first 2 shown]
	s_and_saveexec_b64 s[0:1], s[2:3]
	s_cbranch_execz .LBB63_95
; %bb.94:                               ;   in Loop: Header=BB63_89 Depth=1
	v_mov_b32_e32 v28, s11
	v_add_co_u32_e32 v36, vcc, s10, v16
	v_addc_co_u32_e32 v37, vcc, v17, v28, vcc
	v_add_co_u32_e32 v38, vcc, s10, v14
	v_addc_co_u32_e32 v39, vcc, v15, v28, vcc
	global_load_dwordx2 v[28:29], v[38:39], off
	global_load_dwordx2 v[44:45], v[36:37], off
.LBB63_95:                              ;   in Loop: Header=BB63_89 Depth=1
	s_or_b64 exec, exec, s[0:1]
	v_mov_b32_e32 v37, s36
	v_add_co_u32_e32 v36, vcc, s35, v0
	v_addc_co_u32_e32 v37, vcc, v37, v1, vcc
	v_cmp_gt_i64_e32 vcc, s[14:15], v[36:37]
	v_cmp_gt_u64_e64 s[0:1], s[18:19], v[36:37]
	s_and_b64 s[2:3], vcc, s[0:1]
	v_mov_b32_e32 v38, 0
	v_mov_b32_e32 v39, 0
	;; [unrolled: 1-line block ×4, first 2 shown]
	s_and_saveexec_b64 s[0:1], s[2:3]
	s_cbranch_execz .LBB63_97
; %bb.96:                               ;   in Loop: Header=BB63_89 Depth=1
	v_mov_b32_e32 v38, s11
	v_add_co_u32_e32 v42, vcc, s10, v10
	v_addc_co_u32_e32 v43, vcc, v11, v38, vcc
	v_add_co_u32_e32 v50, vcc, s10, v8
	v_addc_co_u32_e32 v51, vcc, v9, v38, vcc
	global_load_dwordx2 v[38:39], v[50:51], off
	global_load_dwordx2 v[40:41], v[42:43], off
.LBB63_97:                              ;   in Loop: Header=BB63_89 Depth=1
	s_or_b64 exec, exec, s[0:1]
	s_waitcnt vmcnt(0)
	v_cmp_gt_f32_e32 vcc, 0, v47
	v_cndmask_b32_e64 v51, v47, -v47, vcc
	v_cmp_gt_f32_e32 vcc, 0, v46
	v_cndmask_b32_e64 v52, v46, -v46, vcc
	v_cmp_ge_f32_e64 s[0:1], v52, v51
	s_and_b64 vcc, exec, s[6:7]
	s_cbranch_vccz .LBB63_107
; %bb.98:                               ;   in Loop: Header=BB63_89 Depth=1
                                        ; implicit-def: $vgpr50
                                        ; implicit-def: $vgpr42
	s_and_saveexec_b64 s[2:3], s[0:1]
	s_xor_b64 s[4:5], exec, s[2:3]
	s_cbranch_execz .LBB63_104
; %bb.99:                               ;   in Loop: Header=BB63_89 Depth=1
	v_cmp_neq_f32_e32 vcc, 0, v46
	v_cmp_neq_f32_e64 s[2:3], 0, v47
	s_or_b64 s[2:3], s[2:3], vcc
                                        ; implicit-def: $vgpr50
                                        ; implicit-def: $vgpr42
	s_and_saveexec_b64 s[26:27], s[2:3]
	s_xor_b64 s[2:3], exec, s[26:27]
	s_cbranch_execz .LBB63_101
; %bb.100:                              ;   in Loop: Header=BB63_89 Depth=1
	v_div_scale_f32 v42, s[26:27], v46, v46, v47
	v_rcp_f32_e32 v43, v42
	v_div_scale_f32 v50, vcc, v47, v46, v47
	v_fma_f32 v53, -v42, v43, 1.0
	v_fmac_f32_e32 v43, v53, v43
	v_mul_f32_e32 v53, v50, v43
	v_fma_f32 v54, -v42, v53, v50
	v_fmac_f32_e32 v53, v54, v43
	v_fma_f32 v42, -v42, v53, v50
	v_div_fmas_f32 v42, v42, v43, v53
	v_div_fixup_f32 v43, v42, v46, v47
	v_fma_f32 v42, v47, v43, v46
	v_div_scale_f32 v50, s[26:27], v42, v42, 1.0
	v_rcp_f32_e32 v53, v50
	v_fma_f32 v54, -v50, v53, 1.0
	v_fmac_f32_e32 v53, v54, v53
	v_div_scale_f32 v54, vcc, 1.0, v42, 1.0
	v_mul_f32_e32 v55, v54, v53
	v_fma_f32 v56, -v50, v55, v54
	v_fmac_f32_e32 v55, v56, v53
	v_fma_f32 v50, -v50, v55, v54
	v_div_fmas_f32 v50, v50, v53, v55
	v_div_fixup_f32 v50, v50, v42, 1.0
	v_mov_b32_e32 v42, s12
	v_mov_b32_e32 v53, s13
	v_fma_f32 v42, s13, v43, v42
	v_fma_f32 v43, -v43, s12, v53
	v_mul_f32_e32 v42, v42, v50
	v_mul_f32_e32 v50, v43, v50
.LBB63_101:                             ;   in Loop: Header=BB63_89 Depth=1
	s_andn2_saveexec_b64 s[2:3], s[2:3]
	s_cbranch_execz .LBB63_103
; %bb.102:                              ;   in Loop: Header=BB63_89 Depth=1
	v_div_scale_f32 v42, s[26:27], v52, v52, s12
	v_rcp_f32_e32 v43, v42
	v_div_scale_f32 v50, vcc, s12, v52, s12
	v_fma_f32 v53, -v42, v43, 1.0
	v_fmac_f32_e32 v43, v53, v43
	v_mul_f32_e32 v53, v50, v43
	v_fma_f32 v54, -v42, v53, v50
	v_fmac_f32_e32 v53, v54, v43
	v_fma_f32 v42, -v42, v53, v50
	v_div_scale_f32 v50, s[26:27], v51, v51, s13
	v_rcp_f32_e32 v54, v50
	v_div_fmas_f32 v42, v42, v43, v53
	v_div_fixup_f32 v42, v42, v52, s12
	v_fma_f32 v43, -v50, v54, 1.0
	v_fmac_f32_e32 v54, v43, v54
	v_div_scale_f32 v43, vcc, s13, v51, s13
	v_mul_f32_e32 v53, v43, v54
	v_fma_f32 v55, -v50, v53, v43
	v_fmac_f32_e32 v53, v55, v54
	v_fma_f32 v43, -v50, v53, v43
	v_div_fmas_f32 v43, v43, v54, v53
	v_div_fixup_f32 v50, v43, v51, s13
.LBB63_103:                             ;   in Loop: Header=BB63_89 Depth=1
	s_or_b64 exec, exec, s[2:3]
.LBB63_104:                             ;   in Loop: Header=BB63_89 Depth=1
	s_andn2_saveexec_b64 s[2:3], s[4:5]
	s_cbranch_execz .LBB63_106
; %bb.105:                              ;   in Loop: Header=BB63_89 Depth=1
	v_div_scale_f32 v42, s[4:5], v47, v47, v46
	v_rcp_f32_e32 v43, v42
	v_div_scale_f32 v50, vcc, v46, v47, v46
	v_fma_f32 v53, -v42, v43, 1.0
	v_fmac_f32_e32 v43, v53, v43
	v_mul_f32_e32 v53, v50, v43
	v_fma_f32 v54, -v42, v53, v50
	v_fmac_f32_e32 v53, v54, v43
	v_fma_f32 v42, -v42, v53, v50
	v_div_fmas_f32 v42, v42, v43, v53
	v_div_fixup_f32 v43, v42, v47, v46
	v_fma_f32 v42, v46, v43, v47
	v_div_scale_f32 v50, s[4:5], v42, v42, 1.0
	v_rcp_f32_e32 v53, v50
	v_fma_f32 v54, -v50, v53, 1.0
	v_fmac_f32_e32 v53, v54, v53
	v_div_scale_f32 v54, vcc, 1.0, v42, 1.0
	v_mul_f32_e32 v55, v54, v53
	v_fma_f32 v56, -v50, v55, v54
	v_fmac_f32_e32 v55, v56, v53
	v_fma_f32 v50, -v50, v55, v54
	v_div_fmas_f32 v50, v50, v53, v55
	v_div_fixup_f32 v50, v50, v42, 1.0
	v_mov_b32_e32 v42, s13
	v_mov_b32_e32 v53, s12
	v_fma_f32 v42, s12, v43, v42
	v_fma_f32 v43, v43, s13, -v53
	v_mul_f32_e32 v42, v42, v50
	v_mul_f32_e32 v50, v43, v50
.LBB63_106:                             ;   in Loop: Header=BB63_89 Depth=1
	s_or_b64 exec, exec, s[2:3]
	v_pk_mul_f32 v[54:55], v[50:51], s[8:9] op_sel_hi:[0,1]
	v_pk_mul_f32 v[56:57], v[42:43], s[8:9] op_sel_hi:[0,1]
	v_pk_fma_f32 v[42:43], v[42:43], s[8:9], v[54:55] op_sel:[0,0,1] op_sel_hi:[0,1,0]
	v_sub_f32_e32 v42, v56, v55
	s_branch .LBB63_117
.LBB63_107:                             ;   in Loop: Header=BB63_89 Depth=1
                                        ; implicit-def: $vgpr43
	s_cbranch_execz .LBB63_117
; %bb.108:                              ;   in Loop: Header=BB63_89 Depth=1
                                        ; implicit-def: $vgpr43
	s_and_saveexec_b64 s[2:3], s[0:1]
	s_xor_b64 s[2:3], exec, s[2:3]
	s_cbranch_execz .LBB63_114
; %bb.109:                              ;   in Loop: Header=BB63_89 Depth=1
	v_cmp_neq_f32_e32 vcc, 0, v46
	v_cmp_neq_f32_e64 s[0:1], 0, v47
	s_or_b64 s[0:1], s[0:1], vcc
                                        ; implicit-def: $vgpr43
	s_and_saveexec_b64 s[4:5], s[0:1]
	s_xor_b64 s[0:1], exec, s[4:5]
	s_cbranch_execz .LBB63_111
; %bb.110:                              ;   in Loop: Header=BB63_89 Depth=1
	v_div_scale_f32 v42, s[4:5], v46, v46, v47
	v_rcp_f32_e32 v43, v42
	v_div_scale_f32 v50, vcc, v47, v46, v47
	v_fma_f32 v51, -v42, v43, 1.0
	v_fmac_f32_e32 v43, v51, v43
	v_mul_f32_e32 v51, v50, v43
	v_fma_f32 v52, -v42, v51, v50
	v_fmac_f32_e32 v51, v52, v43
	v_fma_f32 v42, -v42, v51, v50
	v_div_fmas_f32 v42, v42, v43, v51
	v_div_fixup_f32 v42, v42, v46, v47
	v_fmac_f32_e32 v46, v47, v42
	v_div_scale_f32 v43, s[4:5], v46, v46, 1.0
	v_rcp_f32_e32 v47, v43
	v_fma_f32 v50, -v43, v47, 1.0
	v_fmac_f32_e32 v47, v50, v47
	v_div_scale_f32 v50, vcc, 1.0, v46, 1.0
	v_mul_f32_e32 v51, v50, v47
	v_fma_f32 v52, -v43, v51, v50
	v_fmac_f32_e32 v51, v52, v47
	v_fma_f32 v43, -v43, v51, v50
	v_div_fmas_f32 v43, v43, v47, v51
	v_div_fixup_f32 v46, v43, v46, 1.0
	v_pk_mul_f32 v[42:43], v[42:43], s[12:13] op_sel_hi:[0,1]
	v_pk_add_f32 v[50:51], v[42:43], s[12:13] op_sel:[1,0] op_sel_hi:[0,1]
	v_pk_add_f32 v[42:43], s[12:13], v[42:43] op_sel:[0,1] op_sel_hi:[1,0] neg_lo:[0,1] neg_hi:[0,1]
	v_mov_b32_e32 v51, v43
	v_pk_mul_f32 v[42:43], v[50:51], v[46:47] op_sel_hi:[1,0]
                                        ; implicit-def: $vgpr52
                                        ; implicit-def: $vgpr51
.LBB63_111:                             ;   in Loop: Header=BB63_89 Depth=1
	s_andn2_saveexec_b64 s[0:1], s[0:1]
	s_cbranch_execz .LBB63_113
; %bb.112:                              ;   in Loop: Header=BB63_89 Depth=1
	v_div_scale_f32 v42, s[4:5], v52, v52, s12
	v_rcp_f32_e32 v43, v42
	v_div_scale_f32 v46, vcc, s12, v52, s12
	v_fma_f32 v47, -v42, v43, 1.0
	v_fmac_f32_e32 v43, v47, v43
	v_mul_f32_e32 v47, v46, v43
	v_fma_f32 v50, -v42, v47, v46
	v_fmac_f32_e32 v47, v50, v43
	v_fma_f32 v42, -v42, v47, v46
	v_div_scale_f32 v46, s[4:5], v51, v51, s13
	v_rcp_f32_e32 v50, v46
	v_div_fmas_f32 v42, v42, v43, v47
	v_div_fixup_f32 v42, v42, v52, s12
	v_fma_f32 v43, -v46, v50, 1.0
	v_fmac_f32_e32 v50, v43, v50
	v_div_scale_f32 v43, vcc, s13, v51, s13
	v_mul_f32_e32 v47, v43, v50
	v_fma_f32 v52, -v46, v47, v43
	v_fmac_f32_e32 v47, v52, v50
	v_fma_f32 v43, -v46, v47, v43
	v_div_fmas_f32 v43, v43, v50, v47
	v_div_fixup_f32 v43, v43, v51, s13
.LBB63_113:                             ;   in Loop: Header=BB63_89 Depth=1
	s_or_b64 exec, exec, s[0:1]
                                        ; implicit-def: $vgpr47
.LBB63_114:                             ;   in Loop: Header=BB63_89 Depth=1
	s_andn2_saveexec_b64 s[0:1], s[2:3]
	s_cbranch_execz .LBB63_116
; %bb.115:                              ;   in Loop: Header=BB63_89 Depth=1
	v_div_scale_f32 v42, s[2:3], v47, v47, v46
	v_rcp_f32_e32 v43, v42
	v_div_scale_f32 v50, vcc, v46, v47, v46
	v_fma_f32 v51, -v42, v43, 1.0
	v_fmac_f32_e32 v43, v51, v43
	v_mul_f32_e32 v51, v50, v43
	v_fma_f32 v52, -v42, v51, v50
	v_fmac_f32_e32 v51, v52, v43
	v_fma_f32 v42, -v42, v51, v50
	v_div_fmas_f32 v42, v42, v43, v51
	v_div_fixup_f32 v42, v42, v47, v46
	v_fmac_f32_e32 v47, v46, v42
	v_div_scale_f32 v43, s[2:3], v47, v47, 1.0
	v_rcp_f32_e32 v46, v43
	v_fma_f32 v50, -v43, v46, 1.0
	v_fmac_f32_e32 v46, v50, v46
	v_div_scale_f32 v50, vcc, 1.0, v47, 1.0
	v_mul_f32_e32 v51, v50, v46
	v_fma_f32 v52, -v43, v51, v50
	v_fmac_f32_e32 v51, v52, v46
	v_fma_f32 v43, -v43, v51, v50
	v_div_fmas_f32 v43, v43, v46, v51
	v_pk_mov_b32 v[50:51], s[16:17], s[16:17] op_sel:[0,1]
	v_div_fixup_f32 v46, v43, v47, 1.0
	v_pk_fma_f32 v[52:53], v[42:43], s[12:13], v[50:51]
	v_pk_fma_f32 v[42:43], v[42:43], s[12:13], v[50:51] op_sel_hi:[0,1,1] neg_lo:[0,0,1] neg_hi:[0,0,1]
	v_mov_b32_e32 v53, v43
	v_pk_mul_f32 v[42:43], v[52:53], v[46:47] op_sel_hi:[1,0]
.LBB63_116:                             ;   in Loop: Header=BB63_89 Depth=1
	s_or_b64 exec, exec, s[0:1]
.LBB63_117:                             ;   in Loop: Header=BB63_89 Depth=1
	v_cmp_gt_f32_e32 vcc, 0, v49
	v_cndmask_b32_e64 v51, v49, -v49, vcc
	v_cmp_gt_f32_e32 vcc, 0, v48
	v_cndmask_b32_e64 v52, v48, -v48, vcc
	v_cndmask_b32_e64 v46, 0, 1, s[6:7]
	v_cmp_ne_u32_e64 s[0:1], 1, v46
	s_andn2_b64 vcc, exec, s[6:7]
	v_cmp_ge_f32_e64 s[2:3], v52, v51
	s_cbranch_vccnz .LBB63_127
; %bb.118:                              ;   in Loop: Header=BB63_89 Depth=1
                                        ; implicit-def: $vgpr50
                                        ; implicit-def: $vgpr46
	s_and_saveexec_b64 s[4:5], s[2:3]
	s_xor_b64 s[26:27], exec, s[4:5]
	s_cbranch_execz .LBB63_124
; %bb.119:                              ;   in Loop: Header=BB63_89 Depth=1
	v_cmp_neq_f32_e32 vcc, 0, v48
	v_cmp_neq_f32_e64 s[4:5], 0, v49
	s_or_b64 s[4:5], s[4:5], vcc
                                        ; implicit-def: $vgpr50
                                        ; implicit-def: $vgpr46
	s_and_saveexec_b64 s[38:39], s[4:5]
	s_xor_b64 s[4:5], exec, s[38:39]
	s_cbranch_execz .LBB63_121
; %bb.120:                              ;   in Loop: Header=BB63_89 Depth=1
	v_div_scale_f32 v46, s[38:39], v48, v48, v49
	v_rcp_f32_e32 v47, v46
	v_div_scale_f32 v50, vcc, v49, v48, v49
	v_fma_f32 v53, -v46, v47, 1.0
	v_fmac_f32_e32 v47, v53, v47
	v_mul_f32_e32 v53, v50, v47
	v_fma_f32 v54, -v46, v53, v50
	v_fmac_f32_e32 v53, v54, v47
	v_fma_f32 v46, -v46, v53, v50
	v_div_fmas_f32 v46, v46, v47, v53
	v_div_fixup_f32 v47, v46, v48, v49
	v_fma_f32 v46, v49, v47, v48
	v_div_scale_f32 v50, s[38:39], v46, v46, 1.0
	v_rcp_f32_e32 v53, v50
	v_fma_f32 v54, -v50, v53, 1.0
	v_fmac_f32_e32 v53, v54, v53
	v_div_scale_f32 v54, vcc, 1.0, v46, 1.0
	v_mul_f32_e32 v55, v54, v53
	v_fma_f32 v56, -v50, v55, v54
	v_fmac_f32_e32 v55, v56, v53
	v_fma_f32 v50, -v50, v55, v54
	v_div_fmas_f32 v50, v50, v53, v55
	v_div_fixup_f32 v50, v50, v46, 1.0
	v_mov_b32_e32 v46, s12
	v_mov_b32_e32 v53, s13
	v_fma_f32 v46, s13, v47, v46
	v_fma_f32 v47, -v47, s12, v53
	v_mul_f32_e32 v46, v46, v50
	v_mul_f32_e32 v50, v47, v50
.LBB63_121:                             ;   in Loop: Header=BB63_89 Depth=1
	s_andn2_saveexec_b64 s[4:5], s[4:5]
	s_cbranch_execz .LBB63_123
; %bb.122:                              ;   in Loop: Header=BB63_89 Depth=1
	v_div_scale_f32 v46, s[38:39], v52, v52, s12
	v_rcp_f32_e32 v47, v46
	v_div_scale_f32 v50, vcc, s12, v52, s12
	v_fma_f32 v53, -v46, v47, 1.0
	v_fmac_f32_e32 v47, v53, v47
	v_mul_f32_e32 v53, v50, v47
	v_fma_f32 v54, -v46, v53, v50
	v_fmac_f32_e32 v53, v54, v47
	v_fma_f32 v46, -v46, v53, v50
	v_div_scale_f32 v50, s[38:39], v51, v51, s13
	v_rcp_f32_e32 v54, v50
	v_div_fmas_f32 v46, v46, v47, v53
	v_div_fixup_f32 v46, v46, v52, s12
	v_fma_f32 v47, -v50, v54, 1.0
	v_fmac_f32_e32 v54, v47, v54
	v_div_scale_f32 v47, vcc, s13, v51, s13
	v_mul_f32_e32 v53, v47, v54
	v_fma_f32 v55, -v50, v53, v47
	v_fmac_f32_e32 v53, v55, v54
	v_fma_f32 v47, -v50, v53, v47
	v_div_fmas_f32 v47, v47, v54, v53
	v_div_fixup_f32 v50, v47, v51, s13
.LBB63_123:                             ;   in Loop: Header=BB63_89 Depth=1
	s_or_b64 exec, exec, s[4:5]
.LBB63_124:                             ;   in Loop: Header=BB63_89 Depth=1
	s_andn2_saveexec_b64 s[4:5], s[26:27]
	s_cbranch_execz .LBB63_126
; %bb.125:                              ;   in Loop: Header=BB63_89 Depth=1
	v_div_scale_f32 v46, s[26:27], v49, v49, v48
	v_rcp_f32_e32 v47, v46
	v_div_scale_f32 v50, vcc, v48, v49, v48
	v_fma_f32 v53, -v46, v47, 1.0
	v_fmac_f32_e32 v47, v53, v47
	v_mul_f32_e32 v53, v50, v47
	v_fma_f32 v54, -v46, v53, v50
	v_fmac_f32_e32 v53, v54, v47
	v_fma_f32 v46, -v46, v53, v50
	v_div_fmas_f32 v46, v46, v47, v53
	v_div_fixup_f32 v47, v46, v49, v48
	v_fma_f32 v46, v48, v47, v49
	v_div_scale_f32 v50, s[26:27], v46, v46, 1.0
	v_rcp_f32_e32 v53, v50
	v_fma_f32 v54, -v50, v53, 1.0
	v_fmac_f32_e32 v53, v54, v53
	v_div_scale_f32 v54, vcc, 1.0, v46, 1.0
	v_mul_f32_e32 v55, v54, v53
	v_fma_f32 v56, -v50, v55, v54
	v_fmac_f32_e32 v55, v56, v53
	v_fma_f32 v50, -v50, v55, v54
	v_div_fmas_f32 v50, v50, v53, v55
	v_div_fixup_f32 v50, v50, v46, 1.0
	v_mov_b32_e32 v46, s13
	v_mov_b32_e32 v53, s12
	v_fma_f32 v46, s12, v47, v46
	v_fma_f32 v47, v47, s13, -v53
	v_mul_f32_e32 v46, v46, v50
	v_mul_f32_e32 v50, v47, v50
.LBB63_126:                             ;   in Loop: Header=BB63_89 Depth=1
	s_or_b64 exec, exec, s[4:5]
	v_pk_mul_f32 v[54:55], v[50:51], s[8:9] op_sel_hi:[0,1]
	v_pk_mul_f32 v[56:57], v[46:47], s[8:9] op_sel_hi:[0,1]
	v_pk_fma_f32 v[46:47], v[46:47], s[8:9], v[54:55] op_sel:[0,0,1] op_sel_hi:[0,1,0]
	v_sub_f32_e32 v46, v56, v55
	s_branch .LBB63_137
.LBB63_127:                             ;   in Loop: Header=BB63_89 Depth=1
                                        ; implicit-def: $vgpr47
	s_cbranch_execz .LBB63_137
; %bb.128:                              ;   in Loop: Header=BB63_89 Depth=1
                                        ; implicit-def: $vgpr47
	s_and_saveexec_b64 s[4:5], s[2:3]
	s_xor_b64 s[4:5], exec, s[4:5]
	s_cbranch_execz .LBB63_134
; %bb.129:                              ;   in Loop: Header=BB63_89 Depth=1
	v_cmp_neq_f32_e32 vcc, 0, v48
	v_cmp_neq_f32_e64 s[2:3], 0, v49
	s_or_b64 s[2:3], s[2:3], vcc
                                        ; implicit-def: $vgpr47
	s_and_saveexec_b64 s[26:27], s[2:3]
	s_xor_b64 s[2:3], exec, s[26:27]
	s_cbranch_execz .LBB63_131
; %bb.130:                              ;   in Loop: Header=BB63_89 Depth=1
	v_div_scale_f32 v46, s[26:27], v48, v48, v49
	v_rcp_f32_e32 v47, v46
	v_div_scale_f32 v50, vcc, v49, v48, v49
	v_fma_f32 v51, -v46, v47, 1.0
	v_fmac_f32_e32 v47, v51, v47
	v_mul_f32_e32 v51, v50, v47
	v_fma_f32 v52, -v46, v51, v50
	v_fmac_f32_e32 v51, v52, v47
	v_fma_f32 v46, -v46, v51, v50
	v_div_fmas_f32 v46, v46, v47, v51
	v_div_fixup_f32 v46, v46, v48, v49
	v_fmac_f32_e32 v48, v49, v46
	v_div_scale_f32 v47, s[26:27], v48, v48, 1.0
	v_rcp_f32_e32 v49, v47
	v_fma_f32 v50, -v47, v49, 1.0
	v_fmac_f32_e32 v49, v50, v49
	v_div_scale_f32 v50, vcc, 1.0, v48, 1.0
	v_mul_f32_e32 v51, v50, v49
	v_fma_f32 v52, -v47, v51, v50
	v_fmac_f32_e32 v51, v52, v49
	v_fma_f32 v47, -v47, v51, v50
	v_div_fmas_f32 v47, v47, v49, v51
	v_div_fixup_f32 v48, v47, v48, 1.0
	v_pk_mul_f32 v[46:47], v[46:47], s[12:13] op_sel_hi:[0,1]
	v_pk_add_f32 v[50:51], v[46:47], s[12:13] op_sel:[1,0] op_sel_hi:[0,1]
	v_pk_add_f32 v[46:47], s[12:13], v[46:47] op_sel:[0,1] op_sel_hi:[1,0] neg_lo:[0,1] neg_hi:[0,1]
	v_mov_b32_e32 v51, v47
	v_pk_mul_f32 v[46:47], v[50:51], v[48:49] op_sel_hi:[1,0]
                                        ; implicit-def: $vgpr52
                                        ; implicit-def: $vgpr51
.LBB63_131:                             ;   in Loop: Header=BB63_89 Depth=1
	s_andn2_saveexec_b64 s[2:3], s[2:3]
	s_cbranch_execz .LBB63_133
; %bb.132:                              ;   in Loop: Header=BB63_89 Depth=1
	v_div_scale_f32 v46, s[26:27], v52, v52, s12
	v_rcp_f32_e32 v47, v46
	v_div_scale_f32 v48, vcc, s12, v52, s12
	v_fma_f32 v49, -v46, v47, 1.0
	v_fmac_f32_e32 v47, v49, v47
	v_mul_f32_e32 v49, v48, v47
	v_fma_f32 v50, -v46, v49, v48
	v_fmac_f32_e32 v49, v50, v47
	v_fma_f32 v46, -v46, v49, v48
	v_div_scale_f32 v48, s[26:27], v51, v51, s13
	v_rcp_f32_e32 v50, v48
	v_div_fmas_f32 v46, v46, v47, v49
	v_div_fixup_f32 v46, v46, v52, s12
	v_fma_f32 v47, -v48, v50, 1.0
	v_fmac_f32_e32 v50, v47, v50
	v_div_scale_f32 v47, vcc, s13, v51, s13
	v_mul_f32_e32 v49, v47, v50
	v_fma_f32 v52, -v48, v49, v47
	v_fmac_f32_e32 v49, v52, v50
	v_fma_f32 v47, -v48, v49, v47
	v_div_fmas_f32 v47, v47, v50, v49
	v_div_fixup_f32 v47, v47, v51, s13
.LBB63_133:                             ;   in Loop: Header=BB63_89 Depth=1
	s_or_b64 exec, exec, s[2:3]
                                        ; implicit-def: $vgpr49
.LBB63_134:                             ;   in Loop: Header=BB63_89 Depth=1
	s_andn2_saveexec_b64 s[2:3], s[4:5]
	s_cbranch_execz .LBB63_136
; %bb.135:                              ;   in Loop: Header=BB63_89 Depth=1
	v_div_scale_f32 v46, s[4:5], v49, v49, v48
	v_rcp_f32_e32 v47, v46
	v_div_scale_f32 v50, vcc, v48, v49, v48
	v_fma_f32 v51, -v46, v47, 1.0
	v_fmac_f32_e32 v47, v51, v47
	v_mul_f32_e32 v51, v50, v47
	v_fma_f32 v52, -v46, v51, v50
	v_fmac_f32_e32 v51, v52, v47
	v_fma_f32 v46, -v46, v51, v50
	v_div_fmas_f32 v46, v46, v47, v51
	v_div_fixup_f32 v46, v46, v49, v48
	v_fmac_f32_e32 v49, v48, v46
	v_div_scale_f32 v47, s[4:5], v49, v49, 1.0
	v_rcp_f32_e32 v48, v47
	v_fma_f32 v50, -v47, v48, 1.0
	v_fmac_f32_e32 v48, v50, v48
	v_div_scale_f32 v50, vcc, 1.0, v49, 1.0
	v_mul_f32_e32 v51, v50, v48
	v_fma_f32 v52, -v47, v51, v50
	v_fmac_f32_e32 v51, v52, v48
	v_fma_f32 v47, -v47, v51, v50
	v_div_fmas_f32 v47, v47, v48, v51
	v_pk_mov_b32 v[50:51], s[16:17], s[16:17] op_sel:[0,1]
	v_div_fixup_f32 v48, v47, v49, 1.0
	v_pk_fma_f32 v[52:53], v[46:47], s[12:13], v[50:51]
	v_pk_fma_f32 v[46:47], v[46:47], s[12:13], v[50:51] op_sel_hi:[0,1,1] neg_lo:[0,0,1] neg_hi:[0,0,1]
	v_mov_b32_e32 v53, v47
	v_pk_mul_f32 v[46:47], v[52:53], v[48:49] op_sel_hi:[1,0]
.LBB63_136:                             ;   in Loop: Header=BB63_89 Depth=1
	s_or_b64 exec, exec, s[2:3]
.LBB63_137:                             ;   in Loop: Header=BB63_89 Depth=1
	v_cmp_gt_f32_e32 vcc, 0, v45
	v_cndmask_b32_e64 v51, v45, -v45, vcc
	v_cmp_gt_f32_e32 vcc, 0, v44
	v_cndmask_b32_e64 v52, v44, -v44, vcc
	s_and_b64 vcc, exec, s[0:1]
	v_cmp_ge_f32_e64 s[2:3], v52, v51
	s_cbranch_vccnz .LBB63_147
; %bb.138:                              ;   in Loop: Header=BB63_89 Depth=1
                                        ; implicit-def: $vgpr50
                                        ; implicit-def: $vgpr48
	s_and_saveexec_b64 s[4:5], s[2:3]
	s_xor_b64 s[26:27], exec, s[4:5]
	s_cbranch_execz .LBB63_144
; %bb.139:                              ;   in Loop: Header=BB63_89 Depth=1
	v_cmp_neq_f32_e32 vcc, 0, v44
	v_cmp_neq_f32_e64 s[4:5], 0, v45
	s_or_b64 s[4:5], s[4:5], vcc
                                        ; implicit-def: $vgpr50
                                        ; implicit-def: $vgpr48
	s_and_saveexec_b64 s[38:39], s[4:5]
	s_xor_b64 s[4:5], exec, s[38:39]
	s_cbranch_execz .LBB63_141
; %bb.140:                              ;   in Loop: Header=BB63_89 Depth=1
	v_div_scale_f32 v48, s[38:39], v44, v44, v45
	v_rcp_f32_e32 v49, v48
	v_div_scale_f32 v50, vcc, v45, v44, v45
	v_fma_f32 v53, -v48, v49, 1.0
	v_fmac_f32_e32 v49, v53, v49
	v_mul_f32_e32 v53, v50, v49
	v_fma_f32 v54, -v48, v53, v50
	v_fmac_f32_e32 v53, v54, v49
	v_fma_f32 v48, -v48, v53, v50
	v_div_fmas_f32 v48, v48, v49, v53
	v_div_fixup_f32 v49, v48, v44, v45
	v_fma_f32 v48, v45, v49, v44
	v_div_scale_f32 v50, s[38:39], v48, v48, 1.0
	v_rcp_f32_e32 v53, v50
	v_fma_f32 v54, -v50, v53, 1.0
	v_fmac_f32_e32 v53, v54, v53
	v_div_scale_f32 v54, vcc, 1.0, v48, 1.0
	v_mul_f32_e32 v55, v54, v53
	v_fma_f32 v56, -v50, v55, v54
	v_fmac_f32_e32 v55, v56, v53
	v_fma_f32 v50, -v50, v55, v54
	v_div_fmas_f32 v50, v50, v53, v55
	v_div_fixup_f32 v50, v50, v48, 1.0
	v_mov_b32_e32 v48, s12
	v_mov_b32_e32 v53, s13
	v_fma_f32 v48, s13, v49, v48
	v_fma_f32 v49, -v49, s12, v53
	v_mul_f32_e32 v48, v48, v50
	v_mul_f32_e32 v50, v49, v50
.LBB63_141:                             ;   in Loop: Header=BB63_89 Depth=1
	s_andn2_saveexec_b64 s[4:5], s[4:5]
	s_cbranch_execz .LBB63_143
; %bb.142:                              ;   in Loop: Header=BB63_89 Depth=1
	v_div_scale_f32 v48, s[38:39], v52, v52, s12
	v_rcp_f32_e32 v49, v48
	v_div_scale_f32 v50, vcc, s12, v52, s12
	v_fma_f32 v53, -v48, v49, 1.0
	v_fmac_f32_e32 v49, v53, v49
	v_mul_f32_e32 v53, v50, v49
	v_fma_f32 v54, -v48, v53, v50
	v_fmac_f32_e32 v53, v54, v49
	v_fma_f32 v48, -v48, v53, v50
	v_div_scale_f32 v50, s[38:39], v51, v51, s13
	v_rcp_f32_e32 v54, v50
	v_div_fmas_f32 v48, v48, v49, v53
	v_div_fixup_f32 v48, v48, v52, s12
	v_fma_f32 v49, -v50, v54, 1.0
	v_fmac_f32_e32 v54, v49, v54
	v_div_scale_f32 v49, vcc, s13, v51, s13
	v_mul_f32_e32 v53, v49, v54
	v_fma_f32 v55, -v50, v53, v49
	v_fmac_f32_e32 v53, v55, v54
	v_fma_f32 v49, -v50, v53, v49
	v_div_fmas_f32 v49, v49, v54, v53
	v_div_fixup_f32 v50, v49, v51, s13
.LBB63_143:                             ;   in Loop: Header=BB63_89 Depth=1
	s_or_b64 exec, exec, s[4:5]
.LBB63_144:                             ;   in Loop: Header=BB63_89 Depth=1
	s_andn2_saveexec_b64 s[4:5], s[26:27]
	s_cbranch_execz .LBB63_146
; %bb.145:                              ;   in Loop: Header=BB63_89 Depth=1
	v_div_scale_f32 v48, s[26:27], v45, v45, v44
	v_rcp_f32_e32 v49, v48
	v_div_scale_f32 v50, vcc, v44, v45, v44
	v_fma_f32 v53, -v48, v49, 1.0
	v_fmac_f32_e32 v49, v53, v49
	v_mul_f32_e32 v53, v50, v49
	v_fma_f32 v54, -v48, v53, v50
	v_fmac_f32_e32 v53, v54, v49
	v_fma_f32 v48, -v48, v53, v50
	v_div_fmas_f32 v48, v48, v49, v53
	v_div_fixup_f32 v49, v48, v45, v44
	v_fma_f32 v48, v44, v49, v45
	v_div_scale_f32 v50, s[26:27], v48, v48, 1.0
	v_rcp_f32_e32 v53, v50
	v_fma_f32 v54, -v50, v53, 1.0
	v_fmac_f32_e32 v53, v54, v53
	v_div_scale_f32 v54, vcc, 1.0, v48, 1.0
	v_mul_f32_e32 v55, v54, v53
	v_fma_f32 v56, -v50, v55, v54
	v_fmac_f32_e32 v55, v56, v53
	v_fma_f32 v50, -v50, v55, v54
	v_div_fmas_f32 v50, v50, v53, v55
	v_div_fixup_f32 v50, v50, v48, 1.0
	v_mov_b32_e32 v48, s13
	v_mov_b32_e32 v53, s12
	v_fma_f32 v48, s12, v49, v48
	v_fma_f32 v49, v49, s13, -v53
	v_mul_f32_e32 v48, v48, v50
	v_mul_f32_e32 v50, v49, v50
.LBB63_146:                             ;   in Loop: Header=BB63_89 Depth=1
	s_or_b64 exec, exec, s[4:5]
	v_pk_mul_f32 v[54:55], v[50:51], s[8:9] op_sel_hi:[0,1]
	v_pk_mul_f32 v[56:57], v[48:49], s[8:9] op_sel_hi:[0,1]
	v_pk_fma_f32 v[48:49], v[48:49], s[8:9], v[54:55] op_sel:[0,0,1] op_sel_hi:[0,1,0]
	v_sub_f32_e32 v48, v56, v55
	s_branch .LBB63_157
.LBB63_147:                             ;   in Loop: Header=BB63_89 Depth=1
                                        ; implicit-def: $vgpr49
	s_cbranch_execz .LBB63_157
; %bb.148:                              ;   in Loop: Header=BB63_89 Depth=1
                                        ; implicit-def: $vgpr49
	s_and_saveexec_b64 s[4:5], s[2:3]
	s_xor_b64 s[4:5], exec, s[4:5]
	s_cbranch_execz .LBB63_154
; %bb.149:                              ;   in Loop: Header=BB63_89 Depth=1
	v_cmp_neq_f32_e32 vcc, 0, v44
	v_cmp_neq_f32_e64 s[2:3], 0, v45
	s_or_b64 s[2:3], s[2:3], vcc
                                        ; implicit-def: $vgpr49
	s_and_saveexec_b64 s[26:27], s[2:3]
	s_xor_b64 s[2:3], exec, s[26:27]
	s_cbranch_execz .LBB63_151
; %bb.150:                              ;   in Loop: Header=BB63_89 Depth=1
	v_div_scale_f32 v48, s[26:27], v44, v44, v45
	v_rcp_f32_e32 v49, v48
	v_div_scale_f32 v50, vcc, v45, v44, v45
	v_fma_f32 v51, -v48, v49, 1.0
	v_fmac_f32_e32 v49, v51, v49
	v_mul_f32_e32 v51, v50, v49
	v_fma_f32 v52, -v48, v51, v50
	v_fmac_f32_e32 v51, v52, v49
	v_fma_f32 v48, -v48, v51, v50
	v_div_fmas_f32 v48, v48, v49, v51
	v_div_fixup_f32 v48, v48, v44, v45
	v_fmac_f32_e32 v44, v45, v48
	v_div_scale_f32 v45, s[26:27], v44, v44, 1.0
	v_rcp_f32_e32 v49, v45
	v_fma_f32 v50, -v45, v49, 1.0
	v_fmac_f32_e32 v49, v50, v49
	v_div_scale_f32 v50, vcc, 1.0, v44, 1.0
	v_mul_f32_e32 v51, v50, v49
	v_fma_f32 v52, -v45, v51, v50
	v_fmac_f32_e32 v51, v52, v49
	v_fma_f32 v45, -v45, v51, v50
	v_div_fmas_f32 v45, v45, v49, v51
	v_pk_mul_f32 v[48:49], v[48:49], s[12:13] op_sel_hi:[0,1]
	v_pk_add_f32 v[50:51], v[48:49], s[12:13] op_sel:[1,0] op_sel_hi:[0,1]
	v_pk_add_f32 v[48:49], s[12:13], v[48:49] op_sel:[0,1] op_sel_hi:[1,0] neg_lo:[0,1] neg_hi:[0,1]
	v_div_fixup_f32 v44, v45, v44, 1.0
	v_mov_b32_e32 v51, v49
	v_pk_mul_f32 v[48:49], v[50:51], v[44:45] op_sel_hi:[1,0]
                                        ; implicit-def: $vgpr52
                                        ; implicit-def: $vgpr51
.LBB63_151:                             ;   in Loop: Header=BB63_89 Depth=1
	s_andn2_saveexec_b64 s[2:3], s[2:3]
	s_cbranch_execz .LBB63_153
; %bb.152:                              ;   in Loop: Header=BB63_89 Depth=1
	v_div_scale_f32 v44, s[26:27], v52, v52, s12
	v_rcp_f32_e32 v45, v44
	v_div_scale_f32 v48, vcc, s12, v52, s12
	v_fma_f32 v49, -v44, v45, 1.0
	v_fmac_f32_e32 v45, v49, v45
	v_mul_f32_e32 v49, v48, v45
	v_fma_f32 v50, -v44, v49, v48
	v_fmac_f32_e32 v49, v50, v45
	v_div_scale_f32 v50, s[26:27], v51, v51, s13
	v_rcp_f32_e32 v53, v50
	v_fma_f32 v44, -v44, v49, v48
	v_div_fmas_f32 v44, v44, v45, v49
	v_div_fixup_f32 v48, v44, v52, s12
	v_fma_f32 v44, -v50, v53, 1.0
	v_fmac_f32_e32 v53, v44, v53
	v_div_scale_f32 v44, vcc, s13, v51, s13
	v_mul_f32_e32 v45, v44, v53
	v_fma_f32 v49, -v50, v45, v44
	v_fmac_f32_e32 v45, v49, v53
	v_fma_f32 v44, -v50, v45, v44
	v_div_fmas_f32 v44, v44, v53, v45
	v_div_fixup_f32 v49, v44, v51, s13
.LBB63_153:                             ;   in Loop: Header=BB63_89 Depth=1
	s_or_b64 exec, exec, s[2:3]
                                        ; implicit-def: $vgpr45
.LBB63_154:                             ;   in Loop: Header=BB63_89 Depth=1
	s_andn2_saveexec_b64 s[2:3], s[4:5]
	s_cbranch_execz .LBB63_156
; %bb.155:                              ;   in Loop: Header=BB63_89 Depth=1
	v_div_scale_f32 v48, s[4:5], v45, v45, v44
	v_rcp_f32_e32 v49, v48
	v_div_scale_f32 v50, vcc, v44, v45, v44
	v_fma_f32 v51, -v48, v49, 1.0
	v_fmac_f32_e32 v49, v51, v49
	v_mul_f32_e32 v51, v50, v49
	v_fma_f32 v52, -v48, v51, v50
	v_fmac_f32_e32 v51, v52, v49
	v_fma_f32 v48, -v48, v51, v50
	v_div_fmas_f32 v48, v48, v49, v51
	v_div_fixup_f32 v48, v48, v45, v44
	v_fmac_f32_e32 v45, v44, v48
	v_div_scale_f32 v44, s[4:5], v45, v45, 1.0
	v_rcp_f32_e32 v49, v44
	v_fma_f32 v50, -v44, v49, 1.0
	v_fmac_f32_e32 v49, v50, v49
	v_div_scale_f32 v50, vcc, 1.0, v45, 1.0
	v_mul_f32_e32 v51, v50, v49
	v_fma_f32 v52, -v44, v51, v50
	v_fmac_f32_e32 v51, v52, v49
	v_fma_f32 v44, -v44, v51, v50
	v_div_fmas_f32 v44, v44, v49, v51
	v_pk_mov_b32 v[50:51], s[16:17], s[16:17] op_sel:[0,1]
	v_pk_fma_f32 v[52:53], v[48:49], s[12:13], v[50:51]
	v_pk_fma_f32 v[48:49], v[48:49], s[12:13], v[50:51] op_sel_hi:[0,1,1] neg_lo:[0,0,1] neg_hi:[0,0,1]
	v_div_fixup_f32 v44, v44, v45, 1.0
	v_mov_b32_e32 v53, v49
	v_pk_mul_f32 v[48:49], v[52:53], v[44:45] op_sel_hi:[1,0]
.LBB63_156:                             ;   in Loop: Header=BB63_89 Depth=1
	s_or_b64 exec, exec, s[2:3]
.LBB63_157:                             ;   in Loop: Header=BB63_89 Depth=1
	v_cmp_gt_f32_e32 vcc, 0, v41
	v_cndmask_b32_e64 v51, v41, -v41, vcc
	v_cmp_gt_f32_e32 vcc, 0, v40
	v_cndmask_b32_e64 v52, v40, -v40, vcc
	s_and_b64 vcc, exec, s[0:1]
	v_cmp_ge_f32_e64 s[0:1], v52, v51
	s_cbranch_vccnz .LBB63_167
; %bb.158:                              ;   in Loop: Header=BB63_89 Depth=1
                                        ; implicit-def: $vgpr50
                                        ; implicit-def: $vgpr44
	s_and_saveexec_b64 s[2:3], s[0:1]
	s_xor_b64 s[4:5], exec, s[2:3]
	s_cbranch_execz .LBB63_164
; %bb.159:                              ;   in Loop: Header=BB63_89 Depth=1
	v_cmp_neq_f32_e32 vcc, 0, v40
	v_cmp_neq_f32_e64 s[2:3], 0, v41
	s_or_b64 s[2:3], s[2:3], vcc
                                        ; implicit-def: $vgpr50
                                        ; implicit-def: $vgpr44
	s_and_saveexec_b64 s[26:27], s[2:3]
	s_xor_b64 s[2:3], exec, s[26:27]
	s_cbranch_execz .LBB63_161
; %bb.160:                              ;   in Loop: Header=BB63_89 Depth=1
	v_div_scale_f32 v44, s[26:27], v40, v40, v41
	v_rcp_f32_e32 v45, v44
	v_div_scale_f32 v50, vcc, v41, v40, v41
	v_fma_f32 v53, -v44, v45, 1.0
	v_fmac_f32_e32 v45, v53, v45
	v_mul_f32_e32 v53, v50, v45
	v_fma_f32 v54, -v44, v53, v50
	v_fmac_f32_e32 v53, v54, v45
	v_fma_f32 v44, -v44, v53, v50
	v_div_fmas_f32 v44, v44, v45, v53
	v_div_fixup_f32 v45, v44, v40, v41
	v_fma_f32 v44, v41, v45, v40
	v_div_scale_f32 v50, s[26:27], v44, v44, 1.0
	v_rcp_f32_e32 v53, v50
	v_fma_f32 v54, -v50, v53, 1.0
	v_fmac_f32_e32 v53, v54, v53
	v_div_scale_f32 v54, vcc, 1.0, v44, 1.0
	v_mul_f32_e32 v55, v54, v53
	v_fma_f32 v56, -v50, v55, v54
	v_fmac_f32_e32 v55, v56, v53
	v_fma_f32 v50, -v50, v55, v54
	v_div_fmas_f32 v50, v50, v53, v55
	v_div_fixup_f32 v50, v50, v44, 1.0
	v_mov_b32_e32 v44, s12
	v_mov_b32_e32 v53, s13
	v_fma_f32 v44, s13, v45, v44
	v_fma_f32 v45, -v45, s12, v53
	v_mul_f32_e32 v44, v44, v50
	v_mul_f32_e32 v50, v45, v50
.LBB63_161:                             ;   in Loop: Header=BB63_89 Depth=1
	s_andn2_saveexec_b64 s[2:3], s[2:3]
	s_cbranch_execz .LBB63_163
; %bb.162:                              ;   in Loop: Header=BB63_89 Depth=1
	v_div_scale_f32 v44, s[26:27], v52, v52, s12
	v_rcp_f32_e32 v45, v44
	v_div_scale_f32 v50, vcc, s12, v52, s12
	v_fma_f32 v53, -v44, v45, 1.0
	v_fmac_f32_e32 v45, v53, v45
	v_mul_f32_e32 v53, v50, v45
	v_fma_f32 v54, -v44, v53, v50
	v_fmac_f32_e32 v53, v54, v45
	v_fma_f32 v44, -v44, v53, v50
	v_div_scale_f32 v50, s[26:27], v51, v51, s13
	v_rcp_f32_e32 v54, v50
	v_div_fmas_f32 v44, v44, v45, v53
	v_div_fixup_f32 v44, v44, v52, s12
	v_fma_f32 v45, -v50, v54, 1.0
	v_fmac_f32_e32 v54, v45, v54
	v_div_scale_f32 v45, vcc, s13, v51, s13
	v_mul_f32_e32 v53, v45, v54
	v_fma_f32 v55, -v50, v53, v45
	v_fmac_f32_e32 v53, v55, v54
	v_fma_f32 v45, -v50, v53, v45
	v_div_fmas_f32 v45, v45, v54, v53
	v_div_fixup_f32 v50, v45, v51, s13
.LBB63_163:                             ;   in Loop: Header=BB63_89 Depth=1
	s_or_b64 exec, exec, s[2:3]
.LBB63_164:                             ;   in Loop: Header=BB63_89 Depth=1
	s_andn2_saveexec_b64 s[2:3], s[4:5]
	s_cbranch_execz .LBB63_166
; %bb.165:                              ;   in Loop: Header=BB63_89 Depth=1
	v_div_scale_f32 v44, s[4:5], v41, v41, v40
	v_rcp_f32_e32 v45, v44
	v_div_scale_f32 v50, vcc, v40, v41, v40
	v_fma_f32 v53, -v44, v45, 1.0
	v_fmac_f32_e32 v45, v53, v45
	v_mul_f32_e32 v53, v50, v45
	v_fma_f32 v54, -v44, v53, v50
	v_fmac_f32_e32 v53, v54, v45
	v_fma_f32 v44, -v44, v53, v50
	v_div_fmas_f32 v44, v44, v45, v53
	v_div_fixup_f32 v45, v44, v41, v40
	v_fma_f32 v44, v40, v45, v41
	v_div_scale_f32 v50, s[4:5], v44, v44, 1.0
	v_rcp_f32_e32 v53, v50
	v_fma_f32 v54, -v50, v53, 1.0
	v_fmac_f32_e32 v53, v54, v53
	v_div_scale_f32 v54, vcc, 1.0, v44, 1.0
	v_mul_f32_e32 v55, v54, v53
	v_fma_f32 v56, -v50, v55, v54
	v_fmac_f32_e32 v55, v56, v53
	v_fma_f32 v50, -v50, v55, v54
	v_div_fmas_f32 v50, v50, v53, v55
	v_div_fixup_f32 v50, v50, v44, 1.0
	v_mov_b32_e32 v44, s13
	v_mov_b32_e32 v53, s12
	v_fma_f32 v44, s12, v45, v44
	v_fma_f32 v45, v45, s13, -v53
	v_mul_f32_e32 v44, v44, v50
	v_mul_f32_e32 v50, v45, v50
.LBB63_166:                             ;   in Loop: Header=BB63_89 Depth=1
	s_or_b64 exec, exec, s[2:3]
	v_pk_mul_f32 v[56:57], v[50:51], s[8:9] op_sel_hi:[0,1]
	v_pk_mul_f32 v[54:55], v[44:45], s[8:9] op_sel_hi:[0,1]
	v_pk_fma_f32 v[44:45], v[44:45], s[8:9], v[56:57] op_sel:[0,0,1] op_sel_hi:[0,1,0]
	v_sub_f32_e32 v44, v54, v57
	s_branch .LBB63_177
.LBB63_167:                             ;   in Loop: Header=BB63_89 Depth=1
                                        ; implicit-def: $vgpr45
	s_cbranch_execz .LBB63_177
; %bb.168:                              ;   in Loop: Header=BB63_89 Depth=1
                                        ; implicit-def: $vgpr45
	s_and_saveexec_b64 s[2:3], s[0:1]
	s_xor_b64 s[2:3], exec, s[2:3]
	s_cbranch_execz .LBB63_174
; %bb.169:                              ;   in Loop: Header=BB63_89 Depth=1
	v_cmp_neq_f32_e32 vcc, 0, v40
	v_cmp_neq_f32_e64 s[0:1], 0, v41
	s_or_b64 s[0:1], s[0:1], vcc
                                        ; implicit-def: $vgpr45
	s_and_saveexec_b64 s[4:5], s[0:1]
	s_xor_b64 s[0:1], exec, s[4:5]
	s_cbranch_execz .LBB63_171
; %bb.170:                              ;   in Loop: Header=BB63_89 Depth=1
	v_div_scale_f32 v44, s[4:5], v40, v40, v41
	v_rcp_f32_e32 v45, v44
	v_div_scale_f32 v50, vcc, v41, v40, v41
	v_fma_f32 v51, -v44, v45, 1.0
	v_fmac_f32_e32 v45, v51, v45
	v_mul_f32_e32 v51, v50, v45
	v_fma_f32 v52, -v44, v51, v50
	v_fmac_f32_e32 v51, v52, v45
	v_fma_f32 v44, -v44, v51, v50
	v_div_fmas_f32 v44, v44, v45, v51
	v_div_fixup_f32 v44, v44, v40, v41
	v_fmac_f32_e32 v40, v41, v44
	v_div_scale_f32 v41, s[4:5], v40, v40, 1.0
	v_rcp_f32_e32 v45, v41
	v_fma_f32 v50, -v41, v45, 1.0
	v_fmac_f32_e32 v45, v50, v45
	v_div_scale_f32 v50, vcc, 1.0, v40, 1.0
	v_mul_f32_e32 v51, v50, v45
	v_fma_f32 v52, -v41, v51, v50
	v_fmac_f32_e32 v51, v52, v45
	v_fma_f32 v41, -v41, v51, v50
	v_div_fmas_f32 v41, v41, v45, v51
	v_pk_mov_b32 v[50:51], s[12:13], s[12:13] op_sel:[0,1]
	v_pk_fma_f32 v[52:53], v[44:45], s[16:17], v[50:51]
	v_pk_fma_f32 v[44:45], v[44:45], s[16:17], v[50:51] op_sel_hi:[0,1,1] neg_lo:[1,0,0] neg_hi:[1,0,0]
	v_div_fixup_f32 v40, v41, v40, 1.0
	v_mov_b32_e32 v53, v45
	v_pk_mul_f32 v[44:45], v[52:53], v[40:41] op_sel_hi:[1,0]
                                        ; implicit-def: $vgpr52
                                        ; implicit-def: $vgpr51
.LBB63_171:                             ;   in Loop: Header=BB63_89 Depth=1
	s_andn2_saveexec_b64 s[0:1], s[0:1]
	s_cbranch_execz .LBB63_173
; %bb.172:                              ;   in Loop: Header=BB63_89 Depth=1
	v_div_scale_f32 v40, s[4:5], v52, v52, s12
	v_rcp_f32_e32 v41, v40
	v_div_scale_f32 v44, vcc, s12, v52, s12
	v_fma_f32 v45, -v40, v41, 1.0
	v_fmac_f32_e32 v41, v45, v41
	v_mul_f32_e32 v45, v44, v41
	v_fma_f32 v50, -v40, v45, v44
	v_fmac_f32_e32 v45, v50, v41
	v_div_scale_f32 v50, s[4:5], v51, v51, s13
	v_rcp_f32_e32 v53, v50
	v_fma_f32 v40, -v40, v45, v44
	v_div_fmas_f32 v40, v40, v41, v45
	v_div_fixup_f32 v44, v40, v52, s12
	v_fma_f32 v40, -v50, v53, 1.0
	v_fmac_f32_e32 v53, v40, v53
	v_div_scale_f32 v40, vcc, s13, v51, s13
	v_mul_f32_e32 v41, v40, v53
	v_fma_f32 v45, -v50, v41, v40
	v_fmac_f32_e32 v41, v45, v53
	v_fma_f32 v40, -v50, v41, v40
	v_div_fmas_f32 v40, v40, v53, v41
	v_div_fixup_f32 v45, v40, v51, s13
.LBB63_173:                             ;   in Loop: Header=BB63_89 Depth=1
	s_or_b64 exec, exec, s[0:1]
                                        ; implicit-def: $vgpr41
.LBB63_174:                             ;   in Loop: Header=BB63_89 Depth=1
	s_andn2_saveexec_b64 s[0:1], s[2:3]
	s_cbranch_execz .LBB63_176
; %bb.175:                              ;   in Loop: Header=BB63_89 Depth=1
	v_div_scale_f32 v44, s[2:3], v41, v41, v40
	v_rcp_f32_e32 v45, v44
	v_div_scale_f32 v50, vcc, v40, v41, v40
	v_fma_f32 v51, -v44, v45, 1.0
	v_fmac_f32_e32 v45, v51, v45
	v_mul_f32_e32 v51, v50, v45
	v_fma_f32 v52, -v44, v51, v50
	v_fmac_f32_e32 v51, v52, v45
	v_fma_f32 v44, -v44, v51, v50
	v_div_fmas_f32 v44, v44, v45, v51
	v_div_fixup_f32 v44, v44, v41, v40
	v_fmac_f32_e32 v41, v40, v44
	v_div_scale_f32 v40, s[2:3], v41, v41, 1.0
	v_rcp_f32_e32 v45, v40
	v_fma_f32 v50, -v40, v45, 1.0
	v_fmac_f32_e32 v45, v50, v45
	v_div_scale_f32 v50, vcc, 1.0, v41, 1.0
	v_mul_f32_e32 v51, v50, v45
	v_fma_f32 v52, -v40, v51, v50
	v_fmac_f32_e32 v51, v52, v45
	v_fma_f32 v40, -v40, v51, v50
	v_div_fmas_f32 v40, v40, v45, v51
	v_pk_mov_b32 v[50:51], s[16:17], s[16:17] op_sel:[0,1]
	v_pk_fma_f32 v[52:53], v[44:45], s[12:13], v[50:51]
	v_pk_fma_f32 v[44:45], v[44:45], s[12:13], v[50:51] op_sel_hi:[0,1,1] neg_lo:[0,0,1] neg_hi:[0,0,1]
	v_div_fixup_f32 v40, v40, v41, 1.0
	v_mov_b32_e32 v53, v45
	v_pk_mul_f32 v[44:45], v[52:53], v[40:41] op_sel_hi:[1,0]
.LBB63_176:                             ;   in Loop: Header=BB63_89 Depth=1
	s_or_b64 exec, exec, s[0:1]
.LBB63_177:                             ;   in Loop: Header=BB63_89 Depth=1
	v_cmp_gt_u64_e32 vcc, s[20:21], v[0:1]
	s_and_saveexec_b64 s[0:1], vcc
	s_xor_b64 s[0:1], exec, s[0:1]
	s_cbranch_execz .LBB63_179
; %bb.178:                              ;   in Loop: Header=BB63_89 Depth=1
	v_mov_b32_e32 v41, s11
	v_add_co_u32_e32 v40, vcc, s10, v6
	v_pk_add_f32 v[26:27], v[26:27], v[42:43]
	v_addc_co_u32_e32 v41, vcc, v7, v41, vcc
	global_store_dwordx2 v[40:41], v[26:27], off
.LBB63_179:                             ;   in Loop: Header=BB63_89 Depth=1
	s_or_b64 exec, exec, s[0:1]
	v_cmp_gt_u64_e32 vcc, s[20:21], v[30:31]
	s_and_saveexec_b64 s[0:1], vcc
	s_cbranch_execnz .LBB63_182
; %bb.180:                              ;   in Loop: Header=BB63_89 Depth=1
	s_or_b64 exec, exec, s[0:1]
	v_cmp_gt_u64_e32 vcc, s[20:21], v[34:35]
	s_and_saveexec_b64 s[0:1], vcc
	s_cbranch_execnz .LBB63_183
.LBB63_181:                             ;   in Loop: Header=BB63_89 Depth=1
	s_or_b64 exec, exec, s[0:1]
	v_cmp_gt_u64_e32 vcc, s[20:21], v[36:37]
	s_and_saveexec_b64 s[0:1], vcc
	s_cbranch_execz .LBB63_88
	s_branch .LBB63_184
.LBB63_182:                             ;   in Loop: Header=BB63_89 Depth=1
	v_mov_b32_e32 v31, s11
	v_add_co_u32_e32 v30, vcc, s10, v24
	v_pk_add_f32 v[26:27], v[32:33], v[46:47]
	v_addc_co_u32_e32 v31, vcc, v25, v31, vcc
	global_store_dwordx2 v[30:31], v[26:27], off
	s_or_b64 exec, exec, s[0:1]
	v_cmp_gt_u64_e32 vcc, s[20:21], v[34:35]
	s_and_saveexec_b64 s[0:1], vcc
	s_cbranch_execz .LBB63_181
.LBB63_183:                             ;   in Loop: Header=BB63_89 Depth=1
	v_pk_add_f32 v[26:27], v[28:29], v[48:49]
	v_mov_b32_e32 v29, s11
	v_add_co_u32_e32 v28, vcc, s10, v18
	v_addc_co_u32_e32 v29, vcc, v19, v29, vcc
	global_store_dwordx2 v[28:29], v[26:27], off
	s_or_b64 exec, exec, s[0:1]
	v_cmp_gt_u64_e32 vcc, s[20:21], v[36:37]
	s_and_saveexec_b64 s[0:1], vcc
	s_cbranch_execz .LBB63_88
.LBB63_184:                             ;   in Loop: Header=BB63_89 Depth=1
	v_mov_b32_e32 v29, s11
	v_add_co_u32_e32 v28, vcc, s10, v12
	v_pk_add_f32 v[26:27], v[38:39], v[44:45]
	v_addc_co_u32_e32 v29, vcc, v13, v29, vcc
	global_store_dwordx2 v[28:29], v[26:27], off
	s_branch .LBB63_88
.LBB63_185:
	s_endpgm
	.section	.rodata,"a",@progbits
	.p2align	6, 0x0
	.amdhsa_kernel _ZN2at6native12_GLOBAL__N_125multi_tensor_apply_kernelINS1_18TensorListMetadataILi4EEENS1_32PointwiseOpScalar0dTensorFunctorIN3c107complexIfEELi4ELi2ELi3EEEJSt7dividesIS8_ES8_EEEvT_T0_DpT1_
		.amdhsa_group_segment_fixed_size 0
		.amdhsa_private_segment_fixed_size 0
		.amdhsa_kernarg_size 3320
		.amdhsa_user_sgpr_count 6
		.amdhsa_user_sgpr_private_segment_buffer 1
		.amdhsa_user_sgpr_dispatch_ptr 0
		.amdhsa_user_sgpr_queue_ptr 0
		.amdhsa_user_sgpr_kernarg_segment_ptr 1
		.amdhsa_user_sgpr_dispatch_id 0
		.amdhsa_user_sgpr_flat_scratch_init 0
		.amdhsa_user_sgpr_kernarg_preload_length 0
		.amdhsa_user_sgpr_kernarg_preload_offset 0
		.amdhsa_user_sgpr_private_segment_size 0
		.amdhsa_uses_dynamic_stack 0
		.amdhsa_system_sgpr_private_segment_wavefront_offset 0
		.amdhsa_system_sgpr_workgroup_id_x 1
		.amdhsa_system_sgpr_workgroup_id_y 0
		.amdhsa_system_sgpr_workgroup_id_z 0
		.amdhsa_system_sgpr_workgroup_info 0
		.amdhsa_system_vgpr_workitem_id 0
		.amdhsa_next_free_vgpr 58
		.amdhsa_next_free_sgpr 46
		.amdhsa_accum_offset 60
		.amdhsa_reserve_vcc 1
		.amdhsa_reserve_flat_scratch 0
		.amdhsa_float_round_mode_32 0
		.amdhsa_float_round_mode_16_64 0
		.amdhsa_float_denorm_mode_32 3
		.amdhsa_float_denorm_mode_16_64 3
		.amdhsa_dx10_clamp 1
		.amdhsa_ieee_mode 1
		.amdhsa_fp16_overflow 0
		.amdhsa_tg_split 0
		.amdhsa_exception_fp_ieee_invalid_op 0
		.amdhsa_exception_fp_denorm_src 0
		.amdhsa_exception_fp_ieee_div_zero 0
		.amdhsa_exception_fp_ieee_overflow 0
		.amdhsa_exception_fp_ieee_underflow 0
		.amdhsa_exception_fp_ieee_inexact 0
		.amdhsa_exception_int_div_zero 0
	.end_amdhsa_kernel
	.section	.text._ZN2at6native12_GLOBAL__N_125multi_tensor_apply_kernelINS1_18TensorListMetadataILi4EEENS1_32PointwiseOpScalar0dTensorFunctorIN3c107complexIfEELi4ELi2ELi3EEEJSt7dividesIS8_ES8_EEEvT_T0_DpT1_,"axG",@progbits,_ZN2at6native12_GLOBAL__N_125multi_tensor_apply_kernelINS1_18TensorListMetadataILi4EEENS1_32PointwiseOpScalar0dTensorFunctorIN3c107complexIfEELi4ELi2ELi3EEEJSt7dividesIS8_ES8_EEEvT_T0_DpT1_,comdat
.Lfunc_end63:
	.size	_ZN2at6native12_GLOBAL__N_125multi_tensor_apply_kernelINS1_18TensorListMetadataILi4EEENS1_32PointwiseOpScalar0dTensorFunctorIN3c107complexIfEELi4ELi2ELi3EEEJSt7dividesIS8_ES8_EEEvT_T0_DpT1_, .Lfunc_end63-_ZN2at6native12_GLOBAL__N_125multi_tensor_apply_kernelINS1_18TensorListMetadataILi4EEENS1_32PointwiseOpScalar0dTensorFunctorIN3c107complexIfEELi4ELi2ELi3EEEJSt7dividesIS8_ES8_EEEvT_T0_DpT1_
                                        ; -- End function
	.section	.AMDGPU.csdata,"",@progbits
; Kernel info:
; codeLenInByte = 11504
; NumSgprs: 50
; NumVgprs: 58
; NumAgprs: 0
; TotalNumVgprs: 58
; ScratchSize: 0
; MemoryBound: 0
; FloatMode: 240
; IeeeMode: 1
; LDSByteSize: 0 bytes/workgroup (compile time only)
; SGPRBlocks: 6
; VGPRBlocks: 7
; NumSGPRsForWavesPerEU: 50
; NumVGPRsForWavesPerEU: 58
; AccumOffset: 60
; Occupancy: 8
; WaveLimiterHint : 0
; COMPUTE_PGM_RSRC2:SCRATCH_EN: 0
; COMPUTE_PGM_RSRC2:USER_SGPR: 6
; COMPUTE_PGM_RSRC2:TRAP_HANDLER: 0
; COMPUTE_PGM_RSRC2:TGID_X_EN: 1
; COMPUTE_PGM_RSRC2:TGID_Y_EN: 0
; COMPUTE_PGM_RSRC2:TGID_Z_EN: 0
; COMPUTE_PGM_RSRC2:TIDIG_COMP_CNT: 0
; COMPUTE_PGM_RSRC3_GFX90A:ACCUM_OFFSET: 14
; COMPUTE_PGM_RSRC3_GFX90A:TG_SPLIT: 0
	.section	.text._ZN2at6native12_GLOBAL__N_125multi_tensor_apply_kernelINS1_18TensorListMetadataILi4EEENS1_32PointwiseOpScalar0dTensorFunctorIN3c104HalfELi4ELi2ELi3EEEJSt7dividesIfEfEEEvT_T0_DpT1_,"axG",@progbits,_ZN2at6native12_GLOBAL__N_125multi_tensor_apply_kernelINS1_18TensorListMetadataILi4EEENS1_32PointwiseOpScalar0dTensorFunctorIN3c104HalfELi4ELi2ELi3EEEJSt7dividesIfEfEEEvT_T0_DpT1_,comdat
	.globl	_ZN2at6native12_GLOBAL__N_125multi_tensor_apply_kernelINS1_18TensorListMetadataILi4EEENS1_32PointwiseOpScalar0dTensorFunctorIN3c104HalfELi4ELi2ELi3EEEJSt7dividesIfEfEEEvT_T0_DpT1_ ; -- Begin function _ZN2at6native12_GLOBAL__N_125multi_tensor_apply_kernelINS1_18TensorListMetadataILi4EEENS1_32PointwiseOpScalar0dTensorFunctorIN3c104HalfELi4ELi2ELi3EEEJSt7dividesIfEfEEEvT_T0_DpT1_
	.p2align	8
	.type	_ZN2at6native12_GLOBAL__N_125multi_tensor_apply_kernelINS1_18TensorListMetadataILi4EEENS1_32PointwiseOpScalar0dTensorFunctorIN3c104HalfELi4ELi2ELi3EEEJSt7dividesIfEfEEEvT_T0_DpT1_,@function
_ZN2at6native12_GLOBAL__N_125multi_tensor_apply_kernelINS1_18TensorListMetadataILi4EEENS1_32PointwiseOpScalar0dTensorFunctorIN3c104HalfELi4ELi2ELi3EEEJSt7dividesIfEfEEEvT_T0_DpT1_: ; @_ZN2at6native12_GLOBAL__N_125multi_tensor_apply_kernelINS1_18TensorListMetadataILi4EEENS1_32PointwiseOpScalar0dTensorFunctorIN3c104HalfELi4ELi2ELi3EEEJSt7dividesIfEfEEEvT_T0_DpT1_
; %bb.0:
	v_mov_b32_e32 v1, s6
	global_load_ubyte v1, v1, s[4:5] offset:1440
	s_add_u32 s0, s4, s6
	s_mul_hi_u32 s1, s6, 3
	s_mul_i32 s6, s6, 3
	s_addc_u32 s2, s5, 0
	s_add_u32 s0, s0, s6
	s_addc_u32 s1, s2, s1
	s_load_dword s0, s[0:1], 0x6e0
	v_mov_b32_e32 v3, 0
	s_mov_b32 s3, 0
	s_mov_b32 s9, s3
	s_waitcnt vmcnt(0)
	v_readfirstlane_b32 s1, v1
	s_lshl_b32 s2, s1, 3
	s_load_dwordx2 s[6:7], s[4:5], s2 offset:0x120
	s_load_dwordx2 s[18:19], s[4:5], s2 offset:0x240
	;; [unrolled: 1-line block ×4, first 2 shown]
	s_waitcnt lgkmcnt(0)
	s_ashr_i32 s1, s0, 31
	s_lshl_b64 s[10:11], s[0:1], 17
	global_load_ushort v1, v3, s[6:7]
	s_add_u32 s6, s6, s10
	s_mov_b32 s7, s3
	s_load_dword s12, s[4:5], 0xbec
	s_load_dwordx2 s[22:23], s[4:5], s2 offset:0x480
	s_and_b32 s2, s20, 7
	s_and_b32 s6, s6, 7
	s_cmp_lg_u64 s[6:7], 0
	s_cselect_b64 s[6:7], -1, 0
	s_add_u32 s8, s18, s10
	s_or_b32 s8, s16, s8
	s_and_b32 s8, s8, 7
	s_cmp_lg_u32 s8, 0
	s_cselect_b64 s[14:15], -1, 0
	s_lshl_b64 s[0:1], s[0:1], 16
	s_or_b64 s[6:7], s[14:15], s[6:7]
	s_waitcnt lgkmcnt(0)
	s_sub_u32 s14, s22, s0
	s_subb_u32 s15, s23, s1
	s_and_b32 s8, s22, 3
	s_or_b64 s[0:1], s[2:3], s[8:9]
	s_cmp_lg_u64 s[0:1], 0
	s_cselect_b64 s[0:1], -1, 0
	s_or_b64 s[0:1], s[6:7], s[0:1]
	s_andn2_b64 vcc, exec, s[0:1]
	s_mov_b64 s[0:1], -1
	s_waitcnt vmcnt(0)
	v_cvt_f32_f16_e32 v32, v1
	s_cbranch_vccz .LBB64_5
; %bb.1:
	v_lshlrev_b32_e32 v2, 2, v0
	v_cmp_gt_i64_e32 vcc, s[14:15], v[2:3]
	s_and_saveexec_b64 s[22:23], vcc
	s_cbranch_execz .LBB64_4
; %bb.2:
	s_load_dword s2, s[4:5], 0xbfc
	v_lshlrev_b32_e32 v1, 3, v0
	v_mov_b32_e32 v2, s11
	v_add_co_u32_e32 v4, vcc, s10, v1
	s_waitcnt lgkmcnt(0)
	s_and_b32 s2, s2, 0xffff
	v_cmp_eq_f32_e64 s[0:1], s12, 1.0
	s_mov_b32 s13, s12
	s_mov_b32 s24, s12
	;; [unrolled: 1-line block ×3, first 2 shown]
	v_mov_b32_e32 v3, 0
	v_addc_co_u32_e32 v1, vcc, 0, v2, vcc
	s_lshl_b32 s30, s2, 3
	v_add_lshl_u32 v2, v0, s2, 2
	s_lshl_b32 s31, s2, 2
	s_mov_b64 s[26:27], 0
	v_mov_b32_e32 v5, s21
	v_mov_b32_e32 v6, s19
	;; [unrolled: 1-line block ×3, first 2 shown]
	s_mov_b64 s[28:29], 0xffff
	v_mov_b32_e32 v8, s3
	v_mov_b32_e32 v9, s3
.LBB64_3:                               ; =>This Inner Loop Header: Depth=1
	v_add_co_u32_e32 v10, vcc, s20, v4
	v_addc_co_u32_e32 v11, vcc, v5, v1, vcc
	v_add_co_u32_e32 v12, vcc, s18, v4
	v_addc_co_u32_e32 v13, vcc, v6, v1, vcc
	global_load_dwordx2 v[16:17], v[12:13], off
	global_load_dwordx2 v[18:19], v[10:11], off
	v_add_co_u32_e32 v14, vcc, s16, v4
	v_addc_co_u32_e32 v15, vcc, v7, v1, vcc
	v_cmp_le_i64_e32 vcc, s[14:15], v[2:3]
	v_cmp_lt_u64_e64 s[2:3], s[28:29], v[2:3]
	v_add_co_u32_e64 v4, s[6:7], s30, v4
	v_addc_co_u32_e64 v1, s[6:7], v1, v8, s[6:7]
	s_or_b64 s[34:35], vcc, s[2:3]
	v_add_co_u32_e64 v2, s[6:7], s31, v2
	v_addc_co_u32_e64 v3, s[6:7], v3, v9, s[6:7]
	s_waitcnt vmcnt(1)
	v_cvt_f32_f16_e32 v20, v17
	s_waitcnt vmcnt(0)
	v_cvt_f32_f16_e32 v10, v18
	v_cvt_f32_f16_sdwa v11, v18 dst_sel:DWORD dst_unused:UNUSED_PAD src0_sel:WORD_1
	v_cvt_f32_f16_e32 v18, v16
	v_cvt_f32_f16_e32 v12, v19
	v_cvt_f32_f16_sdwa v13, v19 dst_sel:DWORD dst_unused:UNUSED_PAD src0_sel:WORD_1
	v_cvt_f32_f16_sdwa v19, v17 dst_sel:DWORD dst_unused:UNUSED_PAD src0_sel:WORD_1
	;; [unrolled: 1-line block ×3, first 2 shown]
	v_div_scale_f32 v16, s[2:3], v18, v18, v32
	v_rcp_f32_e32 v28, v16
	v_div_scale_f32 v22, s[2:3], v17, v17, v32
	v_div_scale_f32 v24, s[6:7], v20, v20, v32
	v_rcp_f32_e32 v29, v22
	v_div_scale_f32 v26, s[8:9], v19, v19, v32
	v_rcp_f32_e32 v30, v24
	v_rcp_f32_e32 v31, v26
	v_fma_f32 v33, -v16, v28, 1.0
	v_div_scale_f32 v21, vcc, v32, v18, v32
	v_fma_f32 v34, -v22, v29, 1.0
	v_fmac_f32_e32 v28, v33, v28
	v_div_scale_f32 v23, s[2:3], v32, v17, v32
	v_fma_f32 v35, -v24, v30, 1.0
	v_fmac_f32_e32 v29, v34, v29
	v_mul_f32_e32 v33, v21, v28
	v_div_scale_f32 v25, s[6:7], v32, v20, v32
	v_fma_f32 v36, -v26, v31, 1.0
	v_fmac_f32_e32 v30, v35, v30
	v_mul_f32_e32 v34, v23, v29
	v_fma_f32 v37, -v16, v33, v21
	v_div_scale_f32 v27, s[8:9], v32, v19, v32
	v_fmac_f32_e32 v31, v36, v31
	v_mul_f32_e32 v35, v25, v30
	v_fma_f32 v38, -v22, v34, v23
	v_fmac_f32_e32 v33, v37, v28
	v_mul_f32_e32 v36, v27, v31
	v_fma_f32 v39, -v24, v35, v25
	v_fmac_f32_e32 v34, v38, v29
	v_fma_f32 v16, -v16, v33, v21
	v_fma_f32 v40, -v26, v36, v27
	v_fmac_f32_e32 v35, v39, v30
	v_fma_f32 v21, -v22, v34, v23
	v_div_fmas_f32 v16, v16, v28, v33
	s_mov_b64 vcc, s[2:3]
	v_fmac_f32_e32 v36, v40, v31
	v_fma_f32 v22, -v24, v35, v25
	v_div_fixup_f32 v16, v16, v18, v32
	v_div_fmas_f32 v18, v21, v29, v34
	s_mov_b64 vcc, s[6:7]
	v_fma_f32 v23, -v26, v36, v27
	v_div_fixup_f32 v17, v18, v17, v32
	v_div_fmas_f32 v18, v22, v30, v35
	s_mov_b64 vcc, s[8:9]
	v_div_fmas_f32 v22, v23, v31, v36
	v_div_fixup_f32 v18, v18, v20, v32
	v_pk_add_f32 v[20:21], v[16:17], v[10:11]
	v_pk_fma_f32 v[10:11], s[12:13], v[16:17], v[10:11]
	v_div_fixup_f32 v19, v22, v19, v32
	v_cndmask_b32_e64 v16, v10, v20, s[0:1]
	v_cndmask_b32_e64 v17, v11, v21, s[0:1]
	v_pk_add_f32 v[10:11], v[18:19], v[12:13]
	v_pk_fma_f32 v[12:13], s[24:25], v[18:19], v[12:13]
	v_cndmask_b32_e64 v10, v12, v10, s[0:1]
	v_cndmask_b32_e64 v11, v13, v11, s[0:1]
	v_cvt_f16_f32_e32 v17, v17
	v_cvt_f16_f32_e32 v16, v16
	v_cvt_f16_f32_e32 v11, v11
	v_cvt_f16_f32_e32 v12, v10
	s_and_b64 s[2:3], exec, s[34:35]
	s_or_b64 s[26:27], s[2:3], s[26:27]
	v_pack_b32_f16 v10, v16, v17
	v_pack_b32_f16 v11, v12, v11
	global_store_dwordx2 v[14:15], v[10:11], off
	s_andn2_b64 exec, exec, s[26:27]
	s_cbranch_execnz .LBB64_3
.LBB64_4:
	s_or_b64 exec, exec, s[22:23]
	s_mov_b64 s[0:1], 0
.LBB64_5:
	s_andn2_b64 vcc, exec, s[0:1]
	s_cbranch_vccnz .LBB64_25
; %bb.6:
	v_cmp_lt_i64_e64 s[0:1], s[14:15], 1
	s_and_b64 vcc, exec, s[0:1]
	s_cbranch_vccnz .LBB64_25
; %bb.7:
	s_load_dword s2, s[4:5], 0xbfc
	v_mov_b32_e32 v2, 0x10000
	v_mov_b32_e32 v3, 0
	v_cmp_lt_u64_e32 vcc, s[14:15], v[2:3]
	v_lshlrev_b32_e32 v14, 1, v0
	s_waitcnt lgkmcnt(0)
	s_and_b32 s22, s2, 0xffff
	s_and_b64 s[2:3], vcc, exec
	v_mov_b32_e32 v21, s21
	v_add_co_u32_e32 v2, vcc, s20, v14
	v_addc_co_u32_e32 v3, vcc, 0, v21, vcc
	v_mov_b32_e32 v23, s19
	v_add_co_u32_e32 v4, vcc, s18, v14
	v_mov_b32_e32 v1, 0
	v_addc_co_u32_e32 v5, vcc, 0, v23, vcc
	v_mov_b32_e32 v15, v1
	v_mov_b32_e32 v25, s17
	v_add_co_u32_e32 v6, vcc, s16, v14
	v_addc_co_u32_e32 v7, vcc, 0, v25, vcc
	v_mad_u64_u32 v[12:13], s[2:3], s22, 6, v[14:15]
	v_add_co_u32_e32 v8, vcc, s20, v12
	v_addc_co_u32_e32 v9, vcc, v21, v13, vcc
	v_add_co_u32_e32 v10, vcc, s18, v12
	v_addc_co_u32_e32 v11, vcc, v23, v13, vcc
	v_add_co_u32_e32 v12, vcc, s16, v12
	s_cselect_b32 s7, s15, 0
	s_cselect_b32 s6, s14, 0x10000
	s_lshl_b32 s8, s22, 2
	v_addc_co_u32_e32 v13, vcc, v25, v13, vcc
	v_add_co_u32_e32 v18, vcc, s8, v14
	v_addc_co_u32_e64 v19, s[2:3], 0, 0, vcc
	v_add_co_u32_e32 v14, vcc, s20, v18
	v_addc_co_u32_e32 v15, vcc, v21, v19, vcc
	v_add_co_u32_e32 v16, vcc, s18, v18
	v_addc_co_u32_e32 v17, vcc, v23, v19, vcc
	;; [unrolled: 2-line block ×3, first 2 shown]
	v_add_lshl_u32 v24, v0, s22, 1
	v_add_co_u32_e32 v20, vcc, s20, v24
	v_addc_co_u32_e32 v21, vcc, 0, v21, vcc
	v_add_co_u32_e32 v22, vcc, s18, v24
	s_mov_b32 s13, 0
	v_addc_co_u32_e32 v23, vcc, 0, v23, vcc
	s_mov_b32 s9, s13
	v_add_co_u32_e32 v24, vcc, s16, v24
	v_cmp_eq_f32_e64 s[0:1], s12, 1.0
	s_mov_b64 s[4:5], 0x10000
	s_lshl_b32 s23, s22, 1
	s_mov_b32 s24, s13
	s_mul_i32 s25, s22, 3
	s_mov_b32 s26, s13
	s_lshl_b32 s21, s22, 3
	s_mov_b32 s27, s13
	v_addc_co_u32_e32 v25, vcc, 0, v25, vcc
	s_mov_b64 s[16:17], s[8:9]
	s_branch .LBB64_9
.LBB64_8:                               ;   in Loop: Header=BB64_9 Depth=1
	s_or_b64 exec, exec, s[2:3]
	v_pk_mov_b32 v[26:27], s[14:15], s[14:15] op_sel:[0,1]
	v_cmp_ge_i64_e32 vcc, s[16:17], v[26:27]
	v_mov_b32_e32 v26, 0xffff
	v_mov_b32_e32 v27, 0
	v_cmp_gt_u64_e64 s[2:3], s[16:17], v[26:27]
	s_or_b64 s[2:3], vcc, s[2:3]
	v_mov_b32_e32 v26, s27
	v_add_co_u32_e32 v2, vcc, s21, v2
	v_addc_co_u32_e32 v3, vcc, v3, v26, vcc
	v_add_co_u32_e32 v4, vcc, s21, v4
	v_addc_co_u32_e32 v5, vcc, v5, v26, vcc
	;; [unrolled: 2-line block ×3, first 2 shown]
	v_mov_b32_e32 v27, s9
	v_add_co_u32_e32 v0, vcc, s8, v0
	v_addc_co_u32_e32 v1, vcc, v1, v27, vcc
	v_add_co_u32_e32 v8, vcc, s21, v8
	v_addc_co_u32_e32 v9, vcc, v9, v26, vcc
	;; [unrolled: 2-line block ×9, first 2 shown]
	v_add_co_u32_e32 v24, vcc, s21, v24
	s_add_u32 s16, s16, s8
	v_addc_co_u32_e32 v25, vcc, v25, v26, vcc
	s_addc_u32 s17, s17, 0
	s_and_b64 vcc, exec, s[2:3]
	s_cbranch_vccnz .LBB64_25
.LBB64_9:                               ; =>This Inner Loop Header: Depth=1
	v_cmp_gt_i64_e32 vcc, s[14:15], v[0:1]
	v_cmp_gt_u64_e64 s[2:3], s[4:5], v[0:1]
	s_and_b64 s[18:19], vcc, s[2:3]
	s_waitcnt vmcnt(0)
	v_mov_b32_e32 v40, 0
	v_mov_b32_e32 v37, 0
	s_and_saveexec_b64 s[2:3], s[18:19]
	s_cbranch_execz .LBB64_11
; %bb.10:                               ;   in Loop: Header=BB64_9 Depth=1
	v_mov_b32_e32 v29, s11
	v_add_co_u32_e32 v26, vcc, s10, v2
	v_addc_co_u32_e32 v27, vcc, v3, v29, vcc
	v_add_co_u32_e32 v28, vcc, s10, v4
	v_addc_co_u32_e32 v29, vcc, v5, v29, vcc
	global_load_ushort v37, v[26:27], off
	global_load_ushort v40, v[28:29], off
.LBB64_11:                              ;   in Loop: Header=BB64_9 Depth=1
	s_or_b64 exec, exec, s[2:3]
	v_mov_b32_e32 v26, s13
	v_add_co_u32_e32 v30, vcc, s22, v0
	v_addc_co_u32_e32 v31, vcc, v26, v1, vcc
	v_cmp_gt_i64_e32 vcc, s[14:15], v[30:31]
	v_cmp_gt_u64_e64 s[2:3], s[4:5], v[30:31]
	s_and_b64 s[18:19], vcc, s[2:3]
	v_mov_b32_e32 v33, 0
	v_mov_b32_e32 v39, 0
	;; [unrolled: 1-line block ×3, first 2 shown]
	s_and_saveexec_b64 s[2:3], s[18:19]
	s_cbranch_execz .LBB64_13
; %bb.12:                               ;   in Loop: Header=BB64_9 Depth=1
	v_mov_b32_e32 v29, s11
	v_add_co_u32_e32 v26, vcc, s10, v20
	v_addc_co_u32_e32 v27, vcc, v21, v29, vcc
	v_add_co_u32_e32 v28, vcc, s10, v22
	v_addc_co_u32_e32 v29, vcc, v23, v29, vcc
	global_load_ushort v36, v[26:27], off
	global_load_ushort v39, v[28:29], off
.LBB64_13:                              ;   in Loop: Header=BB64_9 Depth=1
	s_or_b64 exec, exec, s[2:3]
	v_mov_b32_e32 v26, s24
	v_add_co_u32_e32 v28, vcc, s23, v0
	v_addc_co_u32_e32 v29, vcc, v26, v1, vcc
	v_cmp_gt_i64_e32 vcc, s[14:15], v[28:29]
	v_cmp_gt_u64_e64 s[2:3], s[4:5], v[28:29]
	s_and_b64 s[18:19], vcc, s[2:3]
	v_mov_b32_e32 v35, 0
	s_and_saveexec_b64 s[2:3], s[18:19]
	s_cbranch_execz .LBB64_15
; %bb.14:                               ;   in Loop: Header=BB64_9 Depth=1
	v_mov_b32_e32 v33, s11
	v_add_co_u32_e32 v26, vcc, s10, v14
	v_addc_co_u32_e32 v27, vcc, v15, v33, vcc
	v_add_co_u32_e32 v42, vcc, s10, v16
	v_addc_co_u32_e32 v43, vcc, v17, v33, vcc
	global_load_ushort v35, v[26:27], off
	global_load_ushort v33, v[42:43], off
.LBB64_15:                              ;   in Loop: Header=BB64_9 Depth=1
	s_or_b64 exec, exec, s[2:3]
	v_mov_b32_e32 v27, s26
	v_add_co_u32_e32 v26, vcc, s25, v0
	v_addc_co_u32_e32 v27, vcc, v27, v1, vcc
	v_cmp_gt_i64_e32 vcc, s[14:15], v[26:27]
	v_cmp_gt_u64_e64 s[2:3], s[4:5], v[26:27]
	s_and_b64 s[18:19], vcc, s[2:3]
	v_mov_b32_e32 v38, 0
	v_mov_b32_e32 v34, 0
	s_and_saveexec_b64 s[2:3], s[18:19]
	s_cbranch_execnz .LBB64_20
; %bb.16:                               ;   in Loop: Header=BB64_9 Depth=1
	s_or_b64 exec, exec, s[2:3]
	v_cmp_gt_u64_e32 vcc, s[6:7], v[0:1]
	s_and_saveexec_b64 s[2:3], vcc
	s_cbranch_execnz .LBB64_21
.LBB64_17:                              ;   in Loop: Header=BB64_9 Depth=1
	s_or_b64 exec, exec, s[2:3]
	v_cmp_gt_u64_e32 vcc, s[6:7], v[30:31]
	s_and_saveexec_b64 s[2:3], vcc
	s_cbranch_execnz .LBB64_22
.LBB64_18:                              ;   in Loop: Header=BB64_9 Depth=1
	s_or_b64 exec, exec, s[2:3]
	v_cmp_gt_u64_e32 vcc, s[6:7], v[28:29]
	s_and_saveexec_b64 s[2:3], vcc
	s_cbranch_execnz .LBB64_23
.LBB64_19:                              ;   in Loop: Header=BB64_9 Depth=1
	s_or_b64 exec, exec, s[2:3]
	v_cmp_gt_u64_e32 vcc, s[6:7], v[26:27]
	s_and_saveexec_b64 s[2:3], vcc
	s_cbranch_execz .LBB64_8
	s_branch .LBB64_24
.LBB64_20:                              ;   in Loop: Header=BB64_9 Depth=1
	v_mov_b32_e32 v34, s11
	v_add_co_u32_e32 v42, vcc, s10, v8
	v_addc_co_u32_e32 v43, vcc, v9, v34, vcc
	v_add_co_u32_e32 v44, vcc, s10, v10
	v_addc_co_u32_e32 v45, vcc, v11, v34, vcc
	global_load_ushort v34, v[42:43], off
	global_load_ushort v38, v[44:45], off
	s_or_b64 exec, exec, s[2:3]
	v_cmp_gt_u64_e32 vcc, s[6:7], v[0:1]
	s_and_saveexec_b64 s[2:3], vcc
	s_cbranch_execz .LBB64_17
.LBB64_21:                              ;   in Loop: Header=BB64_9 Depth=1
	s_waitcnt vmcnt(0)
	v_cvt_f32_f16_e32 v40, v40
	v_cvt_f32_f16_e32 v43, v37
	v_div_scale_f32 v41, s[18:19], v40, v40, v32
	v_rcp_f32_e32 v42, v41
	v_div_scale_f32 v44, vcc, v32, v40, v32
	v_fma_f32 v45, -v41, v42, 1.0
	v_fmac_f32_e32 v42, v45, v42
	v_mul_f32_e32 v45, v44, v42
	v_fma_f32 v46, -v41, v45, v44
	v_fmac_f32_e32 v45, v46, v42
	v_fma_f32 v41, -v41, v45, v44
	v_div_fmas_f32 v41, v41, v42, v45
	v_div_fixup_f32 v40, v41, v40, v32
	v_add_f32_e32 v41, v40, v43
	v_fma_mix_f32 v37, s12, v40, v37 op_sel_hi:[0,0,1]
	v_cndmask_b32_e64 v37, v37, v41, s[0:1]
	v_cvt_f16_f32_e32 v37, v37
	v_mov_b32_e32 v41, s11
	v_add_co_u32_e32 v40, vcc, s10, v6
	v_addc_co_u32_e32 v41, vcc, v7, v41, vcc
	global_store_short v[40:41], v37, off
	s_or_b64 exec, exec, s[2:3]
	v_cmp_gt_u64_e32 vcc, s[6:7], v[30:31]
	s_and_saveexec_b64 s[2:3], vcc
	s_cbranch_execz .LBB64_18
.LBB64_22:                              ;   in Loop: Header=BB64_9 Depth=1
	s_waitcnt vmcnt(0)
	v_cvt_f32_f16_e32 v30, v39
	v_cvt_f32_f16_e32 v39, v36
	v_div_scale_f32 v31, s[18:19], v30, v30, v32
	v_rcp_f32_e32 v37, v31
	v_div_scale_f32 v40, vcc, v32, v30, v32
	v_fma_f32 v41, -v31, v37, 1.0
	v_fmac_f32_e32 v37, v41, v37
	v_mul_f32_e32 v41, v40, v37
	v_fma_f32 v42, -v31, v41, v40
	v_fmac_f32_e32 v41, v42, v37
	v_fma_f32 v31, -v31, v41, v40
	v_div_fmas_f32 v31, v31, v37, v41
	v_div_fixup_f32 v30, v31, v30, v32
	v_add_f32_e32 v31, v30, v39
	v_fma_mix_f32 v30, s12, v30, v36 op_sel_hi:[0,0,1]
	v_cndmask_b32_e64 v30, v30, v31, s[0:1]
	v_cvt_f16_f32_e32 v36, v30
	v_mov_b32_e32 v31, s11
	v_add_co_u32_e32 v30, vcc, s10, v24
	v_addc_co_u32_e32 v31, vcc, v25, v31, vcc
	global_store_short v[30:31], v36, off
	s_or_b64 exec, exec, s[2:3]
	v_cmp_gt_u64_e32 vcc, s[6:7], v[28:29]
	s_and_saveexec_b64 s[2:3], vcc
	s_cbranch_execz .LBB64_19
.LBB64_23:                              ;   in Loop: Header=BB64_9 Depth=1
	s_waitcnt vmcnt(0)
	v_cvt_f32_f16_e32 v28, v33
	v_cvt_f32_f16_e32 v31, v35
	v_div_scale_f32 v29, s[18:19], v28, v28, v32
	v_rcp_f32_e32 v30, v29
	v_div_scale_f32 v33, vcc, v32, v28, v32
	v_fma_f32 v36, -v29, v30, 1.0
	v_fmac_f32_e32 v30, v36, v30
	v_mul_f32_e32 v36, v33, v30
	v_fma_f32 v37, -v29, v36, v33
	v_fmac_f32_e32 v36, v37, v30
	v_fma_f32 v29, -v29, v36, v33
	v_div_fmas_f32 v29, v29, v30, v36
	v_div_fixup_f32 v28, v29, v28, v32
	v_add_f32_e32 v29, v28, v31
	v_fma_mix_f32 v28, s12, v28, v35 op_sel_hi:[0,0,1]
	v_cndmask_b32_e64 v28, v28, v29, s[0:1]
	v_cvt_f16_f32_e32 v30, v28
	v_mov_b32_e32 v29, s11
	v_add_co_u32_e32 v28, vcc, s10, v18
	v_addc_co_u32_e32 v29, vcc, v19, v29, vcc
	global_store_short v[28:29], v30, off
	s_or_b64 exec, exec, s[2:3]
	v_cmp_gt_u64_e32 vcc, s[6:7], v[26:27]
	s_and_saveexec_b64 s[2:3], vcc
	s_cbranch_execz .LBB64_8
.LBB64_24:                              ;   in Loop: Header=BB64_9 Depth=1
	s_waitcnt vmcnt(0)
	v_cvt_f32_f16_e32 v26, v38
	v_cvt_f32_f16_e32 v29, v34
	v_div_scale_f32 v27, s[18:19], v26, v26, v32
	v_rcp_f32_e32 v28, v27
	v_div_scale_f32 v30, vcc, v32, v26, v32
	v_fma_f32 v31, -v27, v28, 1.0
	v_fmac_f32_e32 v28, v31, v28
	v_mul_f32_e32 v31, v30, v28
	v_fma_f32 v33, -v27, v31, v30
	v_fmac_f32_e32 v31, v33, v28
	v_fma_f32 v27, -v27, v31, v30
	v_div_fmas_f32 v27, v27, v28, v31
	v_div_fixup_f32 v26, v27, v26, v32
	v_add_f32_e32 v27, v26, v29
	v_fma_mix_f32 v26, s12, v26, v34 op_sel_hi:[0,0,1]
	v_cndmask_b32_e64 v26, v26, v27, s[0:1]
	v_cvt_f16_f32_e32 v28, v26
	v_mov_b32_e32 v27, s11
	v_add_co_u32_e32 v26, vcc, s10, v12
	v_addc_co_u32_e32 v27, vcc, v13, v27, vcc
	global_store_short v[26:27], v28, off
	s_branch .LBB64_8
.LBB64_25:
	s_endpgm
	.section	.rodata,"a",@progbits
	.p2align	6, 0x0
	.amdhsa_kernel _ZN2at6native12_GLOBAL__N_125multi_tensor_apply_kernelINS1_18TensorListMetadataILi4EEENS1_32PointwiseOpScalar0dTensorFunctorIN3c104HalfELi4ELi2ELi3EEEJSt7dividesIfEfEEEvT_T0_DpT1_
		.amdhsa_group_segment_fixed_size 0
		.amdhsa_private_segment_fixed_size 0
		.amdhsa_kernarg_size 3312
		.amdhsa_user_sgpr_count 6
		.amdhsa_user_sgpr_private_segment_buffer 1
		.amdhsa_user_sgpr_dispatch_ptr 0
		.amdhsa_user_sgpr_queue_ptr 0
		.amdhsa_user_sgpr_kernarg_segment_ptr 1
		.amdhsa_user_sgpr_dispatch_id 0
		.amdhsa_user_sgpr_flat_scratch_init 0
		.amdhsa_user_sgpr_kernarg_preload_length 0
		.amdhsa_user_sgpr_kernarg_preload_offset 0
		.amdhsa_user_sgpr_private_segment_size 0
		.amdhsa_uses_dynamic_stack 0
		.amdhsa_system_sgpr_private_segment_wavefront_offset 0
		.amdhsa_system_sgpr_workgroup_id_x 1
		.amdhsa_system_sgpr_workgroup_id_y 0
		.amdhsa_system_sgpr_workgroup_id_z 0
		.amdhsa_system_sgpr_workgroup_info 0
		.amdhsa_system_vgpr_workitem_id 0
		.amdhsa_next_free_vgpr 47
		.amdhsa_next_free_sgpr 36
		.amdhsa_accum_offset 48
		.amdhsa_reserve_vcc 1
		.amdhsa_reserve_flat_scratch 0
		.amdhsa_float_round_mode_32 0
		.amdhsa_float_round_mode_16_64 0
		.amdhsa_float_denorm_mode_32 3
		.amdhsa_float_denorm_mode_16_64 3
		.amdhsa_dx10_clamp 1
		.amdhsa_ieee_mode 1
		.amdhsa_fp16_overflow 0
		.amdhsa_tg_split 0
		.amdhsa_exception_fp_ieee_invalid_op 0
		.amdhsa_exception_fp_denorm_src 0
		.amdhsa_exception_fp_ieee_div_zero 0
		.amdhsa_exception_fp_ieee_overflow 0
		.amdhsa_exception_fp_ieee_underflow 0
		.amdhsa_exception_fp_ieee_inexact 0
		.amdhsa_exception_int_div_zero 0
	.end_amdhsa_kernel
	.section	.text._ZN2at6native12_GLOBAL__N_125multi_tensor_apply_kernelINS1_18TensorListMetadataILi4EEENS1_32PointwiseOpScalar0dTensorFunctorIN3c104HalfELi4ELi2ELi3EEEJSt7dividesIfEfEEEvT_T0_DpT1_,"axG",@progbits,_ZN2at6native12_GLOBAL__N_125multi_tensor_apply_kernelINS1_18TensorListMetadataILi4EEENS1_32PointwiseOpScalar0dTensorFunctorIN3c104HalfELi4ELi2ELi3EEEJSt7dividesIfEfEEEvT_T0_DpT1_,comdat
.Lfunc_end64:
	.size	_ZN2at6native12_GLOBAL__N_125multi_tensor_apply_kernelINS1_18TensorListMetadataILi4EEENS1_32PointwiseOpScalar0dTensorFunctorIN3c104HalfELi4ELi2ELi3EEEJSt7dividesIfEfEEEvT_T0_DpT1_, .Lfunc_end64-_ZN2at6native12_GLOBAL__N_125multi_tensor_apply_kernelINS1_18TensorListMetadataILi4EEENS1_32PointwiseOpScalar0dTensorFunctorIN3c104HalfELi4ELi2ELi3EEEJSt7dividesIfEfEEEvT_T0_DpT1_
                                        ; -- End function
	.section	.AMDGPU.csdata,"",@progbits
; Kernel info:
; codeLenInByte = 2364
; NumSgprs: 40
; NumVgprs: 47
; NumAgprs: 0
; TotalNumVgprs: 47
; ScratchSize: 0
; MemoryBound: 0
; FloatMode: 240
; IeeeMode: 1
; LDSByteSize: 0 bytes/workgroup (compile time only)
; SGPRBlocks: 4
; VGPRBlocks: 5
; NumSGPRsForWavesPerEU: 40
; NumVGPRsForWavesPerEU: 47
; AccumOffset: 48
; Occupancy: 8
; WaveLimiterHint : 0
; COMPUTE_PGM_RSRC2:SCRATCH_EN: 0
; COMPUTE_PGM_RSRC2:USER_SGPR: 6
; COMPUTE_PGM_RSRC2:TRAP_HANDLER: 0
; COMPUTE_PGM_RSRC2:TGID_X_EN: 1
; COMPUTE_PGM_RSRC2:TGID_Y_EN: 0
; COMPUTE_PGM_RSRC2:TGID_Z_EN: 0
; COMPUTE_PGM_RSRC2:TIDIG_COMP_CNT: 0
; COMPUTE_PGM_RSRC3_GFX90A:ACCUM_OFFSET: 11
; COMPUTE_PGM_RSRC3_GFX90A:TG_SPLIT: 0
	.section	.text._ZN2at6native12_GLOBAL__N_125multi_tensor_apply_kernelINS1_18TensorListMetadataILi4EEENS1_32PointwiseOpScalar0dTensorFunctorIN3c108BFloat16ELi4ELi2ELi3EEEJSt7dividesIfEfEEEvT_T0_DpT1_,"axG",@progbits,_ZN2at6native12_GLOBAL__N_125multi_tensor_apply_kernelINS1_18TensorListMetadataILi4EEENS1_32PointwiseOpScalar0dTensorFunctorIN3c108BFloat16ELi4ELi2ELi3EEEJSt7dividesIfEfEEEvT_T0_DpT1_,comdat
	.globl	_ZN2at6native12_GLOBAL__N_125multi_tensor_apply_kernelINS1_18TensorListMetadataILi4EEENS1_32PointwiseOpScalar0dTensorFunctorIN3c108BFloat16ELi4ELi2ELi3EEEJSt7dividesIfEfEEEvT_T0_DpT1_ ; -- Begin function _ZN2at6native12_GLOBAL__N_125multi_tensor_apply_kernelINS1_18TensorListMetadataILi4EEENS1_32PointwiseOpScalar0dTensorFunctorIN3c108BFloat16ELi4ELi2ELi3EEEJSt7dividesIfEfEEEvT_T0_DpT1_
	.p2align	8
	.type	_ZN2at6native12_GLOBAL__N_125multi_tensor_apply_kernelINS1_18TensorListMetadataILi4EEENS1_32PointwiseOpScalar0dTensorFunctorIN3c108BFloat16ELi4ELi2ELi3EEEJSt7dividesIfEfEEEvT_T0_DpT1_,@function
_ZN2at6native12_GLOBAL__N_125multi_tensor_apply_kernelINS1_18TensorListMetadataILi4EEENS1_32PointwiseOpScalar0dTensorFunctorIN3c108BFloat16ELi4ELi2ELi3EEEJSt7dividesIfEfEEEvT_T0_DpT1_: ; @_ZN2at6native12_GLOBAL__N_125multi_tensor_apply_kernelINS1_18TensorListMetadataILi4EEENS1_32PointwiseOpScalar0dTensorFunctorIN3c108BFloat16ELi4ELi2ELi3EEEJSt7dividesIfEfEEEvT_T0_DpT1_
; %bb.0:
	v_mov_b32_e32 v1, s6
	global_load_ubyte v1, v1, s[4:5] offset:1440
	s_add_u32 s0, s4, s6
	s_mul_hi_u32 s1, s6, 3
	s_mul_i32 s6, s6, 3
	s_addc_u32 s2, s5, 0
	s_add_u32 s0, s0, s6
	s_addc_u32 s1, s2, s1
	s_load_dword s0, s[0:1], 0x6e0
	v_mov_b32_e32 v3, 0
	s_mov_b32 s3, 0
	s_mov_b32 s9, s3
	s_waitcnt vmcnt(0)
	v_readfirstlane_b32 s1, v1
	s_lshl_b32 s2, s1, 3
	s_load_dwordx2 s[6:7], s[4:5], s2 offset:0x120
	s_load_dwordx2 s[16:17], s[4:5], s2 offset:0x240
	;; [unrolled: 1-line block ×4, first 2 shown]
	s_waitcnt lgkmcnt(0)
	s_ashr_i32 s1, s0, 31
	s_lshl_b64 s[10:11], s[0:1], 17
	global_load_ushort v1, v3, s[6:7]
	s_add_u32 s6, s6, s10
	s_mov_b32 s7, s3
	s_load_dword s26, s[4:5], 0xbec
	s_load_dwordx2 s[20:21], s[4:5], s2 offset:0x480
	s_and_b32 s2, s18, 7
	s_and_b32 s6, s6, 7
	s_cmp_lg_u64 s[6:7], 0
	s_cselect_b64 s[6:7], -1, 0
	s_add_u32 s8, s16, s10
	s_or_b32 s8, s14, s8
	s_and_b32 s8, s8, 7
	s_cmp_lg_u32 s8, 0
	s_cselect_b64 s[12:13], -1, 0
	s_lshl_b64 s[0:1], s[0:1], 16
	s_or_b64 s[6:7], s[12:13], s[6:7]
	s_waitcnt lgkmcnt(0)
	s_sub_u32 s12, s20, s0
	s_subb_u32 s13, s21, s1
	s_and_b32 s8, s20, 3
	s_or_b64 s[0:1], s[2:3], s[8:9]
	s_cmp_lg_u64 s[0:1], 0
	s_cselect_b64 s[0:1], -1, 0
	s_or_b64 s[0:1], s[6:7], s[0:1]
	s_andn2_b64 vcc, exec, s[0:1]
	s_mov_b64 s[0:1], -1
	s_waitcnt vmcnt(0)
	v_lshlrev_b32_e32 v36, 16, v1
	s_cbranch_vccz .LBB65_5
; %bb.1:
	v_lshlrev_b32_e32 v2, 2, v0
	v_cmp_gt_i64_e32 vcc, s[12:13], v[2:3]
	s_and_saveexec_b64 s[20:21], vcc
	s_cbranch_execz .LBB65_4
; %bb.2:
	s_load_dword s2, s[4:5], 0xbfc
	v_lshlrev_b32_e32 v1, 3, v0
	v_mov_b32_e32 v2, s11
	v_add_co_u32_e32 v4, vcc, s10, v1
	s_waitcnt lgkmcnt(0)
	s_and_b32 s2, s2, 0xffff
	v_cmp_eq_f32_e64 s[0:1], s26, 1.0
	v_mov_b32_e32 v3, 0
	v_addc_co_u32_e32 v1, vcc, 0, v2, vcc
	s_lshl_b32 s27, s2, 3
	v_add_lshl_u32 v2, v0, s2, 2
	s_lshl_b32 s28, s2, 2
	s_mov_b64 s[22:23], 0
	v_mov_b32_e32 v5, s19
	v_mov_b32_e32 v6, s17
	s_movk_i32 s29, 0x7fff
	v_mov_b32_e32 v7, 0x7fc0
	v_mov_b32_e32 v8, 0x7fc00000
	;; [unrolled: 1-line block ×3, first 2 shown]
	s_mov_b64 s[24:25], 0xffff
	v_mov_b32_e32 v10, s3
	v_mov_b32_e32 v11, s3
.LBB65_3:                               ; =>This Inner Loop Header: Depth=1
	v_add_co_u32_e32 v12, vcc, s18, v4
	v_addc_co_u32_e32 v13, vcc, v5, v1, vcc
	v_add_co_u32_e32 v14, vcc, s16, v4
	v_addc_co_u32_e32 v15, vcc, v6, v1, vcc
	global_load_dwordx2 v[18:19], v[12:13], off
	global_load_dwordx2 v[20:21], v[14:15], off
	v_add_co_u32_e32 v16, vcc, s14, v4
	v_addc_co_u32_e32 v17, vcc, v9, v1, vcc
	v_cmp_le_i64_e32 vcc, s[12:13], v[2:3]
	v_cmp_lt_u64_e64 s[2:3], s[24:25], v[2:3]
	s_or_b64 s[2:3], vcc, s[2:3]
	v_add_co_u32_e64 v4, s[6:7], s27, v4
	s_and_b64 s[2:3], exec, s[2:3]
	v_addc_co_u32_e64 v1, s[6:7], v1, v10, s[6:7]
	s_or_b64 s[22:23], s[2:3], s[22:23]
	v_add_co_u32_e64 v2, s[6:7], s28, v2
	v_addc_co_u32_e64 v3, s[6:7], v3, v11, s[6:7]
	s_waitcnt vmcnt(1)
	v_lshlrev_b32_e32 v12, 16, v18
	s_waitcnt vmcnt(0)
	v_lshlrev_b32_e32 v13, 16, v20
	v_and_b32_e32 v15, 0xffff0000, v20
	v_alignbit_b32 v20, v21, v20, 16
	v_div_scale_f32 v22, s[2:3], v13, v13, v36
	v_and_b32_e32 v21, 0xffff0000, v21
	v_div_scale_f32 v24, s[2:3], v15, v15, v36
	v_and_b32_e32 v20, 0xffff0000, v20
	v_rcp_f32_e32 v28, v22
	v_div_scale_f32 v26, s[6:7], v21, v21, v36
	v_rcp_f32_e32 v29, v24
	v_div_scale_f32 v30, s[8:9], v20, v20, v36
	v_rcp_f32_e32 v32, v26
	v_rcp_f32_e32 v33, v30
	v_fma_f32 v34, -v22, v28, 1.0
	v_div_scale_f32 v23, vcc, v36, v13, v36
	v_fma_f32 v35, -v24, v29, 1.0
	v_fmac_f32_e32 v28, v34, v28
	v_div_scale_f32 v25, s[2:3], v36, v15, v36
	v_fma_f32 v37, -v26, v32, 1.0
	v_fmac_f32_e32 v29, v35, v29
	v_fma_f32 v34, -v30, v33, 1.0
	v_mul_f32_e32 v35, v23, v28
	v_div_scale_f32 v31, s[8:9], v36, v20, v36
	v_fmac_f32_e32 v32, v37, v32
	v_mul_f32_e32 v37, v25, v29
	v_fmac_f32_e32 v33, v34, v33
	v_fma_f32 v38, -v22, v35, v23
	v_div_scale_f32 v27, s[6:7], v36, v21, v36
	v_fma_f32 v39, -v24, v37, v25
	v_mul_f32_e32 v40, v31, v33
	v_fmac_f32_e32 v35, v38, v28
	v_mul_f32_e32 v34, v27, v32
	v_fmac_f32_e32 v37, v39, v29
	v_fma_f32 v38, -v30, v40, v31
	v_fma_f32 v22, -v22, v35, v23
	;; [unrolled: 1-line block ×4, first 2 shown]
	v_fmac_f32_e32 v40, v38, v33
	v_div_fmas_f32 v22, v22, v28, v35
	s_mov_b64 vcc, s[2:3]
	v_fmac_f32_e32 v34, v41, v32
	v_fma_f32 v25, -v30, v40, v31
	v_div_fixup_f32 v13, v22, v13, v36
	v_div_fmas_f32 v22, v23, v29, v37
	s_mov_b64 vcc, s[8:9]
	v_and_b32_e32 v14, 0xffff0000, v18
	v_alignbit_b32 v18, v19, v18, 16
	v_fma_f32 v24, -v26, v34, v27
	v_add_f32_e32 v23, v13, v12
	v_fmac_f32_e32 v12, s26, v13
	v_div_fixup_f32 v13, v22, v15, v36
	v_div_fmas_f32 v15, v25, v33, v40
	s_mov_b64 vcc, s[6:7]
	v_and_b32_e32 v18, 0xffff0000, v18
	v_cndmask_b32_e64 v12, v12, v23, s[0:1]
	v_add_f32_e32 v22, v13, v14
	v_fmac_f32_e32 v14, s26, v13
	v_div_fixup_f32 v13, v15, v20, v36
	v_div_fmas_f32 v15, v24, v32, v34
	v_and_b32_e32 v19, 0xffff0000, v19
	v_bfe_u32 v20, v12, 16, 1
	v_cndmask_b32_e64 v14, v14, v22, s[0:1]
	v_add_f32_e32 v22, v13, v18
	v_fmac_f32_e32 v18, s26, v13
	v_div_fixup_f32 v13, v15, v21, v36
	v_add3_u32 v15, v12, v20, s29
	v_bfe_u32 v20, v14, 16, 1
	v_cndmask_b32_e64 v18, v18, v22, s[0:1]
	v_add_f32_e32 v21, v13, v19
	v_fmac_f32_e32 v19, s26, v13
	v_lshrrev_b32_e32 v13, 16, v15
	v_add3_u32 v15, v14, v20, s29
	v_bfe_u32 v20, v18, 16, 1
	v_cndmask_b32_e64 v19, v19, v21, s[0:1]
	v_cmp_o_f32_e32 vcc, v12, v12
	v_cndmask_b32_e32 v12, v7, v13, vcc
	v_and_b32_e32 v13, 0xffff0000, v15
	v_add3_u32 v15, v18, v20, s29
	v_bfe_u32 v20, v19, 16, 1
	v_cmp_o_f32_e32 vcc, v14, v14
	v_cndmask_b32_e32 v13, v8, v13, vcc
	v_lshrrev_b32_e32 v14, 16, v15
	v_add3_u32 v15, v19, v20, s29
	v_cmp_o_f32_e32 vcc, v18, v18
	v_or_b32_e32 v12, v12, v13
	v_cndmask_b32_e32 v13, v7, v14, vcc
	v_and_b32_e32 v14, 0xffff0000, v15
	v_cmp_o_f32_e32 vcc, v19, v19
	v_cndmask_b32_e32 v14, v8, v14, vcc
	v_or3_b32 v12, v12, 0, 0
	v_or3_b32 v13, 0, v13, v14
	global_store_dwordx2 v[16:17], v[12:13], off
	s_andn2_b64 exec, exec, s[22:23]
	s_cbranch_execnz .LBB65_3
.LBB65_4:
	s_or_b64 exec, exec, s[20:21]
	s_mov_b64 s[0:1], 0
.LBB65_5:
	s_andn2_b64 vcc, exec, s[0:1]
	s_cbranch_vccnz .LBB65_25
; %bb.6:
	v_cmp_lt_i64_e64 s[0:1], s[12:13], 1
	s_and_b64 vcc, exec, s[0:1]
	s_cbranch_vccnz .LBB65_25
; %bb.7:
	s_load_dword s2, s[4:5], 0xbfc
	v_mov_b32_e32 v2, 0x10000
	v_mov_b32_e32 v3, 0
	v_cmp_lt_u64_e32 vcc, s[12:13], v[2:3]
	v_lshlrev_b32_e32 v14, 1, v0
	s_waitcnt lgkmcnt(0)
	s_and_b32 s21, s2, 0xffff
	s_and_b64 s[2:3], vcc, exec
	v_mov_b32_e32 v21, s19
	v_add_co_u32_e32 v2, vcc, s18, v14
	v_addc_co_u32_e32 v3, vcc, 0, v21, vcc
	v_mov_b32_e32 v23, s17
	v_add_co_u32_e32 v4, vcc, s16, v14
	v_mov_b32_e32 v1, 0
	v_addc_co_u32_e32 v5, vcc, 0, v23, vcc
	v_mov_b32_e32 v15, v1
	v_mov_b32_e32 v25, s15
	v_add_co_u32_e32 v6, vcc, s14, v14
	v_addc_co_u32_e32 v7, vcc, 0, v25, vcc
	v_mad_u64_u32 v[12:13], s[2:3], s21, 6, v[14:15]
	v_add_co_u32_e32 v8, vcc, s18, v12
	v_addc_co_u32_e32 v9, vcc, v21, v13, vcc
	v_add_co_u32_e32 v10, vcc, s16, v12
	v_addc_co_u32_e32 v11, vcc, v23, v13, vcc
	v_add_co_u32_e32 v12, vcc, s14, v12
	s_cselect_b32 s7, s13, 0
	s_cselect_b32 s6, s12, 0x10000
	s_lshl_b32 s8, s21, 2
	v_addc_co_u32_e32 v13, vcc, v25, v13, vcc
	v_add_co_u32_e32 v18, vcc, s8, v14
	v_addc_co_u32_e64 v19, s[2:3], 0, 0, vcc
	v_add_co_u32_e32 v14, vcc, s18, v18
	v_addc_co_u32_e32 v15, vcc, v21, v19, vcc
	v_add_co_u32_e32 v16, vcc, s16, v18
	v_addc_co_u32_e32 v17, vcc, v23, v19, vcc
	;; [unrolled: 2-line block ×3, first 2 shown]
	v_add_lshl_u32 v24, v0, s21, 1
	v_add_co_u32_e32 v20, vcc, s18, v24
	v_addc_co_u32_e32 v21, vcc, 0, v21, vcc
	v_add_co_u32_e32 v22, vcc, s16, v24
	s_mov_b32 s20, 0
	v_addc_co_u32_e32 v23, vcc, 0, v23, vcc
	s_mov_b32 s9, s20
	v_add_co_u32_e32 v24, vcc, s14, v24
	v_cmp_eq_f32_e64 s[0:1], s26, 1.0
	s_mov_b64 s[4:5], 0x10000
	s_lshl_b32 s22, s21, 1
	s_mov_b32 s23, s20
	s_mul_i32 s24, s21, 3
	s_mov_b32 s25, s20
	s_lshl_b32 s19, s21, 3
	s_mov_b32 s27, s20
	v_addc_co_u32_e32 v25, vcc, 0, v25, vcc
	s_movk_i32 s16, 0x7fff
	v_mov_b32_e32 v37, 0x7fc0
	s_mov_b64 s[14:15], s[8:9]
	s_branch .LBB65_9
.LBB65_8:                               ;   in Loop: Header=BB65_9 Depth=1
	s_or_b64 exec, exec, s[2:3]
	v_pk_mov_b32 v[26:27], s[12:13], s[12:13] op_sel:[0,1]
	v_cmp_ge_i64_e32 vcc, s[14:15], v[26:27]
	v_mov_b32_e32 v26, 0xffff
	v_mov_b32_e32 v27, 0
	v_cmp_gt_u64_e64 s[2:3], s[14:15], v[26:27]
	s_or_b64 s[2:3], vcc, s[2:3]
	v_mov_b32_e32 v26, s27
	v_add_co_u32_e32 v2, vcc, s19, v2
	v_addc_co_u32_e32 v3, vcc, v3, v26, vcc
	v_add_co_u32_e32 v4, vcc, s19, v4
	v_addc_co_u32_e32 v5, vcc, v5, v26, vcc
	v_add_co_u32_e32 v6, vcc, s19, v6
	v_addc_co_u32_e32 v7, vcc, v7, v26, vcc
	v_mov_b32_e32 v27, s9
	v_add_co_u32_e32 v0, vcc, s8, v0
	v_addc_co_u32_e32 v1, vcc, v1, v27, vcc
	v_add_co_u32_e32 v8, vcc, s19, v8
	v_addc_co_u32_e32 v9, vcc, v9, v26, vcc
	;; [unrolled: 2-line block ×9, first 2 shown]
	v_add_co_u32_e32 v24, vcc, s19, v24
	s_add_u32 s14, s14, s8
	v_addc_co_u32_e32 v25, vcc, v25, v26, vcc
	s_addc_u32 s15, s15, 0
	s_and_b64 vcc, exec, s[2:3]
	s_cbranch_vccnz .LBB65_25
.LBB65_9:                               ; =>This Inner Loop Header: Depth=1
	v_cmp_gt_i64_e32 vcc, s[12:13], v[0:1]
	v_cmp_gt_u64_e64 s[2:3], s[4:5], v[0:1]
	v_pk_mov_b32 v[28:29], 0, 0
	s_and_b64 s[28:29], vcc, s[2:3]
	v_pk_mov_b32 v[26:27], v[28:29], v[28:29] op_sel:[0,1]
	s_and_saveexec_b64 s[2:3], s[28:29]
	s_cbranch_execz .LBB65_11
; %bb.10:                               ;   in Loop: Header=BB65_9 Depth=1
	v_mov_b32_e32 v29, s11
	v_add_co_u32_e32 v26, vcc, s10, v2
	v_addc_co_u32_e32 v27, vcc, v3, v29, vcc
	v_add_co_u32_e32 v28, vcc, s10, v4
	v_addc_co_u32_e32 v29, vcc, v5, v29, vcc
	global_load_ushort v30, v[26:27], off
	global_load_ushort v31, v[28:29], off
	v_mov_b32_e32 v27, s20
	v_mov_b32_e32 v29, s20
	s_waitcnt vmcnt(1)
	v_and_b32_e32 v26, 0xffff, v30
	s_waitcnt vmcnt(0)
	v_and_b32_e32 v28, 0xffff, v31
.LBB65_11:                              ;   in Loop: Header=BB65_9 Depth=1
	s_or_b64 exec, exec, s[2:3]
	v_mov_b32_e32 v31, s20
	v_add_co_u32_e32 v30, vcc, s21, v0
	v_addc_co_u32_e32 v31, vcc, v31, v1, vcc
	v_cmp_gt_i64_e32 vcc, s[12:13], v[30:31]
	v_cmp_gt_u64_e64 s[2:3], s[4:5], v[30:31]
	s_and_b64 s[28:29], vcc, s[2:3]
	s_and_saveexec_b64 s[2:3], s[28:29]
	s_cbranch_execz .LBB65_13
; %bb.12:                               ;   in Loop: Header=BB65_9 Depth=1
	v_mov_b32_e32 v35, s11
	v_add_co_u32_e32 v32, vcc, s10, v22
	v_addc_co_u32_e32 v33, vcc, v23, v35, vcc
	v_add_co_u32_e32 v34, vcc, s10, v20
	v_addc_co_u32_e32 v35, vcc, v21, v35, vcc
	global_load_ushort v38, v[34:35], off
	global_load_ushort v39, v[32:33], off
	s_waitcnt vmcnt(1)
	v_lshl_or_b32 v26, v38, 16, v26
	s_waitcnt vmcnt(0)
	v_lshl_or_b32 v28, v39, 16, v28
.LBB65_13:                              ;   in Loop: Header=BB65_9 Depth=1
	s_or_b64 exec, exec, s[2:3]
	v_mov_b32_e32 v33, s23
	v_add_co_u32_e32 v32, vcc, s22, v0
	v_addc_co_u32_e32 v33, vcc, v33, v1, vcc
	v_cmp_gt_i64_e32 vcc, s[12:13], v[32:33]
	v_cmp_gt_u64_e64 s[2:3], s[4:5], v[32:33]
	s_and_b64 s[28:29], vcc, s[2:3]
	s_and_saveexec_b64 s[2:3], s[28:29]
	s_cbranch_execz .LBB65_15
; %bb.14:                               ;   in Loop: Header=BB65_9 Depth=1
	v_mov_b32_e32 v39, s11
	v_add_co_u32_e32 v34, vcc, s10, v16
	v_addc_co_u32_e32 v35, vcc, v17, v39, vcc
	v_add_co_u32_e32 v38, vcc, s10, v14
	v_addc_co_u32_e32 v39, vcc, v15, v39, vcc
	global_load_ushort v40, v[38:39], off
	global_load_ushort v41, v[34:35], off
	s_waitcnt vmcnt(1)
	v_or_b32_e32 v27, v40, v27
	s_waitcnt vmcnt(0)
	v_or_b32_e32 v29, v41, v29
.LBB65_15:                              ;   in Loop: Header=BB65_9 Depth=1
	s_or_b64 exec, exec, s[2:3]
	v_mov_b32_e32 v35, s25
	v_add_co_u32_e32 v34, vcc, s24, v0
	v_addc_co_u32_e32 v35, vcc, v35, v1, vcc
	v_cmp_gt_i64_e32 vcc, s[12:13], v[34:35]
	v_cmp_gt_u64_e64 s[2:3], s[4:5], v[34:35]
	s_and_b64 s[28:29], vcc, s[2:3]
	s_and_saveexec_b64 s[2:3], s[28:29]
	s_cbranch_execnz .LBB65_20
; %bb.16:                               ;   in Loop: Header=BB65_9 Depth=1
	s_or_b64 exec, exec, s[2:3]
	v_cmp_gt_u64_e32 vcc, s[6:7], v[0:1]
	s_and_saveexec_b64 s[2:3], vcc
	s_cbranch_execnz .LBB65_21
.LBB65_17:                              ;   in Loop: Header=BB65_9 Depth=1
	s_or_b64 exec, exec, s[2:3]
	v_cmp_gt_u64_e32 vcc, s[6:7], v[30:31]
	s_and_saveexec_b64 s[2:3], vcc
	s_cbranch_execnz .LBB65_22
.LBB65_18:                              ;   in Loop: Header=BB65_9 Depth=1
	s_or_b64 exec, exec, s[2:3]
	v_cmp_gt_u64_e32 vcc, s[6:7], v[32:33]
	s_and_saveexec_b64 s[2:3], vcc
	s_cbranch_execnz .LBB65_23
.LBB65_19:                              ;   in Loop: Header=BB65_9 Depth=1
	s_or_b64 exec, exec, s[2:3]
	v_cmp_gt_u64_e32 vcc, s[6:7], v[34:35]
	s_and_saveexec_b64 s[2:3], vcc
	s_cbranch_execz .LBB65_8
	s_branch .LBB65_24
.LBB65_20:                              ;   in Loop: Header=BB65_9 Depth=1
	v_mov_b32_e32 v41, s11
	v_add_co_u32_e32 v38, vcc, s10, v10
	v_addc_co_u32_e32 v39, vcc, v11, v41, vcc
	v_add_co_u32_e32 v40, vcc, s10, v8
	v_addc_co_u32_e32 v41, vcc, v9, v41, vcc
	global_load_ushort v42, v[40:41], off
	global_load_ushort v43, v[38:39], off
	s_waitcnt vmcnt(1)
	v_lshlrev_b32_e32 v38, 16, v42
	s_waitcnt vmcnt(0)
	v_lshlrev_b32_e32 v39, 16, v43
	v_or_b32_e32 v27, v38, v27
	v_or_b32_e32 v29, v39, v29
	s_or_b64 exec, exec, s[2:3]
	v_cmp_gt_u64_e32 vcc, s[6:7], v[0:1]
	s_and_saveexec_b64 s[2:3], vcc
	s_cbranch_execz .LBB65_17
.LBB65_21:                              ;   in Loop: Header=BB65_9 Depth=1
	v_lshlrev_b32_e32 v38, 16, v28
	v_div_scale_f32 v39, s[28:29], v38, v38, v36
	v_rcp_f32_e32 v40, v39
	v_div_scale_f32 v41, vcc, v36, v38, v36
	v_fma_f32 v42, -v39, v40, 1.0
	v_fmac_f32_e32 v40, v42, v40
	v_mul_f32_e32 v42, v41, v40
	v_fma_f32 v43, -v39, v42, v41
	v_fmac_f32_e32 v42, v43, v40
	v_fma_f32 v39, -v39, v42, v41
	v_div_fmas_f32 v39, v39, v40, v42
	v_div_fixup_f32 v38, v39, v38, v36
	v_lshlrev_b32_e32 v39, 16, v26
	v_add_f32_e32 v40, v38, v39
	v_fmac_f32_e32 v39, s26, v38
	v_cndmask_b32_e64 v40, v39, v40, s[0:1]
	v_bfe_u32 v38, v40, 16, 1
	v_add3_u32 v38, v40, v38, s16
	v_lshrrev_b32_e32 v41, 16, v38
	v_mov_b32_e32 v39, s11
	v_add_co_u32_e32 v38, vcc, s10, v6
	v_addc_co_u32_e32 v39, vcc, v7, v39, vcc
	v_cmp_o_f32_e32 vcc, v40, v40
	v_cndmask_b32_e32 v40, v37, v41, vcc
	global_store_short v[38:39], v40, off
	s_or_b64 exec, exec, s[2:3]
	v_cmp_gt_u64_e32 vcc, s[6:7], v[30:31]
	s_and_saveexec_b64 s[2:3], vcc
	s_cbranch_execz .LBB65_18
.LBB65_22:                              ;   in Loop: Header=BB65_9 Depth=1
	v_and_b32_e32 v30, 0xffff0000, v28
	v_div_scale_f32 v31, s[28:29], v30, v30, v36
	v_rcp_f32_e32 v38, v31
	v_and_b32_e32 v39, 0xffff0000, v26
	v_fma_f32 v40, -v31, v38, 1.0
	v_fmac_f32_e32 v38, v40, v38
	v_div_scale_f32 v40, vcc, v36, v30, v36
	v_mul_f32_e32 v41, v40, v38
	v_fma_f32 v42, -v31, v41, v40
	v_fmac_f32_e32 v41, v42, v38
	v_fma_f32 v31, -v31, v41, v40
	v_div_fmas_f32 v31, v31, v38, v41
	v_div_fixup_f32 v30, v31, v30, v36
	v_add_f32_e32 v31, v30, v39
	v_fmac_f32_e32 v39, s26, v30
	v_cndmask_b32_e64 v30, v39, v31, s[0:1]
	v_bfe_u32 v31, v30, 16, 1
	v_add3_u32 v31, v30, v31, s16
	v_lshrrev_b32_e32 v31, 16, v31
	v_cmp_o_f32_e32 vcc, v30, v30
	v_cndmask_b32_e32 v38, v37, v31, vcc
	v_mov_b32_e32 v31, s11
	v_add_co_u32_e32 v30, vcc, s10, v24
	v_addc_co_u32_e32 v31, vcc, v25, v31, vcc
	global_store_short v[30:31], v38, off
	s_or_b64 exec, exec, s[2:3]
	v_cmp_gt_u64_e32 vcc, s[6:7], v[32:33]
	s_and_saveexec_b64 s[2:3], vcc
	s_cbranch_execz .LBB65_19
.LBB65_23:                              ;   in Loop: Header=BB65_9 Depth=1
	v_alignbit_b32 v28, v29, v28, 16
	v_and_b32_e32 v28, 0xffff0000, v28
	v_div_scale_f32 v30, s[28:29], v28, v28, v36
	v_rcp_f32_e32 v31, v30
	v_alignbit_b32 v26, v27, v26, 16
	v_and_b32_e32 v26, 0xffff0000, v26
	v_fma_f32 v32, -v30, v31, 1.0
	v_fmac_f32_e32 v31, v32, v31
	v_div_scale_f32 v32, vcc, v36, v28, v36
	v_mul_f32_e32 v33, v32, v31
	v_fma_f32 v38, -v30, v33, v32
	v_fmac_f32_e32 v33, v38, v31
	v_fma_f32 v30, -v30, v33, v32
	v_div_fmas_f32 v30, v30, v31, v33
	v_div_fixup_f32 v28, v30, v28, v36
	v_add_f32_e32 v30, v28, v26
	v_fmac_f32_e32 v26, s26, v28
	v_cndmask_b32_e64 v26, v26, v30, s[0:1]
	v_bfe_u32 v28, v26, 16, 1
	v_add3_u32 v28, v26, v28, s16
	v_lshrrev_b32_e32 v28, 16, v28
	v_cmp_o_f32_e32 vcc, v26, v26
	v_cndmask_b32_e32 v26, v37, v28, vcc
	v_mov_b32_e32 v28, s11
	v_add_co_u32_e32 v30, vcc, s10, v18
	v_addc_co_u32_e32 v31, vcc, v19, v28, vcc
	global_store_short v[30:31], v26, off
	s_or_b64 exec, exec, s[2:3]
	v_cmp_gt_u64_e32 vcc, s[6:7], v[34:35]
	s_and_saveexec_b64 s[2:3], vcc
	s_cbranch_execz .LBB65_8
.LBB65_24:                              ;   in Loop: Header=BB65_9 Depth=1
	v_and_b32_e32 v26, 0xffff0000, v29
	v_div_scale_f32 v28, s[28:29], v26, v26, v36
	v_rcp_f32_e32 v29, v28
	v_and_b32_e32 v27, 0xffff0000, v27
	v_fma_f32 v30, -v28, v29, 1.0
	v_fmac_f32_e32 v29, v30, v29
	v_div_scale_f32 v30, vcc, v36, v26, v36
	v_mul_f32_e32 v31, v30, v29
	v_fma_f32 v32, -v28, v31, v30
	v_fmac_f32_e32 v31, v32, v29
	v_fma_f32 v28, -v28, v31, v30
	v_div_fmas_f32 v28, v28, v29, v31
	v_div_fixup_f32 v26, v28, v26, v36
	v_add_f32_e32 v28, v26, v27
	v_fmac_f32_e32 v27, s26, v26
	v_cndmask_b32_e64 v26, v27, v28, s[0:1]
	v_bfe_u32 v27, v26, 16, 1
	v_add3_u32 v27, v26, v27, s16
	v_lshrrev_b32_e32 v27, 16, v27
	v_cmp_o_f32_e32 vcc, v26, v26
	v_cndmask_b32_e32 v28, v37, v27, vcc
	v_mov_b32_e32 v27, s11
	v_add_co_u32_e32 v26, vcc, s10, v12
	v_addc_co_u32_e32 v27, vcc, v13, v27, vcc
	global_store_short v[26:27], v28, off
	s_branch .LBB65_8
.LBB65_25:
	s_endpgm
	.section	.rodata,"a",@progbits
	.p2align	6, 0x0
	.amdhsa_kernel _ZN2at6native12_GLOBAL__N_125multi_tensor_apply_kernelINS1_18TensorListMetadataILi4EEENS1_32PointwiseOpScalar0dTensorFunctorIN3c108BFloat16ELi4ELi2ELi3EEEJSt7dividesIfEfEEEvT_T0_DpT1_
		.amdhsa_group_segment_fixed_size 0
		.amdhsa_private_segment_fixed_size 0
		.amdhsa_kernarg_size 3312
		.amdhsa_user_sgpr_count 6
		.amdhsa_user_sgpr_private_segment_buffer 1
		.amdhsa_user_sgpr_dispatch_ptr 0
		.amdhsa_user_sgpr_queue_ptr 0
		.amdhsa_user_sgpr_kernarg_segment_ptr 1
		.amdhsa_user_sgpr_dispatch_id 0
		.amdhsa_user_sgpr_flat_scratch_init 0
		.amdhsa_user_sgpr_kernarg_preload_length 0
		.amdhsa_user_sgpr_kernarg_preload_offset 0
		.amdhsa_user_sgpr_private_segment_size 0
		.amdhsa_uses_dynamic_stack 0
		.amdhsa_system_sgpr_private_segment_wavefront_offset 0
		.amdhsa_system_sgpr_workgroup_id_x 1
		.amdhsa_system_sgpr_workgroup_id_y 0
		.amdhsa_system_sgpr_workgroup_id_z 0
		.amdhsa_system_sgpr_workgroup_info 0
		.amdhsa_system_vgpr_workitem_id 0
		.amdhsa_next_free_vgpr 44
		.amdhsa_next_free_sgpr 30
		.amdhsa_accum_offset 44
		.amdhsa_reserve_vcc 1
		.amdhsa_reserve_flat_scratch 0
		.amdhsa_float_round_mode_32 0
		.amdhsa_float_round_mode_16_64 0
		.amdhsa_float_denorm_mode_32 3
		.amdhsa_float_denorm_mode_16_64 3
		.amdhsa_dx10_clamp 1
		.amdhsa_ieee_mode 1
		.amdhsa_fp16_overflow 0
		.amdhsa_tg_split 0
		.amdhsa_exception_fp_ieee_invalid_op 0
		.amdhsa_exception_fp_denorm_src 0
		.amdhsa_exception_fp_ieee_div_zero 0
		.amdhsa_exception_fp_ieee_overflow 0
		.amdhsa_exception_fp_ieee_underflow 0
		.amdhsa_exception_fp_ieee_inexact 0
		.amdhsa_exception_int_div_zero 0
	.end_amdhsa_kernel
	.section	.text._ZN2at6native12_GLOBAL__N_125multi_tensor_apply_kernelINS1_18TensorListMetadataILi4EEENS1_32PointwiseOpScalar0dTensorFunctorIN3c108BFloat16ELi4ELi2ELi3EEEJSt7dividesIfEfEEEvT_T0_DpT1_,"axG",@progbits,_ZN2at6native12_GLOBAL__N_125multi_tensor_apply_kernelINS1_18TensorListMetadataILi4EEENS1_32PointwiseOpScalar0dTensorFunctorIN3c108BFloat16ELi4ELi2ELi3EEEJSt7dividesIfEfEEEvT_T0_DpT1_,comdat
.Lfunc_end65:
	.size	_ZN2at6native12_GLOBAL__N_125multi_tensor_apply_kernelINS1_18TensorListMetadataILi4EEENS1_32PointwiseOpScalar0dTensorFunctorIN3c108BFloat16ELi4ELi2ELi3EEEJSt7dividesIfEfEEEvT_T0_DpT1_, .Lfunc_end65-_ZN2at6native12_GLOBAL__N_125multi_tensor_apply_kernelINS1_18TensorListMetadataILi4EEENS1_32PointwiseOpScalar0dTensorFunctorIN3c108BFloat16ELi4ELi2ELi3EEEJSt7dividesIfEfEEEvT_T0_DpT1_
                                        ; -- End function
	.section	.AMDGPU.csdata,"",@progbits
; Kernel info:
; codeLenInByte = 2696
; NumSgprs: 34
; NumVgprs: 44
; NumAgprs: 0
; TotalNumVgprs: 44
; ScratchSize: 0
; MemoryBound: 0
; FloatMode: 240
; IeeeMode: 1
; LDSByteSize: 0 bytes/workgroup (compile time only)
; SGPRBlocks: 4
; VGPRBlocks: 5
; NumSGPRsForWavesPerEU: 34
; NumVGPRsForWavesPerEU: 44
; AccumOffset: 44
; Occupancy: 8
; WaveLimiterHint : 0
; COMPUTE_PGM_RSRC2:SCRATCH_EN: 0
; COMPUTE_PGM_RSRC2:USER_SGPR: 6
; COMPUTE_PGM_RSRC2:TRAP_HANDLER: 0
; COMPUTE_PGM_RSRC2:TGID_X_EN: 1
; COMPUTE_PGM_RSRC2:TGID_Y_EN: 0
; COMPUTE_PGM_RSRC2:TGID_Z_EN: 0
; COMPUTE_PGM_RSRC2:TIDIG_COMP_CNT: 0
; COMPUTE_PGM_RSRC3_GFX90A:ACCUM_OFFSET: 10
; COMPUTE_PGM_RSRC3_GFX90A:TG_SPLIT: 0
	.section	.text._ZN2at6native12_GLOBAL__N_125multi_tensor_apply_kernelINS1_18TensorListMetadataILi3EEENS1_24PointwiseOpScalarFunctorIhLi3ELi3ELi0EEEJSt7dividesIhEhEEEvT_T0_DpT1_,"axG",@progbits,_ZN2at6native12_GLOBAL__N_125multi_tensor_apply_kernelINS1_18TensorListMetadataILi3EEENS1_24PointwiseOpScalarFunctorIhLi3ELi3ELi0EEEJSt7dividesIhEhEEEvT_T0_DpT1_,comdat
	.globl	_ZN2at6native12_GLOBAL__N_125multi_tensor_apply_kernelINS1_18TensorListMetadataILi3EEENS1_24PointwiseOpScalarFunctorIhLi3ELi3ELi0EEEJSt7dividesIhEhEEEvT_T0_DpT1_ ; -- Begin function _ZN2at6native12_GLOBAL__N_125multi_tensor_apply_kernelINS1_18TensorListMetadataILi3EEENS1_24PointwiseOpScalarFunctorIhLi3ELi3ELi0EEEJSt7dividesIhEhEEEvT_T0_DpT1_
	.p2align	8
	.type	_ZN2at6native12_GLOBAL__N_125multi_tensor_apply_kernelINS1_18TensorListMetadataILi3EEENS1_24PointwiseOpScalarFunctorIhLi3ELi3ELi0EEEJSt7dividesIhEhEEEvT_T0_DpT1_,@function
_ZN2at6native12_GLOBAL__N_125multi_tensor_apply_kernelINS1_18TensorListMetadataILi3EEENS1_24PointwiseOpScalarFunctorIhLi3ELi3ELi0EEEJSt7dividesIhEhEEEvT_T0_DpT1_: ; @_ZN2at6native12_GLOBAL__N_125multi_tensor_apply_kernelINS1_18TensorListMetadataILi3EEENS1_24PointwiseOpScalarFunctorIhLi3ELi3ELi0EEEJSt7dividesIhEhEEEvT_T0_DpT1_
; %bb.0:
	v_mov_b32_e32 v1, s6
	global_load_ubyte v1, v1, s[4:5] offset:1536
	s_add_u32 s0, s4, s6
	s_mul_hi_u32 s1, s6, 3
	s_mul_i32 s6, s6, 3
	s_addc_u32 s2, s5, 0
	s_add_u32 s0, s0, s6
	s_addc_u32 s1, s2, s1
	s_load_dword s2, s[0:1], 0x740
	s_load_dword s22, s[4:5], 0xc48
	s_mov_b32 s15, 0
	s_waitcnt lgkmcnt(0)
	s_ashr_i32 s3, s2, 31
	s_lshl_b64 s[8:9], s[2:3], 16
	s_waitcnt vmcnt(0)
	v_readfirstlane_b32 s0, v1
	s_lshl_b32 s10, s0, 3
	s_load_dwordx2 s[0:1], s[4:5], s10 offset:0x0
	s_load_dwordx2 s[2:3], s[4:5], s10 offset:0x180
	;; [unrolled: 1-line block ×4, first 2 shown]
	s_waitcnt lgkmcnt(0)
	s_add_u32 s10, s0, s8
	s_addc_u32 s11, s1, s9
	s_add_u32 s20, s2, s8
	s_addc_u32 s23, s3, s9
	s_add_u32 s21, s6, s8
	s_addc_u32 s24, s7, s9
	s_or_b32 s12, s21, s20
	s_and_b32 s12, s12, 3
	s_cmp_eq_u32 s12, 0
	s_cselect_b64 s[18:19], -1, 0
	s_sub_u32 s12, s16, s8
	s_subb_u32 s13, s17, s9
	s_or_b64 s[16:17], s[16:17], s[10:11]
	s_and_b32 s14, s16, 3
	s_cmp_eq_u64 s[14:15], 0
	s_cselect_b64 s[14:15], -1, 0
	s_and_b64 s[16:17], s[18:19], s[14:15]
	s_mov_b64 s[14:15], -1
	s_and_b64 vcc, exec, s[16:17]
	s_cbranch_vccnz .LBB66_29
; %bb.1:
	v_cmp_lt_i64_e64 s[14:15], s[12:13], 1
	s_and_b64 vcc, exec, s[14:15]
	s_cbranch_vccnz .LBB66_28
; %bb.2:
	s_load_dword s14, s[4:5], 0xc5c
	v_mov_b32_e32 v2, 0x10000
	v_mov_b32_e32 v3, 0
	v_cmp_lt_u64_e32 vcc, s[12:13], v[2:3]
	v_mov_b32_e32 v1, s9
	s_waitcnt lgkmcnt(0)
	s_and_b32 s18, s14, 0xffff
	s_and_b64 s[14:15], vcc, exec
	v_add_co_u32_e32 v23, vcc, s8, v0
	v_addc_co_u32_e32 v24, vcc, 0, v1, vcc
	v_mov_b32_e32 v25, s1
	v_add_co_u32_e32 v1, vcc, s0, v23
	v_addc_co_u32_e32 v2, vcc, v25, v24, vcc
	v_mov_b32_e32 v26, s3
	v_add_co_u32_e32 v3, vcc, s2, v23
	s_cselect_b32 s15, s13, 0
	s_cselect_b32 s14, s12, 0x10000
	s_lshl_b32 s19, s18, 1
	s_mul_i32 s16, s18, 3
	s_lshl_b32 s25, s18, 2
	v_addc_co_u32_e32 v4, vcc, v26, v24, vcc
	v_mov_b32_e32 v28, s7
	v_add_co_u32_e32 v5, vcc, s6, v23
	s_add_u32 s1, s8, s16
	v_addc_co_u32_e32 v6, vcc, v28, v24, vcc
	s_addc_u32 s3, s9, 0
	v_mov_b32_e32 v7, s3
	v_add_co_u32_e32 v11, vcc, s1, v0
	v_addc_co_u32_e32 v12, vcc, 0, v7, vcc
	v_add_co_u32_e32 v7, vcc, s0, v11
	v_addc_co_u32_e32 v8, vcc, v25, v12, vcc
	;; [unrolled: 2-line block ×4, first 2 shown]
	s_add_u32 s1, s8, s19
	v_add_co_u32_e32 v13, vcc, s16, v0
	s_addc_u32 s3, s9, 0
	v_addc_co_u32_e64 v14, s[16:17], 0, 0, vcc
	v_mov_b32_e32 v15, s3
	v_add_co_u32_e32 v19, vcc, s1, v0
	v_addc_co_u32_e32 v20, vcc, 0, v15, vcc
	v_add_co_u32_e32 v15, vcc, s0, v19
	v_addc_co_u32_e32 v16, vcc, v25, v20, vcc
	;; [unrolled: 2-line block ×4, first 2 shown]
	v_add_co_u32_e32 v21, vcc, s19, v0
	v_addc_co_u32_e64 v22, s[8:9], 0, 0, vcc
	v_add_co_u32_e32 v27, vcc, s18, v23
	v_addc_co_u32_e32 v29, vcc, 0, v24, vcc
	v_add_co_u32_e32 v23, vcc, s0, v27
	v_addc_co_u32_e32 v24, vcc, v25, v29, vcc
	;; [unrolled: 2-line block ×4, first 2 shown]
	v_add_co_u32_e32 v29, vcc, s18, v0
	v_addc_co_u32_e64 v30, s[0:1], 0, 0, vcc
	s_mov_b64 s[16:17], 0
	s_lshr_b32 s26, s22, 16
	s_branch .LBB66_4
.LBB66_3:                               ;   in Loop: Header=BB66_4 Depth=1
	s_or_b64 exec, exec, s[0:1]
	s_add_u32 s16, s16, s25
	s_addc_u32 s17, s17, 0
	s_waitcnt vmcnt(0)
	v_pk_mov_b32 v[32:33], s[12:13], s[12:13] op_sel:[0,1]
	v_cmp_lt_i64_e32 vcc, s[16:17], v[32:33]
	v_mov_b32_e32 v32, 0x10000
	v_mov_b32_e32 v33, 0
	v_cmp_lt_u64_e64 s[0:1], s[16:17], v[32:33]
	s_and_b64 s[0:1], vcc, s[0:1]
	s_and_b64 vcc, exec, s[0:1]
	s_cbranch_vccz .LBB66_28
.LBB66_4:                               ; =>This Inner Loop Header: Depth=1
	v_mov_b32_e32 v31, s17
	v_add_co_u32_e32 v32, vcc, s16, v0
	v_addc_co_u32_e32 v33, vcc, 0, v31, vcc
	v_cmp_gt_u64_e32 vcc, s[14:15], v[32:33]
	v_mov_b32_e32 v32, 0
	v_mov_b32_e32 v33, 0
	s_and_saveexec_b64 s[2:3], vcc
	s_cbranch_execz .LBB66_6
; %bb.5:                                ;   in Loop: Header=BB66_4 Depth=1
	v_mov_b32_e32 v31, s17
	v_add_co_u32_e64 v34, s[0:1], s16, v1
	v_addc_co_u32_e64 v35, s[0:1], v2, v31, s[0:1]
	v_add_co_u32_e64 v36, s[0:1], s16, v3
	v_addc_co_u32_e64 v37, s[0:1], v4, v31, s[0:1]
	global_load_ubyte v32, v[34:35], off
	global_load_ubyte v33, v[36:37], off
.LBB66_6:                               ;   in Loop: Header=BB66_4 Depth=1
	s_or_b64 exec, exec, s[2:3]
	v_mov_b32_e32 v31, 0
	v_mov_b32_e32 v35, 0
	s_and_saveexec_b64 s[2:3], vcc
	s_cbranch_execz .LBB66_8
; %bb.7:                                ;   in Loop: Header=BB66_4 Depth=1
	v_mov_b32_e32 v35, s17
	v_add_co_u32_e64 v34, s[0:1], s16, v5
	v_addc_co_u32_e64 v35, s[0:1], v6, v35, s[0:1]
	global_load_ubyte v35, v[34:35], off
.LBB66_8:                               ;   in Loop: Header=BB66_4 Depth=1
	s_or_b64 exec, exec, s[2:3]
	v_mov_b32_e32 v34, s17
	v_add_co_u32_e64 v36, s[0:1], s16, v29
	v_addc_co_u32_e64 v37, s[0:1], v30, v34, s[0:1]
	v_cmp_gt_u64_e64 s[0:1], s[14:15], v[36:37]
	v_mov_b32_e32 v37, 0
	s_and_saveexec_b64 s[6:7], s[0:1]
	s_cbranch_execz .LBB66_10
; %bb.9:                                ;   in Loop: Header=BB66_4 Depth=1
	v_mov_b32_e32 v31, s17
	v_add_co_u32_e64 v38, s[2:3], s16, v25
	v_addc_co_u32_e64 v39, s[2:3], v26, v31, s[2:3]
	v_add_co_u32_e64 v40, s[2:3], s16, v23
	v_addc_co_u32_e64 v41, s[2:3], v24, v31, s[2:3]
	global_load_ubyte v31, v[40:41], off
	global_load_ubyte v37, v[38:39], off
.LBB66_10:                              ;   in Loop: Header=BB66_4 Depth=1
	s_or_b64 exec, exec, s[6:7]
	v_mov_b32_e32 v34, 0
	v_mov_b32_e32 v39, 0
	s_and_saveexec_b64 s[6:7], s[0:1]
	s_cbranch_execz .LBB66_12
; %bb.11:                               ;   in Loop: Header=BB66_4 Depth=1
	v_mov_b32_e32 v36, s17
	v_add_co_u32_e64 v38, s[2:3], s16, v27
	v_addc_co_u32_e64 v39, s[2:3], v28, v36, s[2:3]
	global_load_ubyte v39, v[38:39], off
.LBB66_12:                              ;   in Loop: Header=BB66_4 Depth=1
	s_or_b64 exec, exec, s[6:7]
	v_mov_b32_e32 v36, s17
	v_add_co_u32_e64 v40, s[2:3], s16, v21
	v_addc_co_u32_e64 v41, s[2:3], v22, v36, s[2:3]
	v_cmp_gt_u64_e64 s[2:3], s[14:15], v[40:41]
	v_mov_b32_e32 v38, 0
	s_and_saveexec_b64 s[8:9], s[2:3]
	s_cbranch_execz .LBB66_14
; %bb.13:                               ;   in Loop: Header=BB66_4 Depth=1
	v_mov_b32_e32 v34, s17
	v_add_co_u32_e64 v40, s[6:7], s16, v17
	v_addc_co_u32_e64 v41, s[6:7], v18, v34, s[6:7]
	v_add_co_u32_e64 v42, s[6:7], s16, v15
	v_addc_co_u32_e64 v43, s[6:7], v16, v34, s[6:7]
	global_load_ubyte v34, v[42:43], off
	global_load_ubyte v38, v[40:41], off
.LBB66_14:                              ;   in Loop: Header=BB66_4 Depth=1
	s_or_b64 exec, exec, s[8:9]
	v_mov_b32_e32 v36, 0
	v_mov_b32_e32 v41, 0
	s_and_saveexec_b64 s[8:9], s[2:3]
	s_cbranch_execz .LBB66_16
; %bb.15:                               ;   in Loop: Header=BB66_4 Depth=1
	v_mov_b32_e32 v41, s17
	v_add_co_u32_e64 v40, s[6:7], s16, v19
	v_addc_co_u32_e64 v41, s[6:7], v20, v41, s[6:7]
	global_load_ubyte v41, v[40:41], off
.LBB66_16:                              ;   in Loop: Header=BB66_4 Depth=1
	s_or_b64 exec, exec, s[8:9]
	v_mov_b32_e32 v40, s17
	v_add_co_u32_e64 v42, s[6:7], s16, v13
	v_addc_co_u32_e64 v43, s[6:7], v14, v40, s[6:7]
	v_cmp_gt_u64_e64 s[6:7], s[14:15], v[42:43]
	v_mov_b32_e32 v40, 0
	s_and_saveexec_b64 s[18:19], s[6:7]
	s_cbranch_execnz .LBB66_22
; %bb.17:                               ;   in Loop: Header=BB66_4 Depth=1
	s_or_b64 exec, exec, s[18:19]
	v_mov_b32_e32 v42, 0
	s_and_saveexec_b64 s[18:19], s[6:7]
	s_cbranch_execnz .LBB66_23
.LBB66_18:                              ;   in Loop: Header=BB66_4 Depth=1
	s_or_b64 exec, exec, s[18:19]
	s_and_saveexec_b64 s[8:9], vcc
	s_cbranch_execnz .LBB66_24
.LBB66_19:                              ;   in Loop: Header=BB66_4 Depth=1
	s_or_b64 exec, exec, s[8:9]
	s_and_saveexec_b64 s[8:9], s[0:1]
	s_cbranch_execnz .LBB66_25
.LBB66_20:                              ;   in Loop: Header=BB66_4 Depth=1
	s_or_b64 exec, exec, s[8:9]
	s_and_saveexec_b64 s[0:1], s[2:3]
	s_cbranch_execnz .LBB66_26
.LBB66_21:                              ;   in Loop: Header=BB66_4 Depth=1
	s_or_b64 exec, exec, s[0:1]
	s_and_saveexec_b64 s[0:1], s[6:7]
	s_cbranch_execz .LBB66_3
	s_branch .LBB66_27
.LBB66_22:                              ;   in Loop: Header=BB66_4 Depth=1
	v_mov_b32_e32 v36, s17
	v_add_co_u32_e64 v42, s[8:9], s16, v9
	v_addc_co_u32_e64 v43, s[8:9], v10, v36, s[8:9]
	v_add_co_u32_e64 v44, s[8:9], s16, v7
	v_addc_co_u32_e64 v45, s[8:9], v8, v36, s[8:9]
	global_load_ubyte v36, v[44:45], off
	global_load_ubyte v40, v[42:43], off
	s_or_b64 exec, exec, s[18:19]
	v_mov_b32_e32 v42, 0
	s_and_saveexec_b64 s[18:19], s[6:7]
	s_cbranch_execz .LBB66_18
.LBB66_23:                              ;   in Loop: Header=BB66_4 Depth=1
	v_mov_b32_e32 v43, s17
	v_add_co_u32_e64 v42, s[8:9], s16, v11
	v_addc_co_u32_e64 v43, s[8:9], v12, v43, s[8:9]
	global_load_ubyte v42, v[42:43], off
	s_or_b64 exec, exec, s[18:19]
	s_and_saveexec_b64 s[8:9], vcc
	s_cbranch_execz .LBB66_19
.LBB66_24:                              ;   in Loop: Header=BB66_4 Depth=1
	s_waitcnt vmcnt(0)
	v_cvt_f32_ubyte0_e32 v35, v35
	v_rcp_iflag_f32_e32 v46, v35
	v_mov_b32_e32 v43, s17
	v_add_co_u32_e32 v44, vcc, s16, v1
	v_cvt_f32_ubyte0_e32 v33, v33
	v_addc_co_u32_e32 v45, vcc, v2, v43, vcc
	v_mul_f32_e32 v43, v33, v46
	v_trunc_f32_e32 v43, v43
	v_cvt_u32_f32_e32 v46, v43
	v_mad_f32 v33, -v43, v35, v33
	v_cmp_ge_f32_e64 vcc, |v33|, v35
	v_addc_co_u32_e32 v33, vcc, 0, v46, vcc
	v_mad_legacy_u16 v32, v33, s26, v32
	global_store_byte v[44:45], v32, off
	s_or_b64 exec, exec, s[8:9]
	s_and_saveexec_b64 s[8:9], s[0:1]
	s_cbranch_execz .LBB66_20
.LBB66_25:                              ;   in Loop: Header=BB66_4 Depth=1
	s_waitcnt vmcnt(0)
	v_cvt_f32_ubyte0_e32 v32, v39
	v_rcp_iflag_f32_e32 v33, v32
	v_cvt_f32_ubyte0_e32 v35, v37
	v_mov_b32_e32 v37, s17
	v_mul_f32_e32 v33, v35, v33
	v_trunc_f32_e32 v33, v33
	v_cvt_u32_f32_e32 v39, v33
	v_mad_f32 v33, -v33, v32, v35
	v_cmp_ge_f32_e64 vcc, |v33|, v32
	v_addc_co_u32_e32 v32, vcc, 0, v39, vcc
	v_mad_legacy_u16 v31, v32, s26, v31
	v_add_co_u32_e32 v32, vcc, s16, v23
	v_addc_co_u32_e32 v33, vcc, v24, v37, vcc
	global_store_byte v[32:33], v31, off
	s_or_b64 exec, exec, s[8:9]
	s_and_saveexec_b64 s[0:1], s[2:3]
	s_cbranch_execz .LBB66_21
.LBB66_26:                              ;   in Loop: Header=BB66_4 Depth=1
	s_waitcnt vmcnt(0)
	v_cvt_f32_ubyte0_e32 v31, v41
	v_rcp_iflag_f32_e32 v32, v31
	v_cvt_f32_ubyte0_e32 v33, v38
	v_mov_b32_e32 v35, s17
	v_mul_f32_e32 v32, v33, v32
	v_trunc_f32_e32 v32, v32
	v_cvt_u32_f32_e32 v37, v32
	v_mad_f32 v32, -v32, v31, v33
	v_cmp_ge_f32_e64 vcc, |v32|, v31
	v_addc_co_u32_e32 v31, vcc, 0, v37, vcc
	v_add_co_u32_e32 v32, vcc, s16, v15
	v_mad_legacy_u16 v31, v31, s26, v34
	v_addc_co_u32_e32 v33, vcc, v16, v35, vcc
	global_store_byte v[32:33], v31, off
	s_or_b64 exec, exec, s[0:1]
	s_and_saveexec_b64 s[0:1], s[6:7]
	s_cbranch_execz .LBB66_3
.LBB66_27:                              ;   in Loop: Header=BB66_4 Depth=1
	s_waitcnt vmcnt(0)
	v_cvt_f32_ubyte0_e32 v31, v42
	v_rcp_iflag_f32_e32 v32, v31
	v_cvt_f32_ubyte0_e32 v33, v40
	v_mov_b32_e32 v34, s17
	v_mul_f32_e32 v32, v33, v32
	v_trunc_f32_e32 v32, v32
	v_cvt_u32_f32_e32 v35, v32
	v_mad_f32 v32, -v32, v31, v33
	v_cmp_ge_f32_e64 vcc, |v32|, v31
	v_addc_co_u32_e32 v31, vcc, 0, v35, vcc
	v_add_co_u32_e32 v32, vcc, s16, v7
	v_mad_legacy_u16 v31, v31, s26, v36
	v_addc_co_u32_e32 v33, vcc, v8, v34, vcc
	global_store_byte v[32:33], v31, off
	s_branch .LBB66_3
.LBB66_28:
	s_mov_b64 s[14:15], 0
.LBB66_29:
	s_andn2_b64 vcc, exec, s[14:15]
	s_cbranch_vccnz .LBB66_33
; %bb.30:
	v_lshlrev_b32_e32 v0, 2, v0
	v_mov_b32_e32 v1, 0
	v_cmp_gt_i64_e32 vcc, s[12:13], v[0:1]
	s_and_saveexec_b64 s[0:1], vcc
	s_cbranch_execz .LBB66_33
; %bb.31:
	s_load_dword s0, s[4:5], 0xc5c
	s_mov_b32 s1, 0
	s_mov_b64 s[6:7], 0
	s_lshr_b32 s14, s22, 16
	v_mov_b32_e32 v2, s11
	s_waitcnt lgkmcnt(0)
	s_and_b32 s0, s0, 0xffff
	s_lshl_b32 s11, s0, 2
	v_mov_b32_e32 v3, s23
	v_mov_b32_e32 v4, s24
	s_mov_b32 s15, 0x6050400
	v_mov_b32_e32 v5, s1
	s_mov_b64 s[8:9], 0xffff
.LBB66_32:                              ; =>This Inner Loop Header: Depth=1
	v_add_co_u32_e32 v6, vcc, s10, v0
	v_addc_co_u32_e32 v7, vcc, v2, v1, vcc
	v_add_co_u32_e32 v8, vcc, s20, v0
	v_addc_co_u32_e32 v9, vcc, v3, v1, vcc
	;; [unrolled: 2-line block ×3, first 2 shown]
	global_load_dword v12, v[8:9], off
	global_load_dword v13, v[10:11], off
	;; [unrolled: 1-line block ×3, first 2 shown]
	v_add_co_u32_e32 v0, vcc, s11, v0
	v_addc_co_u32_e32 v1, vcc, v5, v1, vcc
	v_cmp_le_i64_e32 vcc, s[12:13], v[0:1]
	v_cmp_lt_u64_e64 s[0:1], s[8:9], v[0:1]
	s_or_b64 s[0:1], vcc, s[0:1]
	s_and_b64 s[0:1], exec, s[0:1]
	s_or_b64 s[6:7], s[0:1], s[6:7]
	s_waitcnt vmcnt(2)
	v_cvt_f32_ubyte1_e32 v11, v12
	s_waitcnt vmcnt(1)
	v_cvt_f32_ubyte1_e32 v15, v13
	v_cvt_f32_ubyte2_e32 v18, v13
	v_cvt_f32_ubyte0_e32 v9, v13
	v_cvt_f32_ubyte3_e32 v13, v13
	v_rcp_iflag_f32_e32 v21, v15
	v_rcp_iflag_f32_e32 v22, v18
	v_rcp_iflag_f32_e32 v20, v9
	v_rcp_iflag_f32_e32 v23, v13
	v_cvt_f32_ubyte2_e32 v17, v12
	v_cvt_f32_ubyte0_e32 v8, v12
	v_cvt_f32_ubyte3_e32 v12, v12
	v_mul_f32_e32 v21, v11, v21
	v_mul_f32_e32 v22, v17, v22
	;; [unrolled: 1-line block ×4, first 2 shown]
	v_trunc_f32_e32 v21, v21
	v_trunc_f32_e32 v22, v22
	;; [unrolled: 1-line block ×4, first 2 shown]
	v_mad_f32 v11, -v21, v15, v11
	v_cvt_u32_f32_e32 v21, v21
	v_mad_f32 v17, -v22, v18, v17
	v_cvt_u32_f32_e32 v22, v22
	v_mad_f32 v8, -v20, v9, v8
	v_cvt_u32_f32_e32 v20, v20
	v_mad_f32 v12, -v23, v13, v12
	v_cvt_u32_f32_e32 v23, v23
	v_cmp_ge_f32_e64 vcc, |v11|, v15
	v_cmp_ge_f32_e64 s[0:1], |v17|, v18
	s_waitcnt vmcnt(0)
	v_lshrrev_b32_e32 v10, 8, v14
	v_lshrrev_b32_e32 v16, 16, v14
	v_cmp_ge_f32_e64 s[2:3], |v12|, v13
	v_cmp_ge_f32_e64 s[4:5], |v8|, v9
	v_addc_co_u32_e32 v9, vcc, 0, v21, vcc
	v_addc_co_u32_e64 v11, vcc, 0, v22, s[0:1]
	v_lshrrev_b32_e32 v19, 24, v14
	v_addc_co_u32_e64 v8, s[4:5], 0, v20, s[4:5]
	v_addc_co_u32_e64 v12, vcc, 0, v23, s[2:3]
	v_mad_legacy_u16 v9, v9, s14, v10
	v_mad_legacy_u16 v10, v11, s14, v16
	;; [unrolled: 1-line block ×4, first 2 shown]
	v_and_b32_e32 v9, 0xff, v9
	v_and_b32_e32 v10, 0xff, v10
	v_lshlrev_b32_e32 v11, 24, v11
	v_perm_b32 v8, v9, v8, s15
	v_lshlrev_b32_e32 v9, 16, v10
	v_or3_b32 v8, v8, v9, v11
	global_store_dword v[6:7], v8, off
	s_andn2_b64 exec, exec, s[6:7]
	s_cbranch_execnz .LBB66_32
.LBB66_33:
	s_endpgm
	.section	.rodata,"a",@progbits
	.p2align	6, 0x0
	.amdhsa_kernel _ZN2at6native12_GLOBAL__N_125multi_tensor_apply_kernelINS1_18TensorListMetadataILi3EEENS1_24PointwiseOpScalarFunctorIhLi3ELi3ELi0EEEJSt7dividesIhEhEEEvT_T0_DpT1_
		.amdhsa_group_segment_fixed_size 0
		.amdhsa_private_segment_fixed_size 0
		.amdhsa_kernarg_size 3408
		.amdhsa_user_sgpr_count 6
		.amdhsa_user_sgpr_private_segment_buffer 1
		.amdhsa_user_sgpr_dispatch_ptr 0
		.amdhsa_user_sgpr_queue_ptr 0
		.amdhsa_user_sgpr_kernarg_segment_ptr 1
		.amdhsa_user_sgpr_dispatch_id 0
		.amdhsa_user_sgpr_flat_scratch_init 0
		.amdhsa_user_sgpr_kernarg_preload_length 0
		.amdhsa_user_sgpr_kernarg_preload_offset 0
		.amdhsa_user_sgpr_private_segment_size 0
		.amdhsa_uses_dynamic_stack 0
		.amdhsa_system_sgpr_private_segment_wavefront_offset 0
		.amdhsa_system_sgpr_workgroup_id_x 1
		.amdhsa_system_sgpr_workgroup_id_y 0
		.amdhsa_system_sgpr_workgroup_id_z 0
		.amdhsa_system_sgpr_workgroup_info 0
		.amdhsa_system_vgpr_workitem_id 0
		.amdhsa_next_free_vgpr 47
		.amdhsa_next_free_sgpr 27
		.amdhsa_accum_offset 48
		.amdhsa_reserve_vcc 1
		.amdhsa_reserve_flat_scratch 0
		.amdhsa_float_round_mode_32 0
		.amdhsa_float_round_mode_16_64 0
		.amdhsa_float_denorm_mode_32 3
		.amdhsa_float_denorm_mode_16_64 3
		.amdhsa_dx10_clamp 1
		.amdhsa_ieee_mode 1
		.amdhsa_fp16_overflow 0
		.amdhsa_tg_split 0
		.amdhsa_exception_fp_ieee_invalid_op 0
		.amdhsa_exception_fp_denorm_src 0
		.amdhsa_exception_fp_ieee_div_zero 0
		.amdhsa_exception_fp_ieee_overflow 0
		.amdhsa_exception_fp_ieee_underflow 0
		.amdhsa_exception_fp_ieee_inexact 0
		.amdhsa_exception_int_div_zero 0
	.end_amdhsa_kernel
	.section	.text._ZN2at6native12_GLOBAL__N_125multi_tensor_apply_kernelINS1_18TensorListMetadataILi3EEENS1_24PointwiseOpScalarFunctorIhLi3ELi3ELi0EEEJSt7dividesIhEhEEEvT_T0_DpT1_,"axG",@progbits,_ZN2at6native12_GLOBAL__N_125multi_tensor_apply_kernelINS1_18TensorListMetadataILi3EEENS1_24PointwiseOpScalarFunctorIhLi3ELi3ELi0EEEJSt7dividesIhEhEEEvT_T0_DpT1_,comdat
.Lfunc_end66:
	.size	_ZN2at6native12_GLOBAL__N_125multi_tensor_apply_kernelINS1_18TensorListMetadataILi3EEENS1_24PointwiseOpScalarFunctorIhLi3ELi3ELi0EEEJSt7dividesIhEhEEEvT_T0_DpT1_, .Lfunc_end66-_ZN2at6native12_GLOBAL__N_125multi_tensor_apply_kernelINS1_18TensorListMetadataILi3EEENS1_24PointwiseOpScalarFunctorIhLi3ELi3ELi0EEEJSt7dividesIhEhEEEvT_T0_DpT1_
                                        ; -- End function
	.section	.AMDGPU.csdata,"",@progbits
; Kernel info:
; codeLenInByte = 2020
; NumSgprs: 31
; NumVgprs: 47
; NumAgprs: 0
; TotalNumVgprs: 47
; ScratchSize: 0
; MemoryBound: 0
; FloatMode: 240
; IeeeMode: 1
; LDSByteSize: 0 bytes/workgroup (compile time only)
; SGPRBlocks: 3
; VGPRBlocks: 5
; NumSGPRsForWavesPerEU: 31
; NumVGPRsForWavesPerEU: 47
; AccumOffset: 48
; Occupancy: 8
; WaveLimiterHint : 0
; COMPUTE_PGM_RSRC2:SCRATCH_EN: 0
; COMPUTE_PGM_RSRC2:USER_SGPR: 6
; COMPUTE_PGM_RSRC2:TRAP_HANDLER: 0
; COMPUTE_PGM_RSRC2:TGID_X_EN: 1
; COMPUTE_PGM_RSRC2:TGID_Y_EN: 0
; COMPUTE_PGM_RSRC2:TGID_Z_EN: 0
; COMPUTE_PGM_RSRC2:TIDIG_COMP_CNT: 0
; COMPUTE_PGM_RSRC3_GFX90A:ACCUM_OFFSET: 11
; COMPUTE_PGM_RSRC3_GFX90A:TG_SPLIT: 0
	.section	.text._ZN2at6native12_GLOBAL__N_125multi_tensor_apply_kernelINS1_18TensorListMetadataILi3EEENS1_24PointwiseOpScalarFunctorIaLi3ELi3ELi0EEEJSt7dividesIaEaEEEvT_T0_DpT1_,"axG",@progbits,_ZN2at6native12_GLOBAL__N_125multi_tensor_apply_kernelINS1_18TensorListMetadataILi3EEENS1_24PointwiseOpScalarFunctorIaLi3ELi3ELi0EEEJSt7dividesIaEaEEEvT_T0_DpT1_,comdat
	.globl	_ZN2at6native12_GLOBAL__N_125multi_tensor_apply_kernelINS1_18TensorListMetadataILi3EEENS1_24PointwiseOpScalarFunctorIaLi3ELi3ELi0EEEJSt7dividesIaEaEEEvT_T0_DpT1_ ; -- Begin function _ZN2at6native12_GLOBAL__N_125multi_tensor_apply_kernelINS1_18TensorListMetadataILi3EEENS1_24PointwiseOpScalarFunctorIaLi3ELi3ELi0EEEJSt7dividesIaEaEEEvT_T0_DpT1_
	.p2align	8
	.type	_ZN2at6native12_GLOBAL__N_125multi_tensor_apply_kernelINS1_18TensorListMetadataILi3EEENS1_24PointwiseOpScalarFunctorIaLi3ELi3ELi0EEEJSt7dividesIaEaEEEvT_T0_DpT1_,@function
_ZN2at6native12_GLOBAL__N_125multi_tensor_apply_kernelINS1_18TensorListMetadataILi3EEENS1_24PointwiseOpScalarFunctorIaLi3ELi3ELi0EEEJSt7dividesIaEaEEEvT_T0_DpT1_: ; @_ZN2at6native12_GLOBAL__N_125multi_tensor_apply_kernelINS1_18TensorListMetadataILi3EEENS1_24PointwiseOpScalarFunctorIaLi3ELi3ELi0EEEJSt7dividesIaEaEEEvT_T0_DpT1_
; %bb.0:
	v_mov_b32_e32 v1, s6
	global_load_ubyte v1, v1, s[4:5] offset:1536
	s_add_u32 s0, s4, s6
	s_mul_hi_u32 s1, s6, 3
	s_mul_i32 s6, s6, 3
	s_addc_u32 s2, s5, 0
	s_add_u32 s0, s0, s6
	s_addc_u32 s1, s2, s1
	s_load_dword s2, s[0:1], 0x740
	s_load_dword s22, s[4:5], 0xc48
	s_mov_b32 s15, 0
	s_waitcnt lgkmcnt(0)
	s_ashr_i32 s3, s2, 31
	s_lshl_b64 s[8:9], s[2:3], 16
	s_waitcnt vmcnt(0)
	v_readfirstlane_b32 s0, v1
	s_lshl_b32 s10, s0, 3
	s_load_dwordx2 s[0:1], s[4:5], s10 offset:0x0
	s_load_dwordx2 s[2:3], s[4:5], s10 offset:0x180
	;; [unrolled: 1-line block ×4, first 2 shown]
	s_waitcnt lgkmcnt(0)
	s_add_u32 s10, s0, s8
	s_addc_u32 s11, s1, s9
	s_add_u32 s20, s2, s8
	s_addc_u32 s23, s3, s9
	;; [unrolled: 2-line block ×3, first 2 shown]
	s_or_b32 s12, s21, s20
	s_and_b32 s12, s12, 3
	s_cmp_eq_u32 s12, 0
	s_cselect_b64 s[18:19], -1, 0
	s_sub_u32 s12, s16, s8
	s_subb_u32 s13, s17, s9
	s_or_b64 s[16:17], s[16:17], s[10:11]
	s_and_b32 s14, s16, 3
	s_cmp_eq_u64 s[14:15], 0
	s_cselect_b64 s[14:15], -1, 0
	s_and_b64 s[16:17], s[18:19], s[14:15]
	s_mov_b64 s[14:15], -1
	s_and_b64 vcc, exec, s[16:17]
	s_cbranch_vccnz .LBB67_29
; %bb.1:
	v_cmp_lt_i64_e64 s[14:15], s[12:13], 1
	s_and_b64 vcc, exec, s[14:15]
	s_cbranch_vccnz .LBB67_28
; %bb.2:
	s_load_dword s14, s[4:5], 0xc5c
	v_mov_b32_e32 v2, 0x10000
	v_mov_b32_e32 v3, 0
	v_cmp_lt_u64_e32 vcc, s[12:13], v[2:3]
	v_mov_b32_e32 v1, s9
	s_waitcnt lgkmcnt(0)
	s_and_b32 s18, s14, 0xffff
	s_and_b64 s[14:15], vcc, exec
	v_add_co_u32_e32 v23, vcc, s8, v0
	v_addc_co_u32_e32 v24, vcc, 0, v1, vcc
	v_mov_b32_e32 v25, s1
	v_add_co_u32_e32 v1, vcc, s0, v23
	v_addc_co_u32_e32 v2, vcc, v25, v24, vcc
	v_mov_b32_e32 v26, s3
	v_add_co_u32_e32 v3, vcc, s2, v23
	s_cselect_b32 s15, s13, 0
	s_cselect_b32 s14, s12, 0x10000
	s_lshl_b32 s19, s18, 1
	s_mul_i32 s16, s18, 3
	s_lshl_b32 s25, s18, 2
	v_addc_co_u32_e32 v4, vcc, v26, v24, vcc
	v_mov_b32_e32 v28, s7
	v_add_co_u32_e32 v5, vcc, s6, v23
	s_add_u32 s1, s8, s16
	v_addc_co_u32_e32 v6, vcc, v28, v24, vcc
	s_addc_u32 s3, s9, 0
	v_mov_b32_e32 v7, s3
	v_add_co_u32_e32 v11, vcc, s1, v0
	v_addc_co_u32_e32 v12, vcc, 0, v7, vcc
	v_add_co_u32_e32 v7, vcc, s0, v11
	v_addc_co_u32_e32 v8, vcc, v25, v12, vcc
	;; [unrolled: 2-line block ×4, first 2 shown]
	s_add_u32 s1, s8, s19
	v_add_co_u32_e32 v13, vcc, s16, v0
	s_addc_u32 s3, s9, 0
	v_addc_co_u32_e64 v14, s[16:17], 0, 0, vcc
	v_mov_b32_e32 v15, s3
	v_add_co_u32_e32 v19, vcc, s1, v0
	v_addc_co_u32_e32 v20, vcc, 0, v15, vcc
	v_add_co_u32_e32 v15, vcc, s0, v19
	v_addc_co_u32_e32 v16, vcc, v25, v20, vcc
	;; [unrolled: 2-line block ×4, first 2 shown]
	v_add_co_u32_e32 v21, vcc, s19, v0
	v_addc_co_u32_e64 v22, s[8:9], 0, 0, vcc
	v_add_co_u32_e32 v27, vcc, s18, v23
	v_addc_co_u32_e32 v29, vcc, 0, v24, vcc
	v_add_co_u32_e32 v23, vcc, s0, v27
	v_addc_co_u32_e32 v24, vcc, v25, v29, vcc
	;; [unrolled: 2-line block ×4, first 2 shown]
	v_add_co_u32_e32 v29, vcc, s18, v0
	v_addc_co_u32_e64 v30, s[0:1], 0, 0, vcc
	s_mov_b64 s[16:17], 0
	s_lshr_b32 s26, s22, 16
	s_branch .LBB67_4
.LBB67_3:                               ;   in Loop: Header=BB67_4 Depth=1
	s_or_b64 exec, exec, s[0:1]
	s_add_u32 s16, s16, s25
	s_addc_u32 s17, s17, 0
	s_waitcnt vmcnt(1)
	v_pk_mov_b32 v[32:33], s[12:13], s[12:13] op_sel:[0,1]
	v_cmp_lt_i64_e32 vcc, s[16:17], v[32:33]
	v_mov_b32_e32 v32, 0x10000
	v_mov_b32_e32 v33, 0
	v_cmp_lt_u64_e64 s[0:1], s[16:17], v[32:33]
	s_and_b64 s[0:1], vcc, s[0:1]
	s_and_b64 vcc, exec, s[0:1]
	s_cbranch_vccz .LBB67_28
.LBB67_4:                               ; =>This Inner Loop Header: Depth=1
	v_mov_b32_e32 v31, s17
	v_add_co_u32_e32 v32, vcc, s16, v0
	v_addc_co_u32_e32 v33, vcc, 0, v31, vcc
	v_cmp_gt_u64_e32 vcc, s[14:15], v[32:33]
	v_mov_b32_e32 v32, 0
	s_waitcnt vmcnt(0)
	v_mov_b32_e32 v35, 0
	s_and_saveexec_b64 s[2:3], vcc
	s_cbranch_execz .LBB67_6
; %bb.5:                                ;   in Loop: Header=BB67_4 Depth=1
	v_mov_b32_e32 v31, s17
	v_add_co_u32_e64 v36, s[0:1], s16, v1
	v_addc_co_u32_e64 v37, s[0:1], v2, v31, s[0:1]
	v_add_co_u32_e64 v38, s[0:1], s16, v3
	v_addc_co_u32_e64 v39, s[0:1], v4, v31, s[0:1]
	global_load_ubyte v32, v[36:37], off
	global_load_ubyte v35, v[38:39], off
.LBB67_6:                               ;   in Loop: Header=BB67_4 Depth=1
	s_or_b64 exec, exec, s[2:3]
	v_mov_b32_e32 v31, 0
	v_mov_b32_e32 v37, 0
	s_and_saveexec_b64 s[2:3], vcc
	s_cbranch_execz .LBB67_8
; %bb.7:                                ;   in Loop: Header=BB67_4 Depth=1
	v_mov_b32_e32 v33, s17
	v_add_co_u32_e64 v36, s[0:1], s16, v5
	v_addc_co_u32_e64 v37, s[0:1], v6, v33, s[0:1]
	global_load_ubyte v37, v[36:37], off
.LBB67_8:                               ;   in Loop: Header=BB67_4 Depth=1
	s_or_b64 exec, exec, s[2:3]
	v_mov_b32_e32 v33, s17
	v_add_co_u32_e64 v38, s[0:1], s16, v29
	v_addc_co_u32_e64 v39, s[0:1], v30, v33, s[0:1]
	v_cmp_gt_u64_e64 s[0:1], s[14:15], v[38:39]
	v_mov_b32_e32 v36, 0
	s_and_saveexec_b64 s[6:7], s[0:1]
	s_cbranch_execz .LBB67_10
; %bb.9:                                ;   in Loop: Header=BB67_4 Depth=1
	v_mov_b32_e32 v31, s17
	v_add_co_u32_e64 v38, s[2:3], s16, v25
	v_addc_co_u32_e64 v39, s[2:3], v26, v31, s[2:3]
	v_add_co_u32_e64 v40, s[2:3], s16, v23
	v_addc_co_u32_e64 v41, s[2:3], v24, v31, s[2:3]
	global_load_ubyte v31, v[40:41], off
	global_load_ubyte v36, v[38:39], off
.LBB67_10:                              ;   in Loop: Header=BB67_4 Depth=1
	s_or_b64 exec, exec, s[6:7]
	v_mov_b32_e32 v33, 0
	v_mov_b32_e32 v39, 0
	s_and_saveexec_b64 s[6:7], s[0:1]
	s_cbranch_execz .LBB67_12
; %bb.11:                               ;   in Loop: Header=BB67_4 Depth=1
	v_mov_b32_e32 v34, s17
	v_add_co_u32_e64 v38, s[2:3], s16, v27
	v_addc_co_u32_e64 v39, s[2:3], v28, v34, s[2:3]
	global_load_ubyte v39, v[38:39], off
.LBB67_12:                              ;   in Loop: Header=BB67_4 Depth=1
	s_or_b64 exec, exec, s[6:7]
	v_mov_b32_e32 v34, s17
	v_add_co_u32_e64 v40, s[2:3], s16, v21
	v_addc_co_u32_e64 v41, s[2:3], v22, v34, s[2:3]
	v_cmp_gt_u64_e64 s[2:3], s[14:15], v[40:41]
	v_mov_b32_e32 v38, 0
	s_and_saveexec_b64 s[8:9], s[2:3]
	s_cbranch_execz .LBB67_14
; %bb.13:                               ;   in Loop: Header=BB67_4 Depth=1
	v_mov_b32_e32 v33, s17
	v_add_co_u32_e64 v40, s[6:7], s16, v17
	v_addc_co_u32_e64 v41, s[6:7], v18, v33, s[6:7]
	v_add_co_u32_e64 v42, s[6:7], s16, v15
	v_addc_co_u32_e64 v43, s[6:7], v16, v33, s[6:7]
	global_load_ubyte v33, v[42:43], off
	global_load_ubyte v38, v[40:41], off
.LBB67_14:                              ;   in Loop: Header=BB67_4 Depth=1
	s_or_b64 exec, exec, s[8:9]
	v_mov_b32_e32 v34, 0
	v_mov_b32_e32 v41, 0
	s_and_saveexec_b64 s[8:9], s[2:3]
	s_cbranch_execz .LBB67_16
; %bb.15:                               ;   in Loop: Header=BB67_4 Depth=1
	v_mov_b32_e32 v41, s17
	v_add_co_u32_e64 v40, s[6:7], s16, v19
	v_addc_co_u32_e64 v41, s[6:7], v20, v41, s[6:7]
	global_load_ubyte v41, v[40:41], off
.LBB67_16:                              ;   in Loop: Header=BB67_4 Depth=1
	s_or_b64 exec, exec, s[8:9]
	v_mov_b32_e32 v40, s17
	v_add_co_u32_e64 v42, s[6:7], s16, v13
	v_addc_co_u32_e64 v43, s[6:7], v14, v40, s[6:7]
	v_cmp_gt_u64_e64 s[6:7], s[14:15], v[42:43]
	v_mov_b32_e32 v40, 0
	s_and_saveexec_b64 s[18:19], s[6:7]
	s_cbranch_execnz .LBB67_22
; %bb.17:                               ;   in Loop: Header=BB67_4 Depth=1
	s_or_b64 exec, exec, s[18:19]
	v_mov_b32_e32 v42, 0
	s_and_saveexec_b64 s[18:19], s[6:7]
	s_cbranch_execnz .LBB67_23
.LBB67_18:                              ;   in Loop: Header=BB67_4 Depth=1
	s_or_b64 exec, exec, s[18:19]
	s_and_saveexec_b64 s[8:9], vcc
	s_cbranch_execnz .LBB67_24
.LBB67_19:                              ;   in Loop: Header=BB67_4 Depth=1
	s_or_b64 exec, exec, s[8:9]
	s_and_saveexec_b64 s[8:9], s[0:1]
	s_cbranch_execnz .LBB67_25
.LBB67_20:                              ;   in Loop: Header=BB67_4 Depth=1
	s_or_b64 exec, exec, s[8:9]
	s_and_saveexec_b64 s[0:1], s[2:3]
	s_cbranch_execnz .LBB67_26
.LBB67_21:                              ;   in Loop: Header=BB67_4 Depth=1
	s_or_b64 exec, exec, s[0:1]
	s_and_saveexec_b64 s[0:1], s[6:7]
	s_cbranch_execz .LBB67_3
	s_branch .LBB67_27
.LBB67_22:                              ;   in Loop: Header=BB67_4 Depth=1
	v_mov_b32_e32 v34, s17
	v_add_co_u32_e64 v42, s[8:9], s16, v9
	v_addc_co_u32_e64 v43, s[8:9], v10, v34, s[8:9]
	v_add_co_u32_e64 v44, s[8:9], s16, v7
	v_addc_co_u32_e64 v45, s[8:9], v8, v34, s[8:9]
	global_load_ubyte v34, v[44:45], off
	global_load_ubyte v40, v[42:43], off
	s_or_b64 exec, exec, s[18:19]
	v_mov_b32_e32 v42, 0
	s_and_saveexec_b64 s[18:19], s[6:7]
	s_cbranch_execz .LBB67_18
.LBB67_23:                              ;   in Loop: Header=BB67_4 Depth=1
	v_mov_b32_e32 v43, s17
	v_add_co_u32_e64 v42, s[8:9], s16, v11
	v_addc_co_u32_e64 v43, s[8:9], v12, v43, s[8:9]
	global_load_ubyte v42, v[42:43], off
	s_or_b64 exec, exec, s[18:19]
	s_and_saveexec_b64 s[8:9], vcc
	s_cbranch_execz .LBB67_19
.LBB67_24:                              ;   in Loop: Header=BB67_4 Depth=1
	s_waitcnt vmcnt(0)
	v_cvt_f32_i32_sdwa v43, sext(v37) dst_sel:DWORD dst_unused:UNUSED_PAD src0_sel:BYTE_0
	v_xor_b32_sdwa v37, sext(v35), sext(v37) dst_sel:DWORD dst_unused:UNUSED_PAD src0_sel:BYTE_0 src1_sel:BYTE_0
	v_cvt_f32_i32_sdwa v35, sext(v35) dst_sel:DWORD dst_unused:UNUSED_PAD src0_sel:BYTE_0
	v_ashrrev_i32_e32 v37, 30, v37
	v_rcp_iflag_f32_e32 v44, v43
	v_or_b32_e32 v37, 1, v37
	v_mov_b32_e32 v45, s17
	v_mul_f32_e32 v44, v35, v44
	v_trunc_f32_e32 v44, v44
	v_cvt_i32_f32_e32 v46, v44
	v_mad_f32 v35, -v44, v43, v35
	v_cmp_ge_f32_e64 vcc, |v35|, |v43|
	v_cndmask_b32_e32 v35, 0, v37, vcc
	v_add_u32_e32 v35, v46, v35
	v_add_co_u32_e32 v44, vcc, s16, v1
	v_mad_legacy_u16 v32, v35, s26, v32
	v_addc_co_u32_e32 v45, vcc, v2, v45, vcc
	global_store_byte v[44:45], v32, off
	s_or_b64 exec, exec, s[8:9]
	s_and_saveexec_b64 s[8:9], s[0:1]
	s_cbranch_execz .LBB67_20
.LBB67_25:                              ;   in Loop: Header=BB67_4 Depth=1
	s_waitcnt vmcnt(0)
	v_cvt_f32_i32_sdwa v32, sext(v39) dst_sel:DWORD dst_unused:UNUSED_PAD src0_sel:BYTE_0
	v_xor_b32_sdwa v35, sext(v36), sext(v39) dst_sel:DWORD dst_unused:UNUSED_PAD src0_sel:BYTE_0 src1_sel:BYTE_0
	v_cvt_f32_i32_sdwa v36, sext(v36) dst_sel:DWORD dst_unused:UNUSED_PAD src0_sel:BYTE_0
	v_ashrrev_i32_e32 v35, 30, v35
	v_rcp_iflag_f32_e32 v37, v32
	v_or_b32_e32 v35, 1, v35
	v_mov_b32_e32 v39, s17
	v_mul_f32_e32 v37, v36, v37
	v_trunc_f32_e32 v37, v37
	v_cvt_i32_f32_e32 v43, v37
	v_mad_f32 v36, -v37, v32, v36
	v_cmp_ge_f32_e64 vcc, |v36|, |v32|
	v_cndmask_b32_e32 v32, 0, v35, vcc
	v_add_u32_e32 v32, v43, v32
	v_add_co_u32_e32 v36, vcc, s16, v23
	v_mad_legacy_u16 v31, v32, s26, v31
	v_addc_co_u32_e32 v37, vcc, v24, v39, vcc
	global_store_byte v[36:37], v31, off
	s_or_b64 exec, exec, s[8:9]
	s_and_saveexec_b64 s[0:1], s[2:3]
	s_cbranch_execz .LBB67_21
.LBB67_26:                              ;   in Loop: Header=BB67_4 Depth=1
	s_waitcnt vmcnt(0)
	v_cvt_f32_i32_sdwa v31, sext(v41) dst_sel:DWORD dst_unused:UNUSED_PAD src0_sel:BYTE_0
	v_cvt_f32_i32_sdwa v35, sext(v38) dst_sel:DWORD dst_unused:UNUSED_PAD src0_sel:BYTE_0
	v_xor_b32_sdwa v32, sext(v38), sext(v41) dst_sel:DWORD dst_unused:UNUSED_PAD src0_sel:BYTE_0 src1_sel:BYTE_0
	v_ashrrev_i32_e32 v32, 30, v32
	v_rcp_iflag_f32_e32 v36, v31
	v_or_b32_e32 v32, 1, v32
	v_mov_b32_e32 v37, s17
	v_mul_f32_e32 v36, v35, v36
	v_trunc_f32_e32 v36, v36
	v_cvt_i32_f32_e32 v38, v36
	v_mad_f32 v35, -v36, v31, v35
	v_cmp_ge_f32_e64 vcc, |v35|, |v31|
	v_cndmask_b32_e32 v31, 0, v32, vcc
	v_add_u32_e32 v31, v38, v31
	v_add_co_u32_e32 v32, vcc, s16, v15
	v_mad_legacy_u16 v31, v31, s26, v33
	v_addc_co_u32_e32 v33, vcc, v16, v37, vcc
	global_store_byte v[32:33], v31, off
	s_or_b64 exec, exec, s[0:1]
	s_and_saveexec_b64 s[0:1], s[6:7]
	s_cbranch_execz .LBB67_3
.LBB67_27:                              ;   in Loop: Header=BB67_4 Depth=1
	s_waitcnt vmcnt(0)
	v_cvt_f32_i32_sdwa v31, sext(v42) dst_sel:DWORD dst_unused:UNUSED_PAD src0_sel:BYTE_0
	v_cvt_f32_i32_sdwa v33, sext(v40) dst_sel:DWORD dst_unused:UNUSED_PAD src0_sel:BYTE_0
	v_xor_b32_sdwa v32, sext(v40), sext(v42) dst_sel:DWORD dst_unused:UNUSED_PAD src0_sel:BYTE_0 src1_sel:BYTE_0
	v_ashrrev_i32_e32 v32, 30, v32
	v_rcp_iflag_f32_e32 v35, v31
	v_or_b32_e32 v32, 1, v32
	v_mov_b32_e32 v36, s17
	v_mul_f32_e32 v35, v33, v35
	v_trunc_f32_e32 v35, v35
	v_cvt_i32_f32_e32 v37, v35
	v_mad_f32 v33, -v35, v31, v33
	v_cmp_ge_f32_e64 vcc, |v33|, |v31|
	v_cndmask_b32_e32 v31, 0, v32, vcc
	v_add_u32_e32 v31, v37, v31
	v_add_co_u32_e32 v32, vcc, s16, v7
	v_mad_legacy_u16 v31, v31, s26, v34
	v_addc_co_u32_e32 v33, vcc, v8, v36, vcc
	global_store_byte v[32:33], v31, off
	s_branch .LBB67_3
.LBB67_28:
	s_mov_b64 s[14:15], 0
.LBB67_29:
	s_andn2_b64 vcc, exec, s[14:15]
	s_cbranch_vccnz .LBB67_33
; %bb.30:
	v_lshlrev_b32_e32 v0, 2, v0
	v_mov_b32_e32 v1, 0
	v_cmp_gt_i64_e32 vcc, s[12:13], v[0:1]
	s_and_saveexec_b64 s[0:1], vcc
	s_cbranch_execz .LBB67_33
; %bb.31:
	s_load_dword s0, s[4:5], 0xc5c
	s_mov_b32 s1, 0
	s_mov_b64 s[2:3], 0
	s_lshr_b32 s6, s22, 16
	v_mov_b32_e32 v2, s11
	s_waitcnt lgkmcnt(0)
	s_and_b32 s0, s0, 0xffff
	s_lshl_b32 s7, s0, 2
	v_mov_b32_e32 v3, s23
	v_mov_b32_e32 v4, s24
	s_mov_b32 s8, 0x6050400
	v_mov_b32_e32 v5, s1
	s_mov_b64 s[4:5], 0xffff
.LBB67_32:                              ; =>This Inner Loop Header: Depth=1
	v_add_co_u32_e32 v6, vcc, s10, v0
	v_addc_co_u32_e32 v7, vcc, v2, v1, vcc
	v_add_co_u32_e32 v8, vcc, s20, v0
	v_addc_co_u32_e32 v9, vcc, v3, v1, vcc
	;; [unrolled: 2-line block ×3, first 2 shown]
	global_load_dword v12, v[8:9], off
	global_load_dword v13, v[10:11], off
	global_load_dword v14, v[6:7], off
	v_add_co_u32_e32 v0, vcc, s7, v0
	v_addc_co_u32_e32 v1, vcc, v5, v1, vcc
	v_cmp_le_i64_e32 vcc, s[12:13], v[0:1]
	v_cmp_lt_u64_e64 s[0:1], s[4:5], v[0:1]
	s_or_b64 s[0:1], vcc, s[0:1]
	s_and_b64 s[0:1], exec, s[0:1]
	s_or_b64 s[2:3], s[0:1], s[2:3]
	s_waitcnt vmcnt(2)
	v_cvt_f32_i32_sdwa v9, sext(v12) dst_sel:DWORD dst_unused:UNUSED_PAD src0_sel:BYTE_0
	s_waitcnt vmcnt(1)
	v_cvt_f32_i32_sdwa v10, sext(v13) dst_sel:DWORD dst_unused:UNUSED_PAD src0_sel:BYTE_0
	v_cvt_f32_i32_sdwa v17, sext(v13) dst_sel:DWORD dst_unused:UNUSED_PAD src0_sel:BYTE_1
	v_cvt_f32_i32_sdwa v21, sext(v13) dst_sel:DWORD dst_unused:UNUSED_PAD src0_sel:BYTE_2
	v_xor_b32_sdwa v8, sext(v12), sext(v13) dst_sel:DWORD dst_unused:UNUSED_PAD src0_sel:BYTE_0 src1_sel:BYTE_0
	v_xor_b32_sdwa v15, sext(v12), sext(v13) dst_sel:DWORD dst_unused:UNUSED_PAD src0_sel:BYTE_1 src1_sel:BYTE_1
	v_xor_b32_sdwa v19, sext(v12), sext(v13) dst_sel:DWORD dst_unused:UNUSED_PAD src0_sel:BYTE_2 src1_sel:BYTE_2
	v_xor_b32_sdwa v23, sext(v12), sext(v13) dst_sel:DWORD dst_unused:UNUSED_PAD src0_sel:BYTE_3 src1_sel:BYTE_3
	v_cvt_f32_i32_sdwa v13, sext(v13) dst_sel:DWORD dst_unused:UNUSED_PAD src0_sel:BYTE_3
	v_rcp_iflag_f32_e32 v24, v10
	v_cvt_f32_i32_sdwa v16, sext(v12) dst_sel:DWORD dst_unused:UNUSED_PAD src0_sel:BYTE_1
	v_cvt_f32_i32_sdwa v20, sext(v12) dst_sel:DWORD dst_unused:UNUSED_PAD src0_sel:BYTE_2
	v_rcp_iflag_f32_e32 v25, v17
	v_rcp_iflag_f32_e32 v26, v21
	v_cvt_f32_i32_sdwa v12, sext(v12) dst_sel:DWORD dst_unused:UNUSED_PAD src0_sel:BYTE_3
	v_rcp_iflag_f32_e32 v27, v13
	v_mul_f32_e32 v24, v9, v24
	v_mul_f32_e32 v25, v16, v25
	;; [unrolled: 1-line block ×3, first 2 shown]
	v_trunc_f32_e32 v24, v24
	v_ashrrev_i32_e32 v8, 30, v8
	v_mul_f32_e32 v27, v12, v27
	v_trunc_f32_e32 v25, v25
	v_trunc_f32_e32 v26, v26
	v_mad_f32 v9, -v24, v10, v9
	v_ashrrev_i32_e32 v15, 30, v15
	v_or_b32_e32 v8, 1, v8
	v_trunc_f32_e32 v27, v27
	v_mad_f32 v16, -v25, v17, v16
	v_cvt_i32_f32_e32 v25, v25
	v_mad_f32 v20, -v26, v21, v20
	v_cvt_i32_f32_e32 v26, v26
	v_cmp_ge_f32_e64 vcc, |v9|, |v10|
	v_ashrrev_i32_e32 v19, 30, v19
	v_or_b32_e32 v15, 1, v15
	v_cvt_i32_f32_e32 v24, v24
	v_mad_f32 v12, -v27, v13, v12
	v_cvt_i32_f32_e32 v27, v27
	v_cndmask_b32_e32 v8, 0, v8, vcc
	v_cmp_ge_f32_e64 vcc, |v16|, |v17|
	v_ashrrev_i32_e32 v23, 30, v23
	v_or_b32_e32 v19, 1, v19
	v_cndmask_b32_e32 v9, 0, v15, vcc
	v_cmp_ge_f32_e64 vcc, |v20|, |v21|
	v_or_b32_e32 v23, 1, v23
	v_cndmask_b32_e32 v10, 0, v19, vcc
	v_cmp_ge_f32_e64 vcc, |v12|, |v13|
	s_waitcnt vmcnt(0)
	v_lshrrev_b32_e32 v11, 8, v14
	v_lshrrev_b32_e32 v18, 16, v14
	v_cndmask_b32_e32 v12, 0, v23, vcc
	v_add_u32_e32 v9, v25, v9
	v_add_u32_e32 v10, v26, v10
	v_lshrrev_b32_e32 v22, 24, v14
	v_add_u32_e32 v8, v24, v8
	v_add_u32_e32 v12, v27, v12
	v_mad_legacy_u16 v9, v9, s6, v11
	v_mad_legacy_u16 v10, v10, s6, v18
	;; [unrolled: 1-line block ×4, first 2 shown]
	v_and_b32_e32 v9, 0xff, v9
	v_and_b32_e32 v10, 0xff, v10
	v_lshlrev_b32_e32 v11, 24, v11
	v_perm_b32 v8, v9, v8, s8
	v_lshlrev_b32_e32 v9, 16, v10
	v_or3_b32 v8, v8, v9, v11
	global_store_dword v[6:7], v8, off
	s_andn2_b64 exec, exec, s[2:3]
	s_cbranch_execnz .LBB67_32
.LBB67_33:
	s_endpgm
	.section	.rodata,"a",@progbits
	.p2align	6, 0x0
	.amdhsa_kernel _ZN2at6native12_GLOBAL__N_125multi_tensor_apply_kernelINS1_18TensorListMetadataILi3EEENS1_24PointwiseOpScalarFunctorIaLi3ELi3ELi0EEEJSt7dividesIaEaEEEvT_T0_DpT1_
		.amdhsa_group_segment_fixed_size 0
		.amdhsa_private_segment_fixed_size 0
		.amdhsa_kernarg_size 3408
		.amdhsa_user_sgpr_count 6
		.amdhsa_user_sgpr_private_segment_buffer 1
		.amdhsa_user_sgpr_dispatch_ptr 0
		.amdhsa_user_sgpr_queue_ptr 0
		.amdhsa_user_sgpr_kernarg_segment_ptr 1
		.amdhsa_user_sgpr_dispatch_id 0
		.amdhsa_user_sgpr_flat_scratch_init 0
		.amdhsa_user_sgpr_kernarg_preload_length 0
		.amdhsa_user_sgpr_kernarg_preload_offset 0
		.amdhsa_user_sgpr_private_segment_size 0
		.amdhsa_uses_dynamic_stack 0
		.amdhsa_system_sgpr_private_segment_wavefront_offset 0
		.amdhsa_system_sgpr_workgroup_id_x 1
		.amdhsa_system_sgpr_workgroup_id_y 0
		.amdhsa_system_sgpr_workgroup_id_z 0
		.amdhsa_system_sgpr_workgroup_info 0
		.amdhsa_system_vgpr_workitem_id 0
		.amdhsa_next_free_vgpr 47
		.amdhsa_next_free_sgpr 27
		.amdhsa_accum_offset 48
		.amdhsa_reserve_vcc 1
		.amdhsa_reserve_flat_scratch 0
		.amdhsa_float_round_mode_32 0
		.amdhsa_float_round_mode_16_64 0
		.amdhsa_float_denorm_mode_32 3
		.amdhsa_float_denorm_mode_16_64 3
		.amdhsa_dx10_clamp 1
		.amdhsa_ieee_mode 1
		.amdhsa_fp16_overflow 0
		.amdhsa_tg_split 0
		.amdhsa_exception_fp_ieee_invalid_op 0
		.amdhsa_exception_fp_denorm_src 0
		.amdhsa_exception_fp_ieee_div_zero 0
		.amdhsa_exception_fp_ieee_overflow 0
		.amdhsa_exception_fp_ieee_underflow 0
		.amdhsa_exception_fp_ieee_inexact 0
		.amdhsa_exception_int_div_zero 0
	.end_amdhsa_kernel
	.section	.text._ZN2at6native12_GLOBAL__N_125multi_tensor_apply_kernelINS1_18TensorListMetadataILi3EEENS1_24PointwiseOpScalarFunctorIaLi3ELi3ELi0EEEJSt7dividesIaEaEEEvT_T0_DpT1_,"axG",@progbits,_ZN2at6native12_GLOBAL__N_125multi_tensor_apply_kernelINS1_18TensorListMetadataILi3EEENS1_24PointwiseOpScalarFunctorIaLi3ELi3ELi0EEEJSt7dividesIaEaEEEvT_T0_DpT1_,comdat
.Lfunc_end67:
	.size	_ZN2at6native12_GLOBAL__N_125multi_tensor_apply_kernelINS1_18TensorListMetadataILi3EEENS1_24PointwiseOpScalarFunctorIaLi3ELi3ELi0EEEJSt7dividesIaEaEEEvT_T0_DpT1_, .Lfunc_end67-_ZN2at6native12_GLOBAL__N_125multi_tensor_apply_kernelINS1_18TensorListMetadataILi3EEENS1_24PointwiseOpScalarFunctorIaLi3ELi3ELi0EEEJSt7dividesIaEaEEEvT_T0_DpT1_
                                        ; -- End function
	.section	.AMDGPU.csdata,"",@progbits
; Kernel info:
; codeLenInByte = 2236
; NumSgprs: 31
; NumVgprs: 47
; NumAgprs: 0
; TotalNumVgprs: 47
; ScratchSize: 0
; MemoryBound: 0
; FloatMode: 240
; IeeeMode: 1
; LDSByteSize: 0 bytes/workgroup (compile time only)
; SGPRBlocks: 3
; VGPRBlocks: 5
; NumSGPRsForWavesPerEU: 31
; NumVGPRsForWavesPerEU: 47
; AccumOffset: 48
; Occupancy: 8
; WaveLimiterHint : 0
; COMPUTE_PGM_RSRC2:SCRATCH_EN: 0
; COMPUTE_PGM_RSRC2:USER_SGPR: 6
; COMPUTE_PGM_RSRC2:TRAP_HANDLER: 0
; COMPUTE_PGM_RSRC2:TGID_X_EN: 1
; COMPUTE_PGM_RSRC2:TGID_Y_EN: 0
; COMPUTE_PGM_RSRC2:TGID_Z_EN: 0
; COMPUTE_PGM_RSRC2:TIDIG_COMP_CNT: 0
; COMPUTE_PGM_RSRC3_GFX90A:ACCUM_OFFSET: 11
; COMPUTE_PGM_RSRC3_GFX90A:TG_SPLIT: 0
	.section	.text._ZN2at6native12_GLOBAL__N_125multi_tensor_apply_kernelINS1_18TensorListMetadataILi3EEENS1_24PointwiseOpScalarFunctorIiLi3ELi3ELi0EEEJSt7dividesIiEiEEEvT_T0_DpT1_,"axG",@progbits,_ZN2at6native12_GLOBAL__N_125multi_tensor_apply_kernelINS1_18TensorListMetadataILi3EEENS1_24PointwiseOpScalarFunctorIiLi3ELi3ELi0EEEJSt7dividesIiEiEEEvT_T0_DpT1_,comdat
	.globl	_ZN2at6native12_GLOBAL__N_125multi_tensor_apply_kernelINS1_18TensorListMetadataILi3EEENS1_24PointwiseOpScalarFunctorIiLi3ELi3ELi0EEEJSt7dividesIiEiEEEvT_T0_DpT1_ ; -- Begin function _ZN2at6native12_GLOBAL__N_125multi_tensor_apply_kernelINS1_18TensorListMetadataILi3EEENS1_24PointwiseOpScalarFunctorIiLi3ELi3ELi0EEEJSt7dividesIiEiEEEvT_T0_DpT1_
	.p2align	8
	.type	_ZN2at6native12_GLOBAL__N_125multi_tensor_apply_kernelINS1_18TensorListMetadataILi3EEENS1_24PointwiseOpScalarFunctorIiLi3ELi3ELi0EEEJSt7dividesIiEiEEEvT_T0_DpT1_,@function
_ZN2at6native12_GLOBAL__N_125multi_tensor_apply_kernelINS1_18TensorListMetadataILi3EEENS1_24PointwiseOpScalarFunctorIiLi3ELi3ELi0EEEJSt7dividesIiEiEEEvT_T0_DpT1_: ; @_ZN2at6native12_GLOBAL__N_125multi_tensor_apply_kernelINS1_18TensorListMetadataILi3EEENS1_24PointwiseOpScalarFunctorIiLi3ELi3ELi0EEEJSt7dividesIiEiEEEvT_T0_DpT1_
; %bb.0:
	v_mov_b32_e32 v1, s6
	global_load_ubyte v1, v1, s[4:5] offset:1536
	s_load_dword s26, s[4:5], 0xc4c
	s_add_u32 s0, s4, s6
	s_mul_hi_u32 s2, s6, 3
	s_mul_i32 s6, s6, 3
	s_addc_u32 s7, s5, 0
	s_add_u32 s6, s0, s6
	s_addc_u32 s7, s7, s2
	s_load_dword s6, s[6:7], 0x740
	s_mov_b32 s1, 0
	s_mov_b32 s3, s1
	s_waitcnt lgkmcnt(0)
	s_ashr_i32 s7, s6, 31
	s_lshl_b64 s[18:19], s[6:7], 18
	s_waitcnt vmcnt(0)
	v_readfirstlane_b32 s0, v1
	s_lshl_b32 s0, s0, 3
	s_load_dwordx2 s[16:17], s[4:5], s0 offset:0x0
	s_load_dwordx2 s[14:15], s[4:5], s0 offset:0x180
	;; [unrolled: 1-line block ×4, first 2 shown]
	s_waitcnt lgkmcnt(0)
	s_and_b32 s0, s16, 15
	s_add_u32 s2, s14, s18
	s_or_b32 s2, s10, s2
	s_and_b32 s2, s2, 15
	s_cmp_eq_u32 s2, 0
	s_cselect_b64 s[20:21], -1, 0
	s_lshl_b64 s[6:7], s[6:7], 16
	s_sub_u32 s12, s8, s6
	s_subb_u32 s13, s9, s7
	s_and_b32 s2, s8, 3
	s_or_b64 s[0:1], s[0:1], s[2:3]
	s_cmp_eq_u64 s[0:1], 0
	s_cselect_b64 s[0:1], -1, 0
	s_and_b64 s[2:3], s[20:21], s[0:1]
	s_mov_b64 s[0:1], -1
	s_and_b64 vcc, exec, s[2:3]
	s_cbranch_vccnz .LBB68_29
; %bb.1:
	v_cmp_lt_i64_e64 s[0:1], s[12:13], 1
	s_and_b64 vcc, exec, s[0:1]
	s_cbranch_vccnz .LBB68_28
; %bb.2:
	s_load_dword s0, s[4:5], 0xc5c
	v_mov_b32_e32 v2, 0x10000
	v_mov_b32_e32 v3, 0
	v_cmp_lt_u64_e32 vcc, s[12:13], v[2:3]
	v_lshlrev_b32_e32 v14, 2, v0
	s_waitcnt lgkmcnt(0)
	s_and_b32 s2, s0, 0xffff
	s_and_b64 s[0:1], vcc, exec
	v_mov_b32_e32 v19, s17
	v_add_co_u32_e32 v2, vcc, s16, v14
	v_addc_co_u32_e32 v1, vcc, 0, v19, vcc
	v_mov_b32_e32 v21, s15
	v_add_co_u32_e32 v4, vcc, s14, v14
	v_addc_co_u32_e32 v3, vcc, 0, v21, vcc
	v_mov_b32_e32 v15, 0
	v_mov_b32_e32 v23, s11
	v_add_co_u32_e32 v6, vcc, s10, v14
	v_addc_co_u32_e32 v5, vcc, 0, v23, vcc
	v_mad_u64_u32 v[12:13], s[0:1], s2, 12, v[14:15]
	v_add_co_u32_e32 v8, vcc, s16, v12
	v_addc_co_u32_e32 v7, vcc, v19, v13, vcc
	v_add_co_u32_e32 v10, vcc, s14, v12
	v_addc_co_u32_e32 v9, vcc, v21, v13, vcc
	v_add_co_u32_e32 v12, vcc, s10, v12
	s_mul_i32 s6, s2, 3
	v_addc_co_u32_e32 v11, vcc, v23, v13, vcc
	v_add_co_u32_e32 v25, vcc, s6, v0
	v_addc_co_u32_e64 v27, s[0:1], 0, 0, vcc
	s_cselect_b32 s21, s13, 0
	s_cselect_b32 s20, s12, 0x10000
	s_lshl_b32 s0, s2, 3
	v_add_co_u32_e32 v17, vcc, s0, v14
	v_addc_co_u32_e64 v20, s[0:1], 0, 0, vcc
	v_add_co_u32_e32 v14, vcc, s16, v17
	v_addc_co_u32_e32 v13, vcc, v19, v20, vcc
	v_add_co_u32_e32 v16, vcc, s14, v17
	v_addc_co_u32_e32 v15, vcc, v21, v20, vcc
	v_add_co_u32_e32 v18, vcc, s10, v17
	s_lshl_b32 s3, s2, 1
	v_addc_co_u32_e32 v17, vcc, v23, v20, vcc
	v_add_co_u32_e32 v29, vcc, s3, v0
	v_addc_co_u32_e64 v31, s[0:1], 0, 0, vcc
	v_add_co_u32_e32 v33, vcc, s2, v0
	v_lshlrev_b32_e32 v24, 2, v33
	v_addc_co_u32_e64 v34, s[0:1], 0, 0, vcc
	v_add_co_u32_e32 v20, vcc, s16, v24
	v_addc_co_u32_e32 v19, vcc, 0, v19, vcc
	v_add_co_u32_e32 v22, vcc, s14, v24
	v_addc_co_u32_e32 v21, vcc, 0, v21, vcc
	v_add_co_u32_e32 v24, vcc, s10, v24
	s_mov_b32 s27, 0
	s_lshl_b32 s28, s2, 2
	s_lshl_b32 s29, s2, 4
	v_addc_co_u32_e32 v23, vcc, 0, v23, vcc
	s_mov_b64 s[22:23], 0
	s_branch .LBB68_4
.LBB68_3:                               ;   in Loop: Header=BB68_4 Depth=1
	s_or_b64 exec, exec, s[0:1]
	s_add_u32 s22, s22, s28
	s_addc_u32 s23, s23, 0
	s_waitcnt vmcnt(0)
	v_pk_mov_b32 v[36:37], s[12:13], s[12:13] op_sel:[0,1]
	v_cmp_lt_i64_e32 vcc, s[22:23], v[36:37]
	v_mov_b32_e32 v36, 0x10000
	v_mov_b32_e32 v37, 0
	v_cmp_lt_u64_e64 s[0:1], s[22:23], v[36:37]
	s_and_b64 s[0:1], vcc, s[0:1]
	v_mov_b32_e32 v26, s27
	v_add_co_u32_e32 v2, vcc, s29, v2
	v_addc_co_u32_e32 v1, vcc, v1, v26, vcc
	v_add_co_u32_e32 v4, vcc, s29, v4
	v_addc_co_u32_e32 v3, vcc, v3, v26, vcc
	;; [unrolled: 2-line block ×12, first 2 shown]
	s_and_b64 vcc, exec, s[0:1]
	s_cbranch_vccz .LBB68_28
.LBB68_4:                               ; =>This Inner Loop Header: Depth=1
	v_mov_b32_e32 v26, s23
	v_add_co_u32_e32 v36, vcc, s22, v0
	v_addc_co_u32_e32 v37, vcc, 0, v26, vcc
	v_cmp_gt_u64_e32 vcc, s[20:21], v[36:37]
	v_mov_b32_e32 v32, 0
	v_mov_b32_e32 v35, 0
	s_and_saveexec_b64 s[2:3], vcc
	s_cbranch_execz .LBB68_6
; %bb.5:                                ;   in Loop: Header=BB68_4 Depth=1
	v_mov_b32_e32 v26, s19
	v_add_co_u32_e64 v36, s[0:1], s18, v2
	v_addc_co_u32_e64 v37, s[0:1], v1, v26, s[0:1]
	v_add_co_u32_e64 v38, s[0:1], s18, v4
	v_addc_co_u32_e64 v39, s[0:1], v3, v26, s[0:1]
	global_load_dword v32, v[36:37], off
	global_load_dword v35, v[38:39], off
.LBB68_6:                               ;   in Loop: Header=BB68_4 Depth=1
	s_or_b64 exec, exec, s[2:3]
	v_mov_b32_e32 v26, 0
	v_mov_b32_e32 v39, 0
	s_and_saveexec_b64 s[2:3], vcc
	s_cbranch_execz .LBB68_8
; %bb.7:                                ;   in Loop: Header=BB68_4 Depth=1
	v_mov_b32_e32 v28, s19
	v_add_co_u32_e64 v36, s[0:1], s18, v6
	v_addc_co_u32_e64 v37, s[0:1], v5, v28, s[0:1]
	global_load_dword v39, v[36:37], off
.LBB68_8:                               ;   in Loop: Header=BB68_4 Depth=1
	s_or_b64 exec, exec, s[2:3]
	v_mov_b32_e32 v28, s23
	v_add_co_u32_e64 v36, s[0:1], s22, v33
	v_addc_co_u32_e64 v37, s[0:1], v34, v28, s[0:1]
	v_cmp_gt_u64_e64 s[0:1], s[20:21], v[36:37]
	v_mov_b32_e32 v36, 0
	s_and_saveexec_b64 s[6:7], s[0:1]
	s_cbranch_execz .LBB68_10
; %bb.9:                                ;   in Loop: Header=BB68_4 Depth=1
	v_mov_b32_e32 v26, s19
	v_add_co_u32_e64 v40, s[2:3], s18, v20
	v_addc_co_u32_e64 v41, s[2:3], v19, v26, s[2:3]
	v_add_co_u32_e64 v42, s[2:3], s18, v22
	v_addc_co_u32_e64 v43, s[2:3], v21, v26, s[2:3]
	global_load_dword v26, v[40:41], off
	global_load_dword v36, v[42:43], off
.LBB68_10:                              ;   in Loop: Header=BB68_4 Depth=1
	s_or_b64 exec, exec, s[6:7]
	v_mov_b32_e32 v28, 0
	v_mov_b32_e32 v40, 0
	s_and_saveexec_b64 s[6:7], s[0:1]
	s_cbranch_execz .LBB68_12
; %bb.11:                               ;   in Loop: Header=BB68_4 Depth=1
	v_mov_b32_e32 v30, s19
	v_add_co_u32_e64 v40, s[2:3], s18, v24
	v_addc_co_u32_e64 v41, s[2:3], v23, v30, s[2:3]
	global_load_dword v40, v[40:41], off
.LBB68_12:                              ;   in Loop: Header=BB68_4 Depth=1
	s_or_b64 exec, exec, s[6:7]
	v_mov_b32_e32 v30, s23
	v_add_co_u32_e64 v42, s[2:3], s22, v29
	v_addc_co_u32_e64 v43, s[2:3], v31, v30, s[2:3]
	v_cmp_gt_u64_e64 s[2:3], s[20:21], v[42:43]
	v_mov_b32_e32 v37, 0
	s_and_saveexec_b64 s[8:9], s[2:3]
	s_cbranch_execz .LBB68_14
; %bb.13:                               ;   in Loop: Header=BB68_4 Depth=1
	v_mov_b32_e32 v28, s19
	v_add_co_u32_e64 v42, s[6:7], s18, v14
	v_addc_co_u32_e64 v43, s[6:7], v13, v28, s[6:7]
	v_add_co_u32_e64 v44, s[6:7], s18, v16
	v_addc_co_u32_e64 v45, s[6:7], v15, v28, s[6:7]
	global_load_dword v28, v[42:43], off
	global_load_dword v37, v[44:45], off
.LBB68_14:                              ;   in Loop: Header=BB68_4 Depth=1
	s_or_b64 exec, exec, s[8:9]
	v_mov_b32_e32 v30, 0
	v_mov_b32_e32 v41, 0
	s_and_saveexec_b64 s[8:9], s[2:3]
	s_cbranch_execz .LBB68_16
; %bb.15:                               ;   in Loop: Header=BB68_4 Depth=1
	v_mov_b32_e32 v38, s19
	v_add_co_u32_e64 v42, s[6:7], s18, v18
	v_addc_co_u32_e64 v43, s[6:7], v17, v38, s[6:7]
	global_load_dword v41, v[42:43], off
.LBB68_16:                              ;   in Loop: Header=BB68_4 Depth=1
	s_or_b64 exec, exec, s[8:9]
	v_mov_b32_e32 v38, s23
	v_add_co_u32_e64 v42, s[6:7], s22, v25
	v_addc_co_u32_e64 v43, s[6:7], v27, v38, s[6:7]
	v_cmp_gt_u64_e64 s[6:7], s[20:21], v[42:43]
	v_mov_b32_e32 v38, 0
	s_and_saveexec_b64 s[24:25], s[6:7]
	s_cbranch_execnz .LBB68_22
; %bb.17:                               ;   in Loop: Header=BB68_4 Depth=1
	s_or_b64 exec, exec, s[24:25]
	v_mov_b32_e32 v42, 0
	s_and_saveexec_b64 s[24:25], s[6:7]
	s_cbranch_execnz .LBB68_23
.LBB68_18:                              ;   in Loop: Header=BB68_4 Depth=1
	s_or_b64 exec, exec, s[24:25]
	s_and_saveexec_b64 s[8:9], vcc
	s_cbranch_execnz .LBB68_24
.LBB68_19:                              ;   in Loop: Header=BB68_4 Depth=1
	s_or_b64 exec, exec, s[8:9]
	s_and_saveexec_b64 s[8:9], s[0:1]
	s_cbranch_execnz .LBB68_25
.LBB68_20:                              ;   in Loop: Header=BB68_4 Depth=1
	s_or_b64 exec, exec, s[8:9]
	s_and_saveexec_b64 s[0:1], s[2:3]
	s_cbranch_execnz .LBB68_26
.LBB68_21:                              ;   in Loop: Header=BB68_4 Depth=1
	s_or_b64 exec, exec, s[0:1]
	s_and_saveexec_b64 s[0:1], s[6:7]
	s_cbranch_execz .LBB68_3
	s_branch .LBB68_27
.LBB68_22:                              ;   in Loop: Header=BB68_4 Depth=1
	v_mov_b32_e32 v30, s19
	v_add_co_u32_e64 v42, s[8:9], s18, v8
	v_addc_co_u32_e64 v43, s[8:9], v7, v30, s[8:9]
	v_add_co_u32_e64 v44, s[8:9], s18, v10
	v_addc_co_u32_e64 v45, s[8:9], v9, v30, s[8:9]
	global_load_dword v30, v[42:43], off
	global_load_dword v38, v[44:45], off
	s_or_b64 exec, exec, s[24:25]
	v_mov_b32_e32 v42, 0
	s_and_saveexec_b64 s[24:25], s[6:7]
	s_cbranch_execz .LBB68_18
.LBB68_23:                              ;   in Loop: Header=BB68_4 Depth=1
	v_mov_b32_e32 v43, s19
	v_add_co_u32_e64 v42, s[8:9], s18, v12
	v_addc_co_u32_e64 v43, s[8:9], v11, v43, s[8:9]
	global_load_dword v42, v[42:43], off
	s_or_b64 exec, exec, s[24:25]
	s_and_saveexec_b64 s[8:9], vcc
	s_cbranch_execz .LBB68_19
.LBB68_24:                              ;   in Loop: Header=BB68_4 Depth=1
	s_waitcnt vmcnt(0)
	v_sub_u32_e32 v43, 0, v39
	v_max_i32_e32 v43, v39, v43
	v_cvt_f32_u32_e32 v44, v43
	v_sub_u32_e32 v47, 0, v35
	v_xor_b32_e32 v39, v35, v39
	v_max_i32_e32 v35, v35, v47
	v_rcp_iflag_f32_e32 v46, v44
	v_sub_u32_e32 v47, 0, v43
	v_mov_b32_e32 v45, s19
	v_add_co_u32_e32 v44, vcc, s18, v2
	v_mul_f32_e32 v46, 0x4f7ffffe, v46
	v_cvt_u32_f32_e32 v46, v46
	v_addc_co_u32_e32 v45, vcc, v1, v45, vcc
	v_ashrrev_i32_e32 v39, 31, v39
	v_mul_lo_u32 v47, v47, v46
	v_mul_hi_u32 v47, v46, v47
	v_add_u32_e32 v46, v46, v47
	v_mul_hi_u32 v46, v35, v46
	v_mul_lo_u32 v47, v46, v43
	v_sub_u32_e32 v35, v35, v47
	v_add_u32_e32 v47, 1, v46
	v_cmp_ge_u32_e32 vcc, v35, v43
	v_cndmask_b32_e32 v46, v46, v47, vcc
	v_sub_u32_e32 v47, v35, v43
	v_cndmask_b32_e32 v35, v35, v47, vcc
	v_add_u32_e32 v47, 1, v46
	v_cmp_ge_u32_e32 vcc, v35, v43
	v_cndmask_b32_e32 v35, v46, v47, vcc
	v_xor_b32_e32 v35, v35, v39
	v_sub_u32_e32 v35, v35, v39
	v_mad_u64_u32 v[46:47], s[24:25], v35, s26, v[32:33]
	global_store_dword v[44:45], v46, off
	s_or_b64 exec, exec, s[8:9]
	s_and_saveexec_b64 s[8:9], s[0:1]
	s_cbranch_execz .LBB68_20
.LBB68_25:                              ;   in Loop: Header=BB68_4 Depth=1
	s_waitcnt vmcnt(0)
	v_sub_u32_e32 v32, 0, v40
	v_max_i32_e32 v32, v40, v32
	v_cvt_f32_u32_e32 v35, v32
	v_xor_b32_e32 v39, v36, v40
	v_sub_u32_e32 v40, 0, v36
	v_max_i32_e32 v36, v36, v40
	v_rcp_iflag_f32_e32 v35, v35
	v_sub_u32_e32 v40, 0, v32
	v_ashrrev_i32_e32 v39, 31, v39
	v_mul_f32_e32 v35, 0x4f7ffffe, v35
	v_cvt_u32_f32_e32 v35, v35
	v_mul_lo_u32 v40, v40, v35
	v_mul_hi_u32 v40, v35, v40
	v_add_u32_e32 v35, v35, v40
	v_mul_hi_u32 v35, v36, v35
	v_mul_lo_u32 v40, v35, v32
	v_sub_u32_e32 v36, v36, v40
	v_add_u32_e32 v43, 1, v35
	v_cmp_ge_u32_e32 vcc, v36, v32
	v_sub_u32_e32 v40, v36, v32
	v_cndmask_b32_e32 v35, v35, v43, vcc
	v_cndmask_b32_e32 v36, v36, v40, vcc
	v_add_u32_e32 v40, 1, v35
	v_cmp_ge_u32_e32 vcc, v36, v32
	v_cndmask_b32_e32 v32, v35, v40, vcc
	v_xor_b32_e32 v32, v32, v39
	v_sub_u32_e32 v32, v32, v39
	v_mad_u64_u32 v[44:45], s[0:1], v32, s26, v[26:27]
	v_mov_b32_e32 v26, s19
	v_add_co_u32_e32 v46, vcc, s18, v20
	v_addc_co_u32_e32 v47, vcc, v19, v26, vcc
	global_store_dword v[46:47], v44, off
	s_or_b64 exec, exec, s[8:9]
	s_and_saveexec_b64 s[0:1], s[2:3]
	s_cbranch_execz .LBB68_21
.LBB68_26:                              ;   in Loop: Header=BB68_4 Depth=1
	s_waitcnt vmcnt(0)
	v_sub_u32_e32 v26, 0, v41
	v_max_i32_e32 v26, v41, v26
	v_cvt_f32_u32_e32 v32, v26
	v_sub_u32_e32 v36, 0, v37
	v_xor_b32_e32 v35, v37, v41
	v_max_i32_e32 v36, v37, v36
	v_rcp_iflag_f32_e32 v32, v32
	v_sub_u32_e32 v37, 0, v26
	v_ashrrev_i32_e32 v35, 31, v35
	v_mul_f32_e32 v32, 0x4f7ffffe, v32
	v_cvt_u32_f32_e32 v32, v32
	v_mul_lo_u32 v37, v37, v32
	v_mul_hi_u32 v37, v32, v37
	v_add_u32_e32 v32, v32, v37
	v_mul_hi_u32 v32, v36, v32
	v_mul_lo_u32 v37, v32, v26
	v_sub_u32_e32 v36, v36, v37
	v_add_u32_e32 v39, 1, v32
	v_cmp_ge_u32_e32 vcc, v36, v26
	v_sub_u32_e32 v37, v36, v26
	v_cndmask_b32_e32 v32, v32, v39, vcc
	v_cndmask_b32_e32 v36, v36, v37, vcc
	v_add_u32_e32 v37, 1, v32
	v_cmp_ge_u32_e32 vcc, v36, v26
	v_cndmask_b32_e32 v26, v32, v37, vcc
	v_xor_b32_e32 v26, v26, v35
	v_sub_u32_e32 v26, v26, v35
	v_mad_u64_u32 v[36:37], s[2:3], v26, s26, v[28:29]
	v_mov_b32_e32 v26, s19
	v_add_co_u32_e32 v40, vcc, s18, v14
	v_addc_co_u32_e32 v41, vcc, v13, v26, vcc
	global_store_dword v[40:41], v36, off
	s_or_b64 exec, exec, s[0:1]
	s_and_saveexec_b64 s[0:1], s[6:7]
	s_cbranch_execz .LBB68_3
.LBB68_27:                              ;   in Loop: Header=BB68_4 Depth=1
	s_waitcnt vmcnt(0)
	v_sub_u32_e32 v26, 0, v42
	v_max_i32_e32 v26, v42, v26
	v_cvt_f32_u32_e32 v28, v26
	v_sub_u32_e32 v36, 0, v26
	v_sub_u32_e32 v35, 0, v38
	v_max_i32_e32 v35, v38, v35
	v_rcp_iflag_f32_e32 v28, v28
	v_xor_b32_e32 v32, v38, v42
	v_ashrrev_i32_e32 v32, 31, v32
	v_mul_f32_e32 v28, 0x4f7ffffe, v28
	v_cvt_u32_f32_e32 v28, v28
	v_mul_lo_u32 v36, v36, v28
	v_mul_hi_u32 v36, v28, v36
	v_add_u32_e32 v28, v28, v36
	v_mul_hi_u32 v28, v35, v28
	v_mul_lo_u32 v36, v28, v26
	v_sub_u32_e32 v35, v35, v36
	v_add_u32_e32 v37, 1, v28
	v_cmp_ge_u32_e32 vcc, v35, v26
	v_sub_u32_e32 v36, v35, v26
	v_cndmask_b32_e32 v28, v28, v37, vcc
	v_cndmask_b32_e32 v35, v35, v36, vcc
	v_add_u32_e32 v36, 1, v28
	v_cmp_ge_u32_e32 vcc, v35, v26
	v_cndmask_b32_e32 v26, v28, v36, vcc
	v_xor_b32_e32 v26, v26, v32
	v_sub_u32_e32 v26, v26, v32
	v_mad_u64_u32 v[36:37], s[2:3], v26, s26, v[30:31]
	v_mov_b32_e32 v26, s19
	v_add_co_u32_e32 v38, vcc, s18, v8
	v_addc_co_u32_e32 v39, vcc, v7, v26, vcc
	global_store_dword v[38:39], v36, off
	s_branch .LBB68_3
.LBB68_28:
	s_mov_b64 s[0:1], 0
.LBB68_29:
	s_andn2_b64 vcc, exec, s[0:1]
	s_cbranch_vccnz .LBB68_33
; %bb.30:
	v_mov_b32_e32 v3, 0
	v_lshlrev_b32_e32 v2, 2, v0
	s_mov_b32 s0, 0
	v_cmp_gt_i64_e32 vcc, s[12:13], v[2:3]
	s_and_saveexec_b64 s[2:3], vcc
	s_cbranch_execz .LBB68_33
; %bb.31:
	s_load_dword s1, s[4:5], 0xc5c
	v_mov_b32_e32 v4, s19
	v_lshlrev_b32_e32 v1, 4, v0
	s_mov_b32 s20, s26
	s_mov_b64 s[6:7], 0
	s_waitcnt lgkmcnt(0)
	s_and_b32 s1, s1, 0xffff
	s_lshl_b32 s19, s1, 2
	s_add_u32 s16, s16, 8
	s_addc_u32 s2, s17, 0
	s_lshl_b32 s17, s1, 4
	s_add_u32 s14, s14, 8
	v_add_lshl_u32 v2, v0, s1, 2
	v_add_co_u32_e32 v0, vcc, s18, v1
	s_addc_u32 s3, s15, 0
	v_addc_co_u32_e32 v1, vcc, 0, v4, vcc
	v_mov_b32_e32 v6, s2
	v_mov_b32_e32 v7, s3
	;; [unrolled: 1-line block ×3, first 2 shown]
	s_mov_b64 s[8:9], 0xffff
	v_mov_b32_e32 v9, s0
	v_mov_b32_e32 v10, s0
.LBB68_32:                              ; =>This Inner Loop Header: Depth=1
	v_add_co_u32_e32 v4, vcc, s16, v0
	v_addc_co_u32_e32 v5, vcc, v6, v1, vcc
	v_add_co_u32_e32 v24, vcc, s14, v0
	v_addc_co_u32_e32 v25, vcc, v7, v1, vcc
	;; [unrolled: 2-line block ×3, first 2 shown]
	global_load_dwordx4 v[12:15], v[24:25], off offset:-8
	global_load_dwordx4 v[16:19], v[26:27], off
	global_load_dwordx4 v[20:23], v[4:5], off offset:-8
	v_cmp_le_i64_e32 vcc, s[12:13], v[2:3]
	v_cmp_lt_u64_e64 s[0:1], s[8:9], v[2:3]
	v_add_co_u32_e64 v2, s[2:3], s19, v2
	v_addc_co_u32_e64 v3, s[2:3], v3, v9, s[2:3]
	s_or_b64 s[0:1], vcc, s[0:1]
	v_add_co_u32_e64 v0, s[2:3], s17, v0
	s_and_b64 s[0:1], exec, s[0:1]
	v_addc_co_u32_e64 v1, s[2:3], v1, v10, s[2:3]
	s_or_b64 s[6:7], s[0:1], s[6:7]
	s_waitcnt vmcnt(2)
	v_sub_u32_e32 v29, 0, v13
	s_waitcnt vmcnt(1)
	v_sub_u32_e32 v27, 0, v16
	v_xor_b32_e32 v11, v12, v16
	v_sub_u32_e32 v30, 0, v17
	v_max_i32_e32 v16, v16, v27
	v_xor_b32_e32 v28, v13, v17
	v_xor_b32_e32 v31, v14, v18
	v_sub_u32_e32 v33, 0, v18
	v_max_i32_e32 v13, v13, v29
	v_max_i32_e32 v17, v17, v30
	v_cvt_f32_u32_e32 v29, v16
	v_sub_u32_e32 v36, 0, v19
	v_ashrrev_i32_e32 v27, 31, v31
	v_max_i32_e32 v18, v18, v33
	v_cvt_f32_u32_e32 v31, v17
	v_xor_b32_e32 v34, v15, v19
	v_sub_u32_e32 v35, 0, v15
	v_max_i32_e32 v19, v19, v36
	v_cvt_f32_u32_e32 v33, v18
	v_max_i32_e32 v15, v15, v35
	v_cvt_f32_u32_e32 v35, v19
	v_rcp_iflag_f32_e32 v29, v29
	v_rcp_iflag_f32_e32 v31, v31
	;; [unrolled: 1-line block ×4, first 2 shown]
	v_mul_f32_e32 v29, 0x4f7ffffe, v29
	v_mul_f32_e32 v31, 0x4f7ffffe, v31
	v_cvt_u32_f32_e32 v29, v29
	v_mul_f32_e32 v33, 0x4f7ffffe, v33
	v_cvt_u32_f32_e32 v31, v31
	;; [unrolled: 2-line block ×3, first 2 shown]
	v_sub_u32_e32 v32, 0, v14
	v_sub_u32_e32 v30, 0, v16
	v_cvt_u32_f32_e32 v35, v35
	v_sub_u32_e32 v25, 0, v12
	v_max_i32_e32 v14, v14, v32
	v_sub_u32_e32 v32, 0, v17
	v_mul_lo_u32 v30, v30, v29
	v_max_i32_e32 v12, v12, v25
	v_ashrrev_i32_e32 v25, 31, v28
	v_ashrrev_i32_e32 v28, 31, v34
	v_sub_u32_e32 v34, 0, v18
	v_mul_lo_u32 v32, v32, v31
	v_mul_hi_u32 v30, v29, v30
	v_sub_u32_e32 v36, 0, v19
	v_mul_lo_u32 v34, v34, v33
	v_mul_hi_u32 v32, v31, v32
	v_add_u32_e32 v29, v29, v30
	v_mul_lo_u32 v36, v36, v35
	v_mul_hi_u32 v34, v33, v34
	v_add_u32_e32 v30, v31, v32
	v_mul_hi_u32 v29, v12, v29
	v_mul_hi_u32 v36, v35, v36
	v_add_u32_e32 v31, v33, v34
	v_mul_hi_u32 v30, v13, v30
	v_mul_lo_u32 v33, v29, v16
	v_add_u32_e32 v32, v35, v36
	v_mul_hi_u32 v31, v14, v31
	v_mul_lo_u32 v35, v30, v17
	v_sub_u32_e32 v12, v12, v33
	v_mul_hi_u32 v32, v15, v32
	v_add_u32_e32 v34, 1, v29
	v_mul_lo_u32 v37, v31, v18
	v_sub_u32_e32 v13, v13, v35
	v_cmp_ge_u32_e32 vcc, v12, v16
	v_sub_u32_e32 v33, v12, v16
	v_add_u32_e32 v36, 1, v30
	v_mul_lo_u32 v39, v32, v19
	v_sub_u32_e32 v14, v14, v37
	v_cndmask_b32_e32 v29, v29, v34, vcc
	v_cmp_ge_u32_e64 s[0:1], v13, v17
	v_sub_u32_e32 v34, v13, v17
	v_cndmask_b32_e32 v12, v12, v33, vcc
	v_add_u32_e32 v38, 1, v31
	v_sub_u32_e32 v15, v15, v39
	v_cndmask_b32_e64 v30, v30, v36, s[0:1]
	v_cmp_ge_u32_e64 s[2:3], v14, v18
	v_sub_u32_e32 v35, v14, v18
	v_add_u32_e32 v33, 1, v29
	v_cndmask_b32_e64 v13, v13, v34, s[0:1]
	v_cmp_ge_u32_e32 vcc, v12, v16
	v_add_u32_e32 v40, 1, v32
	v_cndmask_b32_e64 v31, v31, v38, s[2:3]
	v_cmp_ge_u32_e64 s[4:5], v15, v19
	v_sub_u32_e32 v36, v15, v19
	v_add_u32_e32 v34, 1, v30
	v_cndmask_b32_e64 v14, v14, v35, s[2:3]
	v_cndmask_b32_e32 v12, v29, v33, vcc
	v_cmp_ge_u32_e32 vcc, v13, v17
	v_cndmask_b32_e64 v32, v32, v40, s[4:5]
	v_add_u32_e32 v35, 1, v31
	v_cndmask_b32_e64 v15, v15, v36, s[4:5]
	v_cndmask_b32_e32 v13, v30, v34, vcc
	v_cmp_ge_u32_e32 vcc, v14, v18
	v_add_u32_e32 v36, 1, v32
	v_cndmask_b32_e32 v14, v31, v35, vcc
	v_cmp_ge_u32_e32 vcc, v15, v19
	v_ashrrev_i32_e32 v11, 31, v11
	v_cndmask_b32_e32 v15, v32, v36, vcc
	v_xor_b32_e32 v12, v12, v11
	v_xor_b32_e32 v13, v13, v25
	v_xor_b32_e32 v14, v14, v27
	v_xor_b32_e32 v15, v15, v28
	s_waitcnt vmcnt(0)
	v_mov_b32_e32 v24, v21
	v_mov_b32_e32 v26, v23
	v_sub_u32_e32 v11, v12, v11
	v_sub_u32_e32 v12, v13, v25
	;; [unrolled: 1-line block ×4, first 2 shown]
	v_mad_u64_u32 v[16:17], s[0:1], v12, s20, v[24:25]
	v_mad_u64_u32 v[12:13], s[0:1], v11, s26, v[20:21]
	;; [unrolled: 1-line block ×4, first 2 shown]
	v_mov_b32_e32 v13, v16
	v_mov_b32_e32 v15, v18
	global_store_dwordx4 v[4:5], v[12:15], off offset:-8
	s_andn2_b64 exec, exec, s[6:7]
	s_cbranch_execnz .LBB68_32
.LBB68_33:
	s_endpgm
	.section	.rodata,"a",@progbits
	.p2align	6, 0x0
	.amdhsa_kernel _ZN2at6native12_GLOBAL__N_125multi_tensor_apply_kernelINS1_18TensorListMetadataILi3EEENS1_24PointwiseOpScalarFunctorIiLi3ELi3ELi0EEEJSt7dividesIiEiEEEvT_T0_DpT1_
		.amdhsa_group_segment_fixed_size 0
		.amdhsa_private_segment_fixed_size 0
		.amdhsa_kernarg_size 3408
		.amdhsa_user_sgpr_count 6
		.amdhsa_user_sgpr_private_segment_buffer 1
		.amdhsa_user_sgpr_dispatch_ptr 0
		.amdhsa_user_sgpr_queue_ptr 0
		.amdhsa_user_sgpr_kernarg_segment_ptr 1
		.amdhsa_user_sgpr_dispatch_id 0
		.amdhsa_user_sgpr_flat_scratch_init 0
		.amdhsa_user_sgpr_kernarg_preload_length 0
		.amdhsa_user_sgpr_kernarg_preload_offset 0
		.amdhsa_user_sgpr_private_segment_size 0
		.amdhsa_uses_dynamic_stack 0
		.amdhsa_system_sgpr_private_segment_wavefront_offset 0
		.amdhsa_system_sgpr_workgroup_id_x 1
		.amdhsa_system_sgpr_workgroup_id_y 0
		.amdhsa_system_sgpr_workgroup_id_z 0
		.amdhsa_system_sgpr_workgroup_info 0
		.amdhsa_system_vgpr_workitem_id 0
		.amdhsa_next_free_vgpr 48
		.amdhsa_next_free_sgpr 30
		.amdhsa_accum_offset 48
		.amdhsa_reserve_vcc 1
		.amdhsa_reserve_flat_scratch 0
		.amdhsa_float_round_mode_32 0
		.amdhsa_float_round_mode_16_64 0
		.amdhsa_float_denorm_mode_32 3
		.amdhsa_float_denorm_mode_16_64 3
		.amdhsa_dx10_clamp 1
		.amdhsa_ieee_mode 1
		.amdhsa_fp16_overflow 0
		.amdhsa_tg_split 0
		.amdhsa_exception_fp_ieee_invalid_op 0
		.amdhsa_exception_fp_denorm_src 0
		.amdhsa_exception_fp_ieee_div_zero 0
		.amdhsa_exception_fp_ieee_overflow 0
		.amdhsa_exception_fp_ieee_underflow 0
		.amdhsa_exception_fp_ieee_inexact 0
		.amdhsa_exception_int_div_zero 0
	.end_amdhsa_kernel
	.section	.text._ZN2at6native12_GLOBAL__N_125multi_tensor_apply_kernelINS1_18TensorListMetadataILi3EEENS1_24PointwiseOpScalarFunctorIiLi3ELi3ELi0EEEJSt7dividesIiEiEEEvT_T0_DpT1_,"axG",@progbits,_ZN2at6native12_GLOBAL__N_125multi_tensor_apply_kernelINS1_18TensorListMetadataILi3EEENS1_24PointwiseOpScalarFunctorIiLi3ELi3ELi0EEEJSt7dividesIiEiEEEvT_T0_DpT1_,comdat
.Lfunc_end68:
	.size	_ZN2at6native12_GLOBAL__N_125multi_tensor_apply_kernelINS1_18TensorListMetadataILi3EEENS1_24PointwiseOpScalarFunctorIiLi3ELi3ELi0EEEJSt7dividesIiEiEEEvT_T0_DpT1_, .Lfunc_end68-_ZN2at6native12_GLOBAL__N_125multi_tensor_apply_kernelINS1_18TensorListMetadataILi3EEENS1_24PointwiseOpScalarFunctorIiLi3ELi3ELi0EEEJSt7dividesIiEiEEEvT_T0_DpT1_
                                        ; -- End function
	.section	.AMDGPU.csdata,"",@progbits
; Kernel info:
; codeLenInByte = 2816
; NumSgprs: 34
; NumVgprs: 48
; NumAgprs: 0
; TotalNumVgprs: 48
; ScratchSize: 0
; MemoryBound: 0
; FloatMode: 240
; IeeeMode: 1
; LDSByteSize: 0 bytes/workgroup (compile time only)
; SGPRBlocks: 4
; VGPRBlocks: 5
; NumSGPRsForWavesPerEU: 34
; NumVGPRsForWavesPerEU: 48
; AccumOffset: 48
; Occupancy: 8
; WaveLimiterHint : 0
; COMPUTE_PGM_RSRC2:SCRATCH_EN: 0
; COMPUTE_PGM_RSRC2:USER_SGPR: 6
; COMPUTE_PGM_RSRC2:TRAP_HANDLER: 0
; COMPUTE_PGM_RSRC2:TGID_X_EN: 1
; COMPUTE_PGM_RSRC2:TGID_Y_EN: 0
; COMPUTE_PGM_RSRC2:TGID_Z_EN: 0
; COMPUTE_PGM_RSRC2:TIDIG_COMP_CNT: 0
; COMPUTE_PGM_RSRC3_GFX90A:ACCUM_OFFSET: 11
; COMPUTE_PGM_RSRC3_GFX90A:TG_SPLIT: 0
	.section	.text._ZN2at6native12_GLOBAL__N_125multi_tensor_apply_kernelINS1_18TensorListMetadataILi3EEENS1_24PointwiseOpScalarFunctorIlLi3ELi3ELi0EEEJSt7dividesIlElEEEvT_T0_DpT1_,"axG",@progbits,_ZN2at6native12_GLOBAL__N_125multi_tensor_apply_kernelINS1_18TensorListMetadataILi3EEENS1_24PointwiseOpScalarFunctorIlLi3ELi3ELi0EEEJSt7dividesIlElEEEvT_T0_DpT1_,comdat
	.globl	_ZN2at6native12_GLOBAL__N_125multi_tensor_apply_kernelINS1_18TensorListMetadataILi3EEENS1_24PointwiseOpScalarFunctorIlLi3ELi3ELi0EEEJSt7dividesIlElEEEvT_T0_DpT1_ ; -- Begin function _ZN2at6native12_GLOBAL__N_125multi_tensor_apply_kernelINS1_18TensorListMetadataILi3EEENS1_24PointwiseOpScalarFunctorIlLi3ELi3ELi0EEEJSt7dividesIlElEEEvT_T0_DpT1_
	.p2align	8
	.type	_ZN2at6native12_GLOBAL__N_125multi_tensor_apply_kernelINS1_18TensorListMetadataILi3EEENS1_24PointwiseOpScalarFunctorIlLi3ELi3ELi0EEEJSt7dividesIlElEEEvT_T0_DpT1_,@function
_ZN2at6native12_GLOBAL__N_125multi_tensor_apply_kernelINS1_18TensorListMetadataILi3EEENS1_24PointwiseOpScalarFunctorIlLi3ELi3ELi0EEEJSt7dividesIlElEEEvT_T0_DpT1_: ; @_ZN2at6native12_GLOBAL__N_125multi_tensor_apply_kernelINS1_18TensorListMetadataILi3EEENS1_24PointwiseOpScalarFunctorIlLi3ELi3ELi0EEEJSt7dividesIlElEEEvT_T0_DpT1_
; %bb.0:
	v_mov_b32_e32 v1, s6
	global_load_ubyte v1, v1, s[4:5] offset:1536
	s_add_u32 s0, s4, s6
	s_mul_hi_u32 s1, s6, 3
	s_mul_i32 s6, s6, 3
	s_addc_u32 s2, s5, 0
	s_add_u32 s0, s0, s6
	s_addc_u32 s1, s2, s1
	s_load_dword s8, s[0:1], 0x740
	s_load_dwordx2 s[12:13], s[4:5], 0xc50
	s_mov_b32 s11, 0
	s_mov_b32 s19, s11
	s_waitcnt lgkmcnt(0)
	s_ashr_i32 s9, s8, 31
	s_lshl_b64 s[16:17], s[8:9], 19
	s_waitcnt vmcnt(0)
	v_readfirstlane_b32 s0, v1
	s_lshl_b32 s10, s0, 3
	s_load_dwordx2 s[6:7], s[4:5], s10 offset:0x0
	s_load_dwordx2 s[2:3], s[4:5], s10 offset:0x180
	;; [unrolled: 1-line block ×4, first 2 shown]
	s_waitcnt lgkmcnt(0)
	s_add_u32 s24, s6, s16
	s_addc_u32 s25, s7, s17
	s_and_b32 s10, s24, 31
	s_add_u32 s26, s2, s16
	s_addc_u32 s27, s3, s17
	s_add_u32 s28, s0, s16
	s_addc_u32 s29, s1, s17
	s_or_b32 s14, s28, s26
	s_and_b32 s14, s14, 31
	s_cmp_eq_u32 s14, 0
	s_cselect_b64 s[22:23], -1, 0
	s_lshl_b64 s[8:9], s[8:9], 16
	s_sub_u32 s14, s20, s8
	s_subb_u32 s15, s21, s9
	s_and_b32 s18, s20, 3
	s_or_b64 s[8:9], s[10:11], s[18:19]
	s_cmp_eq_u64 s[8:9], 0
	s_cselect_b64 s[8:9], -1, 0
	s_and_b64 s[10:11], s[22:23], s[8:9]
	s_mov_b64 s[8:9], -1
	s_and_b64 vcc, exec, s[10:11]
	s_cbranch_vccnz .LBB69_45
; %bb.1:
	v_cmp_lt_i64_e64 s[8:9], s[14:15], 1
	s_and_b64 vcc, exec, s[8:9]
	s_cbranch_vccnz .LBB69_44
; %bb.2:
	s_load_dword s8, s[4:5], 0xc64
	v_mov_b32_e32 v4, 0x10000
	v_mov_b32_e32 v5, 0
	v_cmp_lt_u64_e32 vcc, s[14:15], v[4:5]
	v_lshlrev_b32_e32 v16, 3, v0
	s_waitcnt lgkmcnt(0)
	s_and_b32 s10, s8, 0xffff
	s_and_b64 s[8:9], vcc, exec
	v_mov_b32_e32 v3, s7
	v_add_co_u32_e32 v4, vcc, s6, v16
	v_addc_co_u32_e32 v1, vcc, 0, v3, vcc
	v_mov_b32_e32 v23, s3
	v_add_co_u32_e32 v6, vcc, s2, v16
	v_mov_b32_e32 v2, 0
	v_addc_co_u32_e32 v5, vcc, 0, v23, vcc
	v_mov_b32_e32 v17, v2
	v_mov_b32_e32 v25, s1
	v_add_co_u32_e32 v8, vcc, s0, v16
	v_addc_co_u32_e32 v7, vcc, 0, v25, vcc
	v_mad_u64_u32 v[14:15], s[8:9], s10, 24, v[16:17]
	v_add_co_u32_e32 v10, vcc, s6, v14
	v_addc_co_u32_e32 v9, vcc, v3, v15, vcc
	v_add_co_u32_e32 v12, vcc, s2, v14
	v_addc_co_u32_e32 v11, vcc, v23, v15, vcc
	v_add_co_u32_e32 v14, vcc, s0, v14
	s_mul_i32 s20, s10, 3
	v_addc_co_u32_e32 v13, vcc, v25, v15, vcc
	s_cselect_b32 s19, s15, 0
	s_cselect_b32 s18, s14, 0x10000
	v_add_co_u32_e32 v27, vcc, s20, v0
	s_lshl_b32 s1, s10, 4
	v_addc_co_u32_e64 v54, s[8:9], 0, 0, vcc
	v_add_co_u32_e32 v19, vcc, s1, v16
	v_addc_co_u32_e64 v21, s[8:9], 0, 0, vcc
	v_add_co_u32_e32 v16, vcc, s6, v19
	v_addc_co_u32_e32 v15, vcc, v3, v21, vcc
	v_add_co_u32_e32 v18, vcc, s2, v19
	v_addc_co_u32_e32 v17, vcc, v23, v21, vcc
	v_add_co_u32_e32 v20, vcc, s0, v19
	s_lshl_b32 s11, s10, 1
	v_addc_co_u32_e32 v19, vcc, v25, v21, vcc
	v_add_co_u32_e32 v55, vcc, s11, v0
	v_addc_co_u32_e64 v56, s[8:9], 0, 0, vcc
	v_add_co_u32_e32 v57, vcc, s10, v0
	v_lshlrev_b32_e32 v26, 3, v57
	v_addc_co_u32_e64 v58, s[8:9], 0, 0, vcc
	v_add_co_u32_e32 v22, vcc, s6, v26
	v_addc_co_u32_e32 v21, vcc, 0, v3, vcc
	v_add_co_u32_e32 v24, vcc, s2, v26
	v_addc_co_u32_e32 v23, vcc, 0, v23, vcc
	v_add_co_u32_e32 v26, vcc, s0, v26
	s_mov_b32 s30, 0
	s_lshl_b32 s31, s10, 2
	s_lshl_b32 s33, s10, 5
	v_addc_co_u32_e32 v25, vcc, 0, v25, vcc
	s_mov_b64 s[20:21], 0
	s_branch .LBB69_4
.LBB69_3:                               ;   in Loop: Header=BB69_4 Depth=1
	s_or_b64 exec, exec, s[0:1]
	s_add_u32 s20, s20, s31
	s_addc_u32 s21, s21, 0
	v_pk_mov_b32 v[28:29], s[14:15], s[14:15] op_sel:[0,1]
	v_cmp_lt_i64_e32 vcc, s[20:21], v[28:29]
	v_mov_b32_e32 v28, 0x10000
	v_mov_b32_e32 v29, 0
	v_cmp_lt_u64_e64 s[0:1], s[20:21], v[28:29]
	s_and_b64 s[0:1], vcc, s[0:1]
	v_mov_b32_e32 v3, s30
	v_add_co_u32_e32 v4, vcc, s33, v4
	v_addc_co_u32_e32 v1, vcc, v1, v3, vcc
	v_add_co_u32_e32 v6, vcc, s33, v6
	v_addc_co_u32_e32 v5, vcc, v5, v3, vcc
	;; [unrolled: 2-line block ×12, first 2 shown]
	s_and_b64 vcc, exec, s[0:1]
	s_cbranch_vccz .LBB69_44
.LBB69_4:                               ; =>This Inner Loop Header: Depth=1
	v_mov_b32_e32 v3, s21
	v_add_co_u32_e32 v28, vcc, s20, v0
	v_addc_co_u32_e32 v29, vcc, 0, v3, vcc
	v_pk_mov_b32 v[38:39], 0, 0
	v_cmp_gt_u64_e64 s[8:9], s[18:19], v[28:29]
	v_pk_mov_b32 v[28:29], v[38:39], v[38:39] op_sel:[0,1]
	v_pk_mov_b32 v[34:35], v[38:39], v[38:39] op_sel:[0,1]
	s_and_saveexec_b64 s[0:1], s[8:9]
	s_cbranch_execz .LBB69_6
; %bb.5:                                ;   in Loop: Header=BB69_4 Depth=1
	v_mov_b32_e32 v3, s17
	v_add_co_u32_e32 v30, vcc, s16, v4
	v_addc_co_u32_e32 v31, vcc, v1, v3, vcc
	v_add_co_u32_e32 v32, vcc, s16, v6
	v_addc_co_u32_e32 v33, vcc, v5, v3, vcc
	global_load_dwordx2 v[28:29], v[30:31], off
	global_load_dwordx2 v[34:35], v[32:33], off
.LBB69_6:                               ;   in Loop: Header=BB69_4 Depth=1
	s_or_b64 exec, exec, s[0:1]
	s_and_saveexec_b64 s[0:1], s[8:9]
	s_cbranch_execz .LBB69_8
; %bb.7:                                ;   in Loop: Header=BB69_4 Depth=1
	v_mov_b32_e32 v3, s17
	v_add_co_u32_e32 v30, vcc, s16, v8
	v_addc_co_u32_e32 v31, vcc, v7, v3, vcc
	global_load_dwordx2 v[38:39], v[30:31], off
.LBB69_8:                               ;   in Loop: Header=BB69_4 Depth=1
	s_or_b64 exec, exec, s[0:1]
	v_mov_b32_e32 v3, s21
	v_add_co_u32_e32 v30, vcc, s20, v57
	v_addc_co_u32_e32 v31, vcc, v58, v3, vcc
	v_pk_mov_b32 v[52:53], 0, 0
	v_cmp_gt_u64_e64 s[0:1], s[18:19], v[30:31]
	v_pk_mov_b32 v[30:31], v[52:53], v[52:53] op_sel:[0,1]
	v_pk_mov_b32 v[46:47], v[52:53], v[52:53] op_sel:[0,1]
	s_and_saveexec_b64 s[2:3], s[0:1]
	s_cbranch_execz .LBB69_10
; %bb.9:                                ;   in Loop: Header=BB69_4 Depth=1
	v_mov_b32_e32 v3, s17
	v_add_co_u32_e32 v32, vcc, s16, v22
	v_addc_co_u32_e32 v33, vcc, v21, v3, vcc
	v_add_co_u32_e32 v36, vcc, s16, v24
	v_addc_co_u32_e32 v37, vcc, v23, v3, vcc
	global_load_dwordx2 v[30:31], v[32:33], off
	global_load_dwordx2 v[46:47], v[36:37], off
.LBB69_10:                              ;   in Loop: Header=BB69_4 Depth=1
	s_or_b64 exec, exec, s[2:3]
	s_and_saveexec_b64 s[2:3], s[0:1]
	s_cbranch_execz .LBB69_12
; %bb.11:                               ;   in Loop: Header=BB69_4 Depth=1
	v_mov_b32_e32 v3, s17
	v_add_co_u32_e32 v32, vcc, s16, v26
	v_addc_co_u32_e32 v33, vcc, v25, v3, vcc
	global_load_dwordx2 v[52:53], v[32:33], off
.LBB69_12:                              ;   in Loop: Header=BB69_4 Depth=1
	s_or_b64 exec, exec, s[2:3]
	v_mov_b32_e32 v3, s21
	v_add_co_u32_e32 v32, vcc, s20, v55
	v_addc_co_u32_e32 v33, vcc, v56, v3, vcc
	v_pk_mov_b32 v[50:51], 0, 0
	v_cmp_gt_u64_e64 s[2:3], s[18:19], v[32:33]
	v_pk_mov_b32 v[32:33], v[50:51], v[50:51] op_sel:[0,1]
	v_pk_mov_b32 v[48:49], v[50:51], v[50:51] op_sel:[0,1]
	s_and_saveexec_b64 s[6:7], s[2:3]
	s_cbranch_execz .LBB69_14
; %bb.13:                               ;   in Loop: Header=BB69_4 Depth=1
	v_mov_b32_e32 v3, s17
	v_add_co_u32_e32 v36, vcc, s16, v16
	v_addc_co_u32_e32 v37, vcc, v15, v3, vcc
	v_add_co_u32_e32 v40, vcc, s16, v18
	v_addc_co_u32_e32 v41, vcc, v17, v3, vcc
	global_load_dwordx2 v[32:33], v[36:37], off
	global_load_dwordx2 v[48:49], v[40:41], off
.LBB69_14:                              ;   in Loop: Header=BB69_4 Depth=1
	s_or_b64 exec, exec, s[6:7]
	s_and_saveexec_b64 s[6:7], s[2:3]
	s_cbranch_execz .LBB69_16
; %bb.15:                               ;   in Loop: Header=BB69_4 Depth=1
	v_mov_b32_e32 v3, s17
	v_add_co_u32_e32 v36, vcc, s16, v20
	v_addc_co_u32_e32 v37, vcc, v19, v3, vcc
	global_load_dwordx2 v[50:51], v[36:37], off
.LBB69_16:                              ;   in Loop: Header=BB69_4 Depth=1
	s_or_b64 exec, exec, s[6:7]
	v_mov_b32_e32 v3, s21
	v_add_co_u32_e32 v36, vcc, s20, v27
	v_addc_co_u32_e32 v37, vcc, v54, v3, vcc
	v_pk_mov_b32 v[44:45], 0, 0
	v_cmp_gt_u64_e64 s[6:7], s[18:19], v[36:37]
	v_pk_mov_b32 v[36:37], v[44:45], v[44:45] op_sel:[0,1]
	v_pk_mov_b32 v[42:43], v[44:45], v[44:45] op_sel:[0,1]
	s_and_saveexec_b64 s[10:11], s[6:7]
	s_cbranch_execz .LBB69_18
; %bb.17:                               ;   in Loop: Header=BB69_4 Depth=1
	v_mov_b32_e32 v3, s17
	v_add_co_u32_e32 v40, vcc, s16, v10
	v_addc_co_u32_e32 v41, vcc, v9, v3, vcc
	v_add_co_u32_e32 v60, vcc, s16, v12
	v_addc_co_u32_e32 v61, vcc, v11, v3, vcc
	global_load_dwordx2 v[36:37], v[40:41], off
	global_load_dwordx2 v[42:43], v[60:61], off
.LBB69_18:                              ;   in Loop: Header=BB69_4 Depth=1
	s_or_b64 exec, exec, s[10:11]
	s_and_saveexec_b64 s[10:11], s[6:7]
	s_cbranch_execz .LBB69_20
; %bb.19:                               ;   in Loop: Header=BB69_4 Depth=1
	v_mov_b32_e32 v3, s17
	v_add_co_u32_e32 v40, vcc, s16, v14
	v_addc_co_u32_e32 v41, vcc, v13, v3, vcc
	global_load_dwordx2 v[44:45], v[40:41], off
.LBB69_20:                              ;   in Loop: Header=BB69_4 Depth=1
	s_or_b64 exec, exec, s[10:11]
	s_waitcnt vmcnt(0)
	v_or_b32_e32 v3, v47, v53
	v_cmp_ne_u64_e32 vcc, 0, v[2:3]
                                        ; implicit-def: $vgpr40_vgpr41
	s_and_saveexec_b64 s[10:11], vcc
	s_xor_b64 s[22:23], exec, s[10:11]
	s_cbranch_execz .LBB69_22
; %bb.21:                               ;   in Loop: Header=BB69_4 Depth=1
	v_ashrrev_i32_e32 v3, 31, v53
	v_add_co_u32_e32 v40, vcc, v52, v3
	v_addc_co_u32_e32 v41, vcc, v53, v3, vcc
	v_xor_b32_e32 v59, v41, v3
	v_xor_b32_e32 v64, v40, v3
	v_cvt_f32_u32_e32 v40, v64
	v_cvt_f32_u32_e32 v41, v59
	v_sub_co_u32_e32 v61, vcc, 0, v64
	v_subb_co_u32_e32 v62, vcc, 0, v59, vcc
	v_mac_f32_e32 v40, 0x4f800000, v41
	v_rcp_f32_e32 v40, v40
	v_mul_f32_e32 v40, 0x5f7ffffc, v40
	v_mul_f32_e32 v41, 0x2f800000, v40
	v_trunc_f32_e32 v41, v41
	v_mac_f32_e32 v40, 0xcf800000, v41
	v_cvt_u32_f32_e32 v60, v40
	v_cvt_u32_f32_e32 v63, v41
	v_mul_lo_u32 v52, v62, v60
	v_mad_u64_u32 v[40:41], s[10:11], v61, v60, 0
	v_mul_lo_u32 v53, v61, v63
	v_add3_u32 v41, v41, v53, v52
	v_mad_u64_u32 v[52:53], s[10:11], v60, v41, 0
	v_mul_hi_u32 v65, v60, v40
	v_add_co_u32_e32 v65, vcc, v65, v52
	v_addc_co_u32_e32 v66, vcc, 0, v53, vcc
	v_mad_u64_u32 v[52:53], s[10:11], v63, v41, 0
	v_mad_u64_u32 v[40:41], s[10:11], v63, v40, 0
	v_add_co_u32_e32 v40, vcc, v65, v40
	v_addc_co_u32_e32 v40, vcc, v66, v41, vcc
	v_addc_co_u32_e32 v41, vcc, 0, v53, vcc
	v_add_co_u32_e32 v40, vcc, v40, v52
	v_addc_co_u32_e32 v41, vcc, 0, v41, vcc
	v_add_co_u32_e32 v65, vcc, v60, v40
	v_addc_co_u32_e32 v66, vcc, v63, v41, vcc
	v_mul_lo_u32 v52, v61, v66
	v_mul_lo_u32 v53, v62, v65
	v_mad_u64_u32 v[40:41], s[10:11], v61, v65, 0
	v_add3_u32 v41, v41, v52, v53
	v_mad_u64_u32 v[60:61], s[10:11], v66, v40, 0
	v_mad_u64_u32 v[62:63], s[10:11], v65, v41, 0
	v_mul_hi_u32 v40, v65, v40
	v_add_co_u32_e32 v40, vcc, v40, v62
	v_mad_u64_u32 v[52:53], s[10:11], v66, v41, 0
	v_addc_co_u32_e32 v41, vcc, 0, v63, vcc
	v_add_co_u32_e32 v40, vcc, v40, v60
	v_addc_co_u32_e32 v40, vcc, v41, v61, vcc
	v_addc_co_u32_e32 v41, vcc, 0, v53, vcc
	v_add_co_u32_e32 v40, vcc, v40, v52
	v_addc_co_u32_e32 v41, vcc, 0, v41, vcc
	v_add_co_u32_e32 v52, vcc, v65, v40
	v_addc_co_u32_e32 v53, vcc, v66, v41, vcc
	v_ashrrev_i32_e32 v60, 31, v47
	v_add_co_u32_e32 v40, vcc, v46, v60
	v_addc_co_u32_e32 v41, vcc, v47, v60, vcc
	v_xor_b32_e32 v62, v40, v60
	v_xor_b32_e32 v61, v41, v60
	v_mad_u64_u32 v[40:41], s[10:11], v62, v53, 0
	v_mul_hi_u32 v46, v62, v52
	v_add_co_u32_e32 v63, vcc, v46, v40
	v_addc_co_u32_e32 v65, vcc, 0, v41, vcc
	v_mad_u64_u32 v[46:47], s[10:11], v61, v52, 0
	v_add_co_u32_e32 v46, vcc, v63, v46
	v_mad_u64_u32 v[40:41], s[10:11], v61, v53, 0
	v_addc_co_u32_e32 v46, vcc, v65, v47, vcc
	v_addc_co_u32_e32 v41, vcc, 0, v41, vcc
	v_add_co_u32_e32 v46, vcc, v46, v40
	v_addc_co_u32_e32 v47, vcc, 0, v41, vcc
	v_mul_lo_u32 v52, v59, v46
	v_mul_lo_u32 v53, v64, v47
	v_mad_u64_u32 v[40:41], s[10:11], v64, v46, 0
	v_add3_u32 v41, v41, v53, v52
	v_sub_u32_e32 v52, v61, v41
	v_sub_co_u32_e32 v40, vcc, v62, v40
	v_subb_co_u32_e64 v52, s[10:11], v52, v59, vcc
	v_sub_co_u32_e64 v53, s[10:11], v40, v64
	v_subbrev_co_u32_e64 v52, s[10:11], 0, v52, s[10:11]
	v_cmp_ge_u32_e64 s[10:11], v52, v59
	v_cndmask_b32_e64 v62, 0, -1, s[10:11]
	v_cmp_ge_u32_e64 s[10:11], v53, v64
	v_cndmask_b32_e64 v53, 0, -1, s[10:11]
	v_cmp_eq_u32_e64 s[10:11], v52, v59
	v_cndmask_b32_e64 v52, v62, v53, s[10:11]
	v_add_co_u32_e64 v53, s[10:11], 2, v46
	v_subb_co_u32_e32 v41, vcc, v61, v41, vcc
	v_addc_co_u32_e64 v62, s[10:11], 0, v47, s[10:11]
	v_cmp_ge_u32_e32 vcc, v41, v59
	v_add_co_u32_e64 v63, s[10:11], 1, v46
	v_cndmask_b32_e64 v61, 0, -1, vcc
	v_cmp_ge_u32_e32 vcc, v40, v64
	v_addc_co_u32_e64 v65, s[10:11], 0, v47, s[10:11]
	v_cndmask_b32_e64 v40, 0, -1, vcc
	v_cmp_eq_u32_e32 vcc, v41, v59
	v_cmp_ne_u32_e64 s[10:11], 0, v52
	v_cndmask_b32_e32 v40, v61, v40, vcc
	v_cndmask_b32_e64 v52, v65, v62, s[10:11]
	v_cmp_ne_u32_e32 vcc, 0, v40
	v_cndmask_b32_e64 v41, v63, v53, s[10:11]
	v_cndmask_b32_e32 v40, v47, v52, vcc
	v_cndmask_b32_e32 v41, v46, v41, vcc
	v_xor_b32_e32 v3, v60, v3
	v_xor_b32_e32 v46, v40, v3
	;; [unrolled: 1-line block ×3, first 2 shown]
	v_sub_co_u32_e32 v40, vcc, v40, v3
	v_subb_co_u32_e32 v41, vcc, v46, v3, vcc
                                        ; implicit-def: $vgpr52_vgpr53
                                        ; implicit-def: $vgpr46_vgpr47
.LBB69_22:                              ;   in Loop: Header=BB69_4 Depth=1
	s_andn2_saveexec_b64 s[10:11], s[22:23]
	s_cbranch_execz .LBB69_24
; %bb.23:                               ;   in Loop: Header=BB69_4 Depth=1
	v_cvt_f32_u32_e32 v3, v52
	v_sub_u32_e32 v40, 0, v52
	v_rcp_iflag_f32_e32 v3, v3
	v_mul_f32_e32 v3, 0x4f7ffffe, v3
	v_cvt_u32_f32_e32 v3, v3
	v_mul_lo_u32 v40, v40, v3
	v_mul_hi_u32 v40, v3, v40
	v_add_u32_e32 v3, v3, v40
	v_mul_hi_u32 v3, v46, v3
	v_mul_lo_u32 v40, v3, v52
	v_sub_u32_e32 v40, v46, v40
	v_add_u32_e32 v41, 1, v3
	v_sub_u32_e32 v46, v40, v52
	v_cmp_ge_u32_e32 vcc, v40, v52
	v_cndmask_b32_e32 v40, v40, v46, vcc
	v_cndmask_b32_e32 v3, v3, v41, vcc
	v_add_u32_e32 v41, 1, v3
	v_cmp_ge_u32_e32 vcc, v40, v52
	v_cndmask_b32_e32 v40, v3, v41, vcc
	v_mov_b32_e32 v41, v2
.LBB69_24:                              ;   in Loop: Header=BB69_4 Depth=1
	s_or_b64 exec, exec, s[10:11]
	v_or_b32_e32 v3, v49, v51
	v_cmp_ne_u64_e32 vcc, 0, v[2:3]
                                        ; implicit-def: $vgpr46_vgpr47
	s_and_saveexec_b64 s[10:11], vcc
	s_xor_b64 s[22:23], exec, s[10:11]
	s_cbranch_execz .LBB69_26
; %bb.25:                               ;   in Loop: Header=BB69_4 Depth=1
	v_ashrrev_i32_e32 v3, 31, v51
	v_add_co_u32_e32 v46, vcc, v50, v3
	v_addc_co_u32_e32 v47, vcc, v51, v3, vcc
	v_xor_b32_e32 v59, v47, v3
	v_xor_b32_e32 v62, v46, v3
	v_cvt_f32_u32_e32 v46, v62
	v_cvt_f32_u32_e32 v47, v59
	v_sub_co_u32_e32 v53, vcc, 0, v62
	v_subb_co_u32_e32 v60, vcc, 0, v59, vcc
	v_mac_f32_e32 v46, 0x4f800000, v47
	v_rcp_f32_e32 v46, v46
	v_mul_f32_e32 v46, 0x5f7ffffc, v46
	v_mul_f32_e32 v47, 0x2f800000, v46
	v_trunc_f32_e32 v47, v47
	v_mac_f32_e32 v46, 0xcf800000, v47
	v_cvt_u32_f32_e32 v52, v46
	v_cvt_u32_f32_e32 v61, v47
	v_mul_lo_u32 v50, v60, v52
	v_mad_u64_u32 v[46:47], s[10:11], v53, v52, 0
	v_mul_lo_u32 v51, v53, v61
	v_add3_u32 v47, v47, v51, v50
	v_mad_u64_u32 v[50:51], s[10:11], v52, v47, 0
	v_mul_hi_u32 v63, v52, v46
	v_add_co_u32_e32 v63, vcc, v63, v50
	v_addc_co_u32_e32 v64, vcc, 0, v51, vcc
	v_mad_u64_u32 v[50:51], s[10:11], v61, v47, 0
	v_mad_u64_u32 v[46:47], s[10:11], v61, v46, 0
	v_add_co_u32_e32 v46, vcc, v63, v46
	v_addc_co_u32_e32 v46, vcc, v64, v47, vcc
	v_addc_co_u32_e32 v47, vcc, 0, v51, vcc
	v_add_co_u32_e32 v46, vcc, v46, v50
	v_addc_co_u32_e32 v47, vcc, 0, v47, vcc
	v_add_co_u32_e32 v63, vcc, v52, v46
	v_addc_co_u32_e32 v64, vcc, v61, v47, vcc
	v_mul_lo_u32 v50, v53, v64
	v_mul_lo_u32 v51, v60, v63
	v_mad_u64_u32 v[46:47], s[10:11], v53, v63, 0
	v_add3_u32 v47, v47, v50, v51
	v_mad_u64_u32 v[52:53], s[10:11], v64, v46, 0
	v_mad_u64_u32 v[60:61], s[10:11], v63, v47, 0
	v_mul_hi_u32 v46, v63, v46
	v_add_co_u32_e32 v46, vcc, v46, v60
	v_mad_u64_u32 v[50:51], s[10:11], v64, v47, 0
	v_addc_co_u32_e32 v47, vcc, 0, v61, vcc
	v_add_co_u32_e32 v46, vcc, v46, v52
	v_addc_co_u32_e32 v46, vcc, v47, v53, vcc
	v_addc_co_u32_e32 v47, vcc, 0, v51, vcc
	v_add_co_u32_e32 v46, vcc, v46, v50
	v_addc_co_u32_e32 v47, vcc, 0, v47, vcc
	v_add_co_u32_e32 v50, vcc, v63, v46
	v_addc_co_u32_e32 v51, vcc, v64, v47, vcc
	v_ashrrev_i32_e32 v52, 31, v49
	v_add_co_u32_e32 v46, vcc, v48, v52
	v_addc_co_u32_e32 v47, vcc, v49, v52, vcc
	v_xor_b32_e32 v60, v46, v52
	v_xor_b32_e32 v53, v47, v52
	v_mad_u64_u32 v[46:47], s[10:11], v60, v51, 0
	v_mul_hi_u32 v48, v60, v50
	v_add_co_u32_e32 v61, vcc, v48, v46
	v_addc_co_u32_e32 v63, vcc, 0, v47, vcc
	v_mad_u64_u32 v[48:49], s[10:11], v53, v50, 0
	v_add_co_u32_e32 v48, vcc, v61, v48
	v_mad_u64_u32 v[46:47], s[10:11], v53, v51, 0
	v_addc_co_u32_e32 v48, vcc, v63, v49, vcc
	v_addc_co_u32_e32 v47, vcc, 0, v47, vcc
	v_add_co_u32_e32 v48, vcc, v48, v46
	v_addc_co_u32_e32 v49, vcc, 0, v47, vcc
	v_mul_lo_u32 v50, v59, v48
	v_mul_lo_u32 v51, v62, v49
	v_mad_u64_u32 v[46:47], s[10:11], v62, v48, 0
	v_add3_u32 v47, v47, v51, v50
	v_sub_u32_e32 v50, v53, v47
	v_sub_co_u32_e32 v46, vcc, v60, v46
	v_subb_co_u32_e64 v50, s[10:11], v50, v59, vcc
	v_sub_co_u32_e64 v51, s[10:11], v46, v62
	v_subbrev_co_u32_e64 v50, s[10:11], 0, v50, s[10:11]
	v_cmp_ge_u32_e64 s[10:11], v50, v59
	v_cndmask_b32_e64 v60, 0, -1, s[10:11]
	v_cmp_ge_u32_e64 s[10:11], v51, v62
	v_cndmask_b32_e64 v51, 0, -1, s[10:11]
	v_cmp_eq_u32_e64 s[10:11], v50, v59
	v_cndmask_b32_e64 v50, v60, v51, s[10:11]
	v_add_co_u32_e64 v51, s[10:11], 2, v48
	v_subb_co_u32_e32 v47, vcc, v53, v47, vcc
	v_addc_co_u32_e64 v60, s[10:11], 0, v49, s[10:11]
	v_cmp_ge_u32_e32 vcc, v47, v59
	v_add_co_u32_e64 v61, s[10:11], 1, v48
	v_cndmask_b32_e64 v53, 0, -1, vcc
	v_cmp_ge_u32_e32 vcc, v46, v62
	v_addc_co_u32_e64 v63, s[10:11], 0, v49, s[10:11]
	v_cndmask_b32_e64 v46, 0, -1, vcc
	v_cmp_eq_u32_e32 vcc, v47, v59
	v_cmp_ne_u32_e64 s[10:11], 0, v50
	v_cndmask_b32_e32 v46, v53, v46, vcc
	v_cndmask_b32_e64 v50, v63, v60, s[10:11]
	v_cmp_ne_u32_e32 vcc, 0, v46
	v_cndmask_b32_e64 v47, v61, v51, s[10:11]
	v_cndmask_b32_e32 v46, v49, v50, vcc
	v_cndmask_b32_e32 v47, v48, v47, vcc
	v_xor_b32_e32 v3, v52, v3
	v_xor_b32_e32 v48, v46, v3
	;; [unrolled: 1-line block ×3, first 2 shown]
	v_sub_co_u32_e32 v46, vcc, v46, v3
	v_subb_co_u32_e32 v47, vcc, v48, v3, vcc
                                        ; implicit-def: $vgpr50_vgpr51
                                        ; implicit-def: $vgpr48_vgpr49
.LBB69_26:                              ;   in Loop: Header=BB69_4 Depth=1
	s_andn2_saveexec_b64 s[10:11], s[22:23]
	s_cbranch_execz .LBB69_28
; %bb.27:                               ;   in Loop: Header=BB69_4 Depth=1
	v_cvt_f32_u32_e32 v3, v50
	v_sub_u32_e32 v46, 0, v50
	v_rcp_iflag_f32_e32 v3, v3
	v_mul_f32_e32 v3, 0x4f7ffffe, v3
	v_cvt_u32_f32_e32 v3, v3
	v_mul_lo_u32 v46, v46, v3
	v_mul_hi_u32 v46, v3, v46
	v_add_u32_e32 v3, v3, v46
	v_mul_hi_u32 v3, v48, v3
	v_mul_lo_u32 v46, v3, v50
	v_sub_u32_e32 v46, v48, v46
	v_add_u32_e32 v47, 1, v3
	v_sub_u32_e32 v48, v46, v50
	v_cmp_ge_u32_e32 vcc, v46, v50
	v_cndmask_b32_e32 v46, v46, v48, vcc
	v_cndmask_b32_e32 v3, v3, v47, vcc
	v_add_u32_e32 v47, 1, v3
	v_cmp_ge_u32_e32 vcc, v46, v50
	v_cndmask_b32_e32 v46, v3, v47, vcc
	v_mov_b32_e32 v47, v2
.LBB69_28:                              ;   in Loop: Header=BB69_4 Depth=1
	s_or_b64 exec, exec, s[10:11]
	v_or_b32_e32 v3, v43, v45
	v_cmp_ne_u64_e32 vcc, 0, v[2:3]
                                        ; implicit-def: $vgpr48_vgpr49
	s_and_saveexec_b64 s[10:11], vcc
	s_xor_b64 s[22:23], exec, s[10:11]
	s_cbranch_execnz .LBB69_34
; %bb.29:                               ;   in Loop: Header=BB69_4 Depth=1
	s_andn2_saveexec_b64 s[10:11], s[22:23]
	s_cbranch_execnz .LBB69_35
.LBB69_30:                              ;   in Loop: Header=BB69_4 Depth=1
	s_or_b64 exec, exec, s[10:11]
	s_and_saveexec_b64 s[10:11], s[8:9]
	s_cbranch_execnz .LBB69_36
.LBB69_31:                              ;   in Loop: Header=BB69_4 Depth=1
	s_or_b64 exec, exec, s[10:11]
	s_and_saveexec_b64 s[8:9], s[0:1]
	s_cbranch_execnz .LBB69_41
.LBB69_32:                              ;   in Loop: Header=BB69_4 Depth=1
	s_or_b64 exec, exec, s[8:9]
	s_and_saveexec_b64 s[0:1], s[2:3]
	s_cbranch_execnz .LBB69_42
.LBB69_33:                              ;   in Loop: Header=BB69_4 Depth=1
	s_or_b64 exec, exec, s[0:1]
	s_and_saveexec_b64 s[0:1], s[6:7]
	s_cbranch_execz .LBB69_3
	s_branch .LBB69_43
.LBB69_34:                              ;   in Loop: Header=BB69_4 Depth=1
	v_ashrrev_i32_e32 v3, 31, v45
	v_add_co_u32_e32 v44, vcc, v44, v3
	v_addc_co_u32_e32 v45, vcc, v45, v3, vcc
	v_xor_b32_e32 v59, v45, v3
	v_xor_b32_e32 v60, v44, v3
	v_cvt_f32_u32_e32 v44, v60
	v_cvt_f32_u32_e32 v45, v59
	v_sub_co_u32_e32 v51, vcc, 0, v60
	v_subb_co_u32_e32 v52, vcc, 0, v59, vcc
	v_mac_f32_e32 v44, 0x4f800000, v45
	v_rcp_f32_e32 v44, v44
	v_mul_f32_e32 v44, 0x5f7ffffc, v44
	v_mul_f32_e32 v45, 0x2f800000, v44
	v_trunc_f32_e32 v45, v45
	v_mac_f32_e32 v44, 0xcf800000, v45
	v_cvt_u32_f32_e32 v50, v44
	v_cvt_u32_f32_e32 v53, v45
	v_mul_lo_u32 v48, v52, v50
	v_mad_u64_u32 v[44:45], s[10:11], v51, v50, 0
	v_mul_lo_u32 v49, v51, v53
	v_add3_u32 v45, v45, v49, v48
	v_mad_u64_u32 v[48:49], s[10:11], v50, v45, 0
	v_mul_hi_u32 v61, v50, v44
	v_add_co_u32_e32 v61, vcc, v61, v48
	v_addc_co_u32_e32 v62, vcc, 0, v49, vcc
	v_mad_u64_u32 v[48:49], s[10:11], v53, v45, 0
	v_mad_u64_u32 v[44:45], s[10:11], v53, v44, 0
	v_add_co_u32_e32 v44, vcc, v61, v44
	v_addc_co_u32_e32 v44, vcc, v62, v45, vcc
	v_addc_co_u32_e32 v45, vcc, 0, v49, vcc
	v_add_co_u32_e32 v44, vcc, v44, v48
	v_addc_co_u32_e32 v45, vcc, 0, v45, vcc
	v_add_co_u32_e32 v61, vcc, v50, v44
	v_addc_co_u32_e32 v62, vcc, v53, v45, vcc
	v_mul_lo_u32 v48, v51, v62
	v_mul_lo_u32 v49, v52, v61
	v_mad_u64_u32 v[44:45], s[10:11], v51, v61, 0
	v_add3_u32 v45, v45, v48, v49
	v_mad_u64_u32 v[50:51], s[10:11], v62, v44, 0
	v_mad_u64_u32 v[52:53], s[10:11], v61, v45, 0
	v_mul_hi_u32 v44, v61, v44
	v_add_co_u32_e32 v44, vcc, v44, v52
	v_mad_u64_u32 v[48:49], s[10:11], v62, v45, 0
	v_addc_co_u32_e32 v45, vcc, 0, v53, vcc
	v_add_co_u32_e32 v44, vcc, v44, v50
	v_addc_co_u32_e32 v44, vcc, v45, v51, vcc
	v_addc_co_u32_e32 v45, vcc, 0, v49, vcc
	v_add_co_u32_e32 v44, vcc, v44, v48
	v_addc_co_u32_e32 v45, vcc, 0, v45, vcc
	v_add_co_u32_e32 v44, vcc, v61, v44
	v_addc_co_u32_e32 v45, vcc, v62, v45, vcc
	v_ashrrev_i32_e32 v48, 31, v43
	v_add_co_u32_e32 v42, vcc, v42, v48
	v_addc_co_u32_e32 v43, vcc, v43, v48, vcc
	v_xor_b32_e32 v50, v42, v48
	v_xor_b32_e32 v49, v43, v48
	v_mad_u64_u32 v[42:43], s[10:11], v50, v45, 0
	v_mul_hi_u32 v51, v50, v44
	v_add_co_u32_e32 v51, vcc, v51, v42
	v_addc_co_u32_e32 v52, vcc, 0, v43, vcc
	v_mad_u64_u32 v[42:43], s[10:11], v49, v45, 0
	v_mad_u64_u32 v[44:45], s[10:11], v49, v44, 0
	v_add_co_u32_e32 v44, vcc, v51, v44
	v_addc_co_u32_e32 v44, vcc, v52, v45, vcc
	v_addc_co_u32_e32 v43, vcc, 0, v43, vcc
	v_add_co_u32_e32 v44, vcc, v44, v42
	v_addc_co_u32_e32 v45, vcc, 0, v43, vcc
	v_mul_lo_u32 v51, v59, v44
	v_mul_lo_u32 v52, v60, v45
	v_mad_u64_u32 v[42:43], s[10:11], v60, v44, 0
	v_add3_u32 v43, v43, v52, v51
	v_sub_u32_e32 v51, v49, v43
	v_sub_co_u32_e32 v42, vcc, v50, v42
	v_subb_co_u32_e64 v50, s[10:11], v51, v59, vcc
	v_sub_co_u32_e64 v51, s[10:11], v42, v60
	v_subbrev_co_u32_e64 v50, s[10:11], 0, v50, s[10:11]
	v_cmp_ge_u32_e64 s[10:11], v50, v59
	v_cndmask_b32_e64 v52, 0, -1, s[10:11]
	v_cmp_ge_u32_e64 s[10:11], v51, v60
	v_cndmask_b32_e64 v51, 0, -1, s[10:11]
	v_cmp_eq_u32_e64 s[10:11], v50, v59
	v_cndmask_b32_e64 v50, v52, v51, s[10:11]
	v_add_co_u32_e64 v51, s[10:11], 2, v44
	v_subb_co_u32_e32 v43, vcc, v49, v43, vcc
	v_addc_co_u32_e64 v52, s[10:11], 0, v45, s[10:11]
	v_cmp_ge_u32_e32 vcc, v43, v59
	v_add_co_u32_e64 v53, s[10:11], 1, v44
	v_cndmask_b32_e64 v49, 0, -1, vcc
	v_cmp_ge_u32_e32 vcc, v42, v60
	v_addc_co_u32_e64 v61, s[10:11], 0, v45, s[10:11]
	v_cndmask_b32_e64 v42, 0, -1, vcc
	v_cmp_eq_u32_e32 vcc, v43, v59
	v_cmp_ne_u32_e64 s[10:11], 0, v50
	v_cndmask_b32_e32 v42, v49, v42, vcc
	v_cmp_ne_u32_e32 vcc, 0, v42
	v_cndmask_b32_e64 v43, v53, v51, s[10:11]
	v_cndmask_b32_e64 v50, v61, v52, s[10:11]
	v_cndmask_b32_e32 v43, v44, v43, vcc
	v_xor_b32_e32 v3, v48, v3
	v_cndmask_b32_e32 v42, v45, v50, vcc
	v_xor_b32_e32 v43, v43, v3
	v_xor_b32_e32 v42, v42, v3
	v_sub_co_u32_e32 v48, vcc, v43, v3
	v_subb_co_u32_e32 v49, vcc, v42, v3, vcc
                                        ; implicit-def: $vgpr44_vgpr45
                                        ; implicit-def: $vgpr42_vgpr43
	s_andn2_saveexec_b64 s[10:11], s[22:23]
	s_cbranch_execz .LBB69_30
.LBB69_35:                              ;   in Loop: Header=BB69_4 Depth=1
	v_cvt_f32_u32_e32 v3, v44
	v_sub_u32_e32 v43, 0, v44
	v_mov_b32_e32 v49, v2
	v_rcp_iflag_f32_e32 v3, v3
	v_mul_f32_e32 v3, 0x4f7ffffe, v3
	v_cvt_u32_f32_e32 v3, v3
	v_mul_lo_u32 v43, v43, v3
	v_mul_hi_u32 v43, v3, v43
	v_add_u32_e32 v3, v3, v43
	v_mul_hi_u32 v3, v42, v3
	v_mul_lo_u32 v43, v3, v44
	v_sub_u32_e32 v42, v42, v43
	v_add_u32_e32 v45, 1, v3
	v_sub_u32_e32 v43, v42, v44
	v_cmp_ge_u32_e32 vcc, v42, v44
	v_cndmask_b32_e32 v42, v42, v43, vcc
	v_cndmask_b32_e32 v3, v3, v45, vcc
	v_add_u32_e32 v43, 1, v3
	v_cmp_ge_u32_e32 vcc, v42, v44
	v_cndmask_b32_e32 v48, v3, v43, vcc
	s_or_b64 exec, exec, s[10:11]
	s_and_saveexec_b64 s[10:11], s[8:9]
	s_cbranch_execz .LBB69_31
.LBB69_36:                              ;   in Loop: Header=BB69_4 Depth=1
	v_or_b32_e32 v3, v35, v39
	v_cmp_ne_u64_e32 vcc, 0, v[2:3]
                                        ; implicit-def: $vgpr42_vgpr43
	s_and_saveexec_b64 s[8:9], vcc
	s_xor_b64 s[22:23], exec, s[8:9]
	s_cbranch_execz .LBB69_38
; %bb.37:                               ;   in Loop: Header=BB69_4 Depth=1
	v_ashrrev_i32_e32 v3, 31, v39
	v_add_co_u32_e32 v38, vcc, v38, v3
	v_addc_co_u32_e32 v39, vcc, v39, v3, vcc
	v_xor_b32_e32 v52, v39, v3
	v_xor_b32_e32 v53, v38, v3
	v_cvt_f32_u32_e32 v38, v53
	v_cvt_f32_u32_e32 v39, v52
	v_sub_co_u32_e32 v45, vcc, 0, v53
	v_subb_co_u32_e32 v50, vcc, 0, v52, vcc
	v_mac_f32_e32 v38, 0x4f800000, v39
	v_rcp_f32_e32 v38, v38
	v_mul_f32_e32 v38, 0x5f7ffffc, v38
	v_mul_f32_e32 v39, 0x2f800000, v38
	v_trunc_f32_e32 v39, v39
	v_mac_f32_e32 v38, 0xcf800000, v39
	v_cvt_u32_f32_e32 v44, v38
	v_cvt_u32_f32_e32 v51, v39
	v_mul_lo_u32 v42, v50, v44
	v_mad_u64_u32 v[38:39], s[8:9], v45, v44, 0
	v_mul_lo_u32 v43, v45, v51
	v_add3_u32 v39, v39, v43, v42
	v_mad_u64_u32 v[42:43], s[8:9], v44, v39, 0
	v_mul_hi_u32 v59, v44, v38
	v_add_co_u32_e32 v59, vcc, v59, v42
	v_addc_co_u32_e32 v60, vcc, 0, v43, vcc
	v_mad_u64_u32 v[42:43], s[8:9], v51, v39, 0
	v_mad_u64_u32 v[38:39], s[8:9], v51, v38, 0
	v_add_co_u32_e32 v38, vcc, v59, v38
	v_addc_co_u32_e32 v38, vcc, v60, v39, vcc
	v_addc_co_u32_e32 v39, vcc, 0, v43, vcc
	v_add_co_u32_e32 v38, vcc, v38, v42
	v_addc_co_u32_e32 v39, vcc, 0, v39, vcc
	v_add_co_u32_e32 v59, vcc, v44, v38
	v_addc_co_u32_e32 v60, vcc, v51, v39, vcc
	v_mul_lo_u32 v42, v45, v60
	v_mul_lo_u32 v43, v50, v59
	v_mad_u64_u32 v[38:39], s[8:9], v45, v59, 0
	v_add3_u32 v39, v39, v42, v43
	v_mad_u64_u32 v[44:45], s[8:9], v60, v38, 0
	v_mad_u64_u32 v[50:51], s[8:9], v59, v39, 0
	v_mul_hi_u32 v38, v59, v38
	v_add_co_u32_e32 v38, vcc, v38, v50
	v_mad_u64_u32 v[42:43], s[8:9], v60, v39, 0
	v_addc_co_u32_e32 v39, vcc, 0, v51, vcc
	v_add_co_u32_e32 v38, vcc, v38, v44
	v_addc_co_u32_e32 v38, vcc, v39, v45, vcc
	v_addc_co_u32_e32 v39, vcc, 0, v43, vcc
	v_add_co_u32_e32 v38, vcc, v38, v42
	v_addc_co_u32_e32 v39, vcc, 0, v39, vcc
	v_add_co_u32_e32 v38, vcc, v59, v38
	v_addc_co_u32_e32 v39, vcc, v60, v39, vcc
	v_ashrrev_i32_e32 v42, 31, v35
	v_add_co_u32_e32 v34, vcc, v34, v42
	v_addc_co_u32_e32 v35, vcc, v35, v42, vcc
	v_xor_b32_e32 v44, v34, v42
	v_xor_b32_e32 v43, v35, v42
	v_mad_u64_u32 v[34:35], s[8:9], v44, v39, 0
	v_mul_hi_u32 v45, v44, v38
	v_add_co_u32_e32 v45, vcc, v45, v34
	v_addc_co_u32_e32 v50, vcc, 0, v35, vcc
	v_mad_u64_u32 v[34:35], s[8:9], v43, v39, 0
	v_mad_u64_u32 v[38:39], s[8:9], v43, v38, 0
	v_add_co_u32_e32 v38, vcc, v45, v38
	v_addc_co_u32_e32 v38, vcc, v50, v39, vcc
	v_addc_co_u32_e32 v35, vcc, 0, v35, vcc
	v_add_co_u32_e32 v38, vcc, v38, v34
	v_addc_co_u32_e32 v39, vcc, 0, v35, vcc
	v_mul_lo_u32 v45, v52, v38
	v_mul_lo_u32 v50, v53, v39
	v_mad_u64_u32 v[34:35], s[8:9], v53, v38, 0
	v_add3_u32 v35, v35, v50, v45
	v_sub_u32_e32 v45, v43, v35
	v_sub_co_u32_e32 v34, vcc, v44, v34
	v_subb_co_u32_e64 v44, s[8:9], v45, v52, vcc
	v_sub_co_u32_e64 v45, s[8:9], v34, v53
	v_subbrev_co_u32_e64 v44, s[8:9], 0, v44, s[8:9]
	v_cmp_ge_u32_e64 s[8:9], v44, v52
	v_cndmask_b32_e64 v50, 0, -1, s[8:9]
	v_cmp_ge_u32_e64 s[8:9], v45, v53
	v_cndmask_b32_e64 v45, 0, -1, s[8:9]
	v_cmp_eq_u32_e64 s[8:9], v44, v52
	v_cndmask_b32_e64 v44, v50, v45, s[8:9]
	v_add_co_u32_e64 v45, s[8:9], 2, v38
	v_subb_co_u32_e32 v35, vcc, v43, v35, vcc
	v_addc_co_u32_e64 v50, s[8:9], 0, v39, s[8:9]
	v_cmp_ge_u32_e32 vcc, v35, v52
	v_add_co_u32_e64 v51, s[8:9], 1, v38
	v_cndmask_b32_e64 v43, 0, -1, vcc
	v_cmp_ge_u32_e32 vcc, v34, v53
	v_addc_co_u32_e64 v59, s[8:9], 0, v39, s[8:9]
	v_cndmask_b32_e64 v34, 0, -1, vcc
	v_cmp_eq_u32_e32 vcc, v35, v52
	v_cmp_ne_u32_e64 s[8:9], 0, v44
	v_cndmask_b32_e32 v34, v43, v34, vcc
	v_cmp_ne_u32_e32 vcc, 0, v34
	v_cndmask_b32_e64 v35, v51, v45, s[8:9]
	v_cndmask_b32_e64 v44, v59, v50, s[8:9]
	v_cndmask_b32_e32 v35, v38, v35, vcc
	v_xor_b32_e32 v3, v42, v3
	v_cndmask_b32_e32 v34, v39, v44, vcc
	v_xor_b32_e32 v35, v35, v3
	v_xor_b32_e32 v34, v34, v3
	v_sub_co_u32_e32 v42, vcc, v35, v3
	v_subb_co_u32_e32 v43, vcc, v34, v3, vcc
                                        ; implicit-def: $vgpr38_vgpr39
                                        ; implicit-def: $vgpr34_vgpr35
.LBB69_38:                              ;   in Loop: Header=BB69_4 Depth=1
	s_andn2_saveexec_b64 s[8:9], s[22:23]
	s_cbranch_execz .LBB69_40
; %bb.39:                               ;   in Loop: Header=BB69_4 Depth=1
	v_cvt_f32_u32_e32 v3, v38
	v_sub_u32_e32 v35, 0, v38
	v_mov_b32_e32 v43, v2
	v_rcp_iflag_f32_e32 v3, v3
	v_mul_f32_e32 v3, 0x4f7ffffe, v3
	v_cvt_u32_f32_e32 v3, v3
	v_mul_lo_u32 v35, v35, v3
	v_mul_hi_u32 v35, v3, v35
	v_add_u32_e32 v3, v3, v35
	v_mul_hi_u32 v3, v34, v3
	v_mul_lo_u32 v35, v3, v38
	v_sub_u32_e32 v34, v34, v35
	v_add_u32_e32 v39, 1, v3
	v_sub_u32_e32 v35, v34, v38
	v_cmp_ge_u32_e32 vcc, v34, v38
	v_cndmask_b32_e32 v34, v34, v35, vcc
	v_cndmask_b32_e32 v3, v3, v39, vcc
	v_add_u32_e32 v35, 1, v3
	v_cmp_ge_u32_e32 vcc, v34, v38
	v_cndmask_b32_e32 v42, v3, v35, vcc
.LBB69_40:                              ;   in Loop: Header=BB69_4 Depth=1
	s_or_b64 exec, exec, s[8:9]
	v_mov_b32_e32 v3, s17
	v_add_co_u32_e32 v34, vcc, s16, v4
	v_addc_co_u32_e32 v35, vcc, v1, v3, vcc
	v_mad_u64_u32 v[28:29], s[8:9], v42, s12, v[28:29]
	v_mul_lo_u32 v3, v42, s13
	v_mul_lo_u32 v38, v43, s12
	v_add3_u32 v29, v38, v29, v3
	global_store_dwordx2 v[34:35], v[28:29], off
	s_or_b64 exec, exec, s[10:11]
	s_and_saveexec_b64 s[8:9], s[0:1]
	s_cbranch_execz .LBB69_32
.LBB69_41:                              ;   in Loop: Header=BB69_4 Depth=1
	v_mad_u64_u32 v[28:29], s[0:1], v40, s12, v[30:31]
	v_mul_lo_u32 v3, v40, s13
	v_mul_lo_u32 v30, v41, s12
	v_add3_u32 v29, v30, v29, v3
	v_mov_b32_e32 v3, s17
	v_add_co_u32_e32 v30, vcc, s16, v22
	v_addc_co_u32_e32 v31, vcc, v21, v3, vcc
	global_store_dwordx2 v[30:31], v[28:29], off
	s_or_b64 exec, exec, s[8:9]
	s_and_saveexec_b64 s[0:1], s[2:3]
	s_cbranch_execz .LBB69_33
.LBB69_42:                              ;   in Loop: Header=BB69_4 Depth=1
	v_mad_u64_u32 v[28:29], s[2:3], v46, s12, v[32:33]
	v_mul_lo_u32 v3, v46, s13
	v_mul_lo_u32 v30, v47, s12
	v_add3_u32 v29, v30, v29, v3
	v_mov_b32_e32 v3, s17
	v_add_co_u32_e32 v30, vcc, s16, v16
	v_addc_co_u32_e32 v31, vcc, v15, v3, vcc
	global_store_dwordx2 v[30:31], v[28:29], off
	s_or_b64 exec, exec, s[0:1]
	s_and_saveexec_b64 s[0:1], s[6:7]
	s_cbranch_execz .LBB69_3
.LBB69_43:                              ;   in Loop: Header=BB69_4 Depth=1
	v_mad_u64_u32 v[28:29], s[2:3], v48, s12, v[36:37]
	v_mul_lo_u32 v3, v48, s13
	v_mul_lo_u32 v30, v49, s12
	v_add3_u32 v29, v30, v29, v3
	v_mov_b32_e32 v3, s17
	v_add_co_u32_e32 v30, vcc, s16, v10
	v_addc_co_u32_e32 v31, vcc, v9, v3, vcc
	global_store_dwordx2 v[30:31], v[28:29], off
	s_branch .LBB69_3
.LBB69_44:
	s_mov_b64 s[8:9], 0
.LBB69_45:
	s_andn2_b64 vcc, exec, s[8:9]
	s_cbranch_vccnz .LBB69_65
; %bb.46:
	v_mov_b32_e32 v24, 0
	v_lshlrev_b32_e32 v2, 2, v0
	v_mov_b32_e32 v3, v24
	s_mov_b32 s8, 0
	v_cmp_gt_i64_e32 vcc, s[14:15], v[2:3]
	s_and_saveexec_b64 s[0:1], vcc
	s_cbranch_execz .LBB69_65
; %bb.47:
	s_load_dword s0, s[4:5], 0xc64
	v_mov_b32_e32 v27, v24
	v_lshlrev_b32_e32 v28, 5, v0
	s_mov_b64 s[2:3], 0
	s_mov_b64 s[4:5], 0xffff
	s_waitcnt lgkmcnt(0)
	s_and_b32 s0, s0, 0xffff
	v_add_lshl_u32 v26, v0, s0, 2
	s_lshl_b32 s9, s0, 2
	s_lshl_b32 s10, s0, 5
	s_branch .LBB69_49
.LBB69_48:                              ;   in Loop: Header=BB69_49 Depth=1
	s_or_b64 exec, exec, s[0:1]
	s_waitcnt vmcnt(1)
	v_mad_u64_u32 v[0:1], s[0:1], v18, s12, v[0:1]
	s_waitcnt vmcnt(0)
	v_mad_u64_u32 v[6:7], s[0:1], v16, s12, v[6:7]
	v_mad_u64_u32 v[4:5], s[0:1], v32, s12, v[4:5]
	;; [unrolled: 1-line block ×3, first 2 shown]
	v_cmp_le_i64_e32 vcc, s[14:15], v[26:27]
	v_cmp_lt_u64_e64 s[0:1], s[4:5], v[26:27]
	s_or_b64 s[0:1], vcc, s[0:1]
	s_add_u32 s24, s24, s10
	s_addc_u32 s25, s25, 0
	v_mul_lo_u32 v10, v18, s13
	v_mul_lo_u32 v11, v19, s12
	s_add_u32 s28, s28, s10
	v_add3_u32 v1, v11, v1, v10
	v_mul_lo_u32 v10, v16, s13
	v_mul_lo_u32 v11, v17, s12
	s_addc_u32 s29, s29, 0
	v_add3_u32 v7, v11, v7, v10
	v_mul_lo_u32 v10, v32, s13
	v_mul_lo_u32 v11, v33, s12
	s_add_u32 s26, s26, s10
	v_add3_u32 v5, v11, v5, v10
	v_mul_lo_u32 v10, v8, s13
	v_mul_lo_u32 v9, v9, s12
	s_addc_u32 s27, s27, 0
	v_add3_u32 v3, v9, v3, v10
	global_store_dwordx4 v[30:31], v[4:7], off
	global_store_dwordx4 v[30:31], v[0:3], off offset:16
	s_and_b64 s[0:1], exec, s[0:1]
	v_mov_b32_e32 v0, s8
	v_add_co_u32_e32 v26, vcc, s9, v26
	s_or_b64 s[2:3], s[0:1], s[2:3]
	v_addc_co_u32_e32 v27, vcc, v27, v0, vcc
	s_andn2_b64 exec, exec, s[2:3]
	s_cbranch_execz .LBB69_65
.LBB69_49:                              ; =>This Inner Loop Header: Depth=1
	v_mov_b32_e32 v0, s25
	v_add_co_u32_e32 v30, vcc, s24, v28
	v_addc_co_u32_e32 v31, vcc, 0, v0, vcc
	v_mov_b32_e32 v1, s27
	v_add_co_u32_e32 v0, vcc, s26, v28
	v_addc_co_u32_e32 v1, vcc, 0, v1, vcc
	global_load_dwordx4 v[8:11], v[0:1], off offset:16
	global_load_dwordx4 v[16:19], v[0:1], off
	v_mov_b32_e32 v0, s29
	v_add_co_u32_e32 v32, vcc, s28, v28
	v_addc_co_u32_e32 v33, vcc, 0, v0, vcc
	global_load_dwordx4 v[12:15], v[32:33], off offset:16
	global_load_dwordx4 v[20:23], v[32:33], off
	global_load_dwordx4 v[0:3], v[30:31], off offset:16
	global_load_dwordx4 v[4:7], v[30:31], off
                                        ; implicit-def: $vgpr32_vgpr33
	s_waitcnt vmcnt(2)
	v_or_b32_e32 v25, v17, v21
	v_cmp_ne_u64_e32 vcc, 0, v[24:25]
	s_and_saveexec_b64 s[0:1], vcc
	s_xor_b64 s[6:7], exec, s[0:1]
	s_cbranch_execz .LBB69_51
; %bb.50:                               ;   in Loop: Header=BB69_49 Depth=1
	v_ashrrev_i32_e32 v25, 31, v21
	v_add_co_u32_e32 v29, vcc, v20, v25
	v_addc_co_u32_e32 v21, vcc, v21, v25, vcc
	v_xor_b32_e32 v21, v21, v25
	v_xor_b32_e32 v29, v29, v25
	v_cvt_f32_u32_e32 v32, v29
	v_cvt_f32_u32_e32 v33, v21
	v_sub_co_u32_e32 v37, vcc, 0, v29
	v_subb_co_u32_e32 v38, vcc, 0, v21, vcc
	v_mac_f32_e32 v32, 0x4f800000, v33
	v_rcp_f32_e32 v32, v32
	v_mul_f32_e32 v32, 0x5f7ffffc, v32
	v_mul_f32_e32 v33, 0x2f800000, v32
	v_trunc_f32_e32 v33, v33
	v_mac_f32_e32 v32, 0xcf800000, v33
	v_cvt_u32_f32_e32 v36, v32
	v_cvt_u32_f32_e32 v39, v33
	v_mul_lo_u32 v34, v38, v36
	v_mad_u64_u32 v[32:33], s[0:1], v37, v36, 0
	v_mul_lo_u32 v35, v37, v39
	v_add3_u32 v33, v33, v35, v34
	v_mad_u64_u32 v[34:35], s[0:1], v36, v33, 0
	v_mul_hi_u32 v40, v36, v32
	v_add_co_u32_e32 v40, vcc, v40, v34
	v_addc_co_u32_e32 v41, vcc, 0, v35, vcc
	v_mad_u64_u32 v[34:35], s[0:1], v39, v33, 0
	v_mad_u64_u32 v[32:33], s[0:1], v39, v32, 0
	v_add_co_u32_e32 v32, vcc, v40, v32
	v_addc_co_u32_e32 v32, vcc, v41, v33, vcc
	v_addc_co_u32_e32 v33, vcc, 0, v35, vcc
	v_add_co_u32_e32 v32, vcc, v32, v34
	v_addc_co_u32_e32 v33, vcc, 0, v33, vcc
	v_add_co_u32_e32 v40, vcc, v36, v32
	v_addc_co_u32_e32 v41, vcc, v39, v33, vcc
	v_mul_lo_u32 v34, v37, v41
	v_mul_lo_u32 v35, v38, v40
	v_mad_u64_u32 v[32:33], s[0:1], v37, v40, 0
	v_add3_u32 v33, v33, v34, v35
	v_mad_u64_u32 v[36:37], s[0:1], v41, v32, 0
	v_mad_u64_u32 v[38:39], s[0:1], v40, v33, 0
	v_mul_hi_u32 v32, v40, v32
	v_add_co_u32_e32 v32, vcc, v32, v38
	v_mad_u64_u32 v[34:35], s[0:1], v41, v33, 0
	v_addc_co_u32_e32 v33, vcc, 0, v39, vcc
	v_add_co_u32_e32 v32, vcc, v32, v36
	v_addc_co_u32_e32 v32, vcc, v33, v37, vcc
	v_addc_co_u32_e32 v33, vcc, 0, v35, vcc
	v_add_co_u32_e32 v32, vcc, v32, v34
	v_addc_co_u32_e32 v33, vcc, 0, v33, vcc
	v_add_co_u32_e32 v34, vcc, v40, v32
	v_addc_co_u32_e32 v35, vcc, v41, v33, vcc
	v_ashrrev_i32_e32 v36, 31, v17
	v_add_co_u32_e32 v32, vcc, v16, v36
	v_xor_b32_e32 v37, v32, v36
	v_addc_co_u32_e32 v17, vcc, v17, v36, vcc
	v_mad_u64_u32 v[32:33], s[0:1], v37, v35, 0
	v_mul_hi_u32 v38, v37, v34
	v_xor_b32_e32 v17, v17, v36
	v_add_co_u32_e32 v38, vcc, v38, v32
	v_addc_co_u32_e32 v39, vcc, 0, v33, vcc
	v_mad_u64_u32 v[32:33], s[0:1], v17, v35, 0
	v_mad_u64_u32 v[34:35], s[0:1], v17, v34, 0
	v_add_co_u32_e32 v34, vcc, v38, v34
	v_addc_co_u32_e32 v34, vcc, v39, v35, vcc
	v_addc_co_u32_e32 v33, vcc, 0, v33, vcc
	v_add_co_u32_e32 v34, vcc, v34, v32
	v_addc_co_u32_e32 v35, vcc, 0, v33, vcc
	v_mul_lo_u32 v38, v21, v34
	v_mul_lo_u32 v39, v29, v35
	v_mad_u64_u32 v[32:33], s[0:1], v29, v34, 0
	v_add3_u32 v33, v33, v39, v38
	v_sub_u32_e32 v38, v17, v33
	v_sub_co_u32_e32 v32, vcc, v37, v32
	v_subb_co_u32_e64 v37, s[0:1], v38, v21, vcc
	v_sub_co_u32_e64 v38, s[0:1], v32, v29
	v_subbrev_co_u32_e64 v37, s[0:1], 0, v37, s[0:1]
	v_cmp_ge_u32_e64 s[0:1], v37, v21
	v_cndmask_b32_e64 v39, 0, -1, s[0:1]
	v_cmp_ge_u32_e64 s[0:1], v38, v29
	v_cndmask_b32_e64 v38, 0, -1, s[0:1]
	v_cmp_eq_u32_e64 s[0:1], v37, v21
	v_cndmask_b32_e64 v37, v39, v38, s[0:1]
	v_add_co_u32_e64 v38, s[0:1], 2, v34
	v_subb_co_u32_e32 v17, vcc, v17, v33, vcc
	v_addc_co_u32_e64 v39, s[0:1], 0, v35, s[0:1]
	v_cmp_ge_u32_e32 vcc, v17, v21
	v_add_co_u32_e64 v40, s[0:1], 1, v34
	v_cndmask_b32_e64 v33, 0, -1, vcc
	v_cmp_ge_u32_e32 vcc, v32, v29
	v_addc_co_u32_e64 v41, s[0:1], 0, v35, s[0:1]
	v_cndmask_b32_e64 v29, 0, -1, vcc
	v_cmp_eq_u32_e32 vcc, v17, v21
	v_cmp_ne_u32_e64 s[0:1], 0, v37
	v_cndmask_b32_e32 v17, v33, v29, vcc
	v_cmp_ne_u32_e32 vcc, 0, v17
	v_cndmask_b32_e64 v21, v40, v38, s[0:1]
	v_cndmask_b32_e64 v37, v41, v39, s[0:1]
	v_cndmask_b32_e32 v21, v34, v21, vcc
	v_xor_b32_e32 v25, v36, v25
	v_cndmask_b32_e32 v17, v35, v37, vcc
	v_xor_b32_e32 v21, v21, v25
	v_xor_b32_e32 v17, v17, v25
	v_sub_co_u32_e32 v32, vcc, v21, v25
	v_subb_co_u32_e32 v33, vcc, v17, v25, vcc
.LBB69_51:                              ;   in Loop: Header=BB69_49 Depth=1
	s_andn2_saveexec_b64 s[0:1], s[6:7]
	s_cbranch_execz .LBB69_53
; %bb.52:                               ;   in Loop: Header=BB69_49 Depth=1
	v_cvt_f32_u32_e32 v17, v20
	v_sub_u32_e32 v21, 0, v20
	v_mov_b32_e32 v33, v24
	v_rcp_iflag_f32_e32 v17, v17
	v_mul_f32_e32 v17, 0x4f7ffffe, v17
	v_cvt_u32_f32_e32 v17, v17
	v_mul_lo_u32 v21, v21, v17
	v_mul_hi_u32 v21, v17, v21
	v_add_u32_e32 v17, v17, v21
	v_mul_hi_u32 v17, v16, v17
	v_mul_lo_u32 v21, v17, v20
	v_sub_u32_e32 v16, v16, v21
	v_add_u32_e32 v25, 1, v17
	v_sub_u32_e32 v21, v16, v20
	v_cmp_ge_u32_e32 vcc, v16, v20
	v_cndmask_b32_e32 v16, v16, v21, vcc
	v_cndmask_b32_e32 v17, v17, v25, vcc
	v_add_u32_e32 v21, 1, v17
	v_cmp_ge_u32_e32 vcc, v16, v20
	v_cndmask_b32_e32 v32, v17, v21, vcc
.LBB69_53:                              ;   in Loop: Header=BB69_49 Depth=1
	s_or_b64 exec, exec, s[0:1]
	v_or_b32_e32 v25, v19, v23
	v_cmp_ne_u64_e32 vcc, 0, v[24:25]
                                        ; implicit-def: $vgpr16_vgpr17
	s_and_saveexec_b64 s[0:1], vcc
	s_xor_b64 s[6:7], exec, s[0:1]
	s_cbranch_execz .LBB69_55
; %bb.54:                               ;   in Loop: Header=BB69_49 Depth=1
	v_ashrrev_i32_e32 v25, 31, v23
	v_add_co_u32_e32 v16, vcc, v22, v25
	v_addc_co_u32_e32 v17, vcc, v23, v25, vcc
	v_xor_b32_e32 v29, v17, v25
	v_xor_b32_e32 v36, v16, v25
	v_cvt_f32_u32_e32 v16, v36
	v_cvt_f32_u32_e32 v17, v29
	v_sub_co_u32_e32 v23, vcc, 0, v36
	v_subb_co_u32_e32 v34, vcc, 0, v29, vcc
	v_mac_f32_e32 v16, 0x4f800000, v17
	v_rcp_f32_e32 v16, v16
	v_mul_f32_e32 v16, 0x5f7ffffc, v16
	v_mul_f32_e32 v17, 0x2f800000, v16
	v_trunc_f32_e32 v17, v17
	v_mac_f32_e32 v16, 0xcf800000, v17
	v_cvt_u32_f32_e32 v22, v16
	v_cvt_u32_f32_e32 v35, v17
	v_mul_lo_u32 v20, v34, v22
	v_mad_u64_u32 v[16:17], s[0:1], v23, v22, 0
	v_mul_lo_u32 v21, v23, v35
	v_add3_u32 v17, v17, v21, v20
	v_mad_u64_u32 v[20:21], s[0:1], v22, v17, 0
	v_mul_hi_u32 v37, v22, v16
	v_add_co_u32_e32 v37, vcc, v37, v20
	v_addc_co_u32_e32 v38, vcc, 0, v21, vcc
	v_mad_u64_u32 v[20:21], s[0:1], v35, v17, 0
	v_mad_u64_u32 v[16:17], s[0:1], v35, v16, 0
	v_add_co_u32_e32 v16, vcc, v37, v16
	v_addc_co_u32_e32 v16, vcc, v38, v17, vcc
	v_addc_co_u32_e32 v17, vcc, 0, v21, vcc
	v_add_co_u32_e32 v16, vcc, v16, v20
	v_addc_co_u32_e32 v17, vcc, 0, v17, vcc
	v_add_co_u32_e32 v37, vcc, v22, v16
	v_addc_co_u32_e32 v38, vcc, v35, v17, vcc
	v_mul_lo_u32 v20, v23, v38
	v_mul_lo_u32 v21, v34, v37
	v_mad_u64_u32 v[16:17], s[0:1], v23, v37, 0
	v_add3_u32 v17, v17, v20, v21
	v_mad_u64_u32 v[22:23], s[0:1], v38, v16, 0
	v_mad_u64_u32 v[34:35], s[0:1], v37, v17, 0
	v_mul_hi_u32 v16, v37, v16
	v_add_co_u32_e32 v16, vcc, v16, v34
	v_mad_u64_u32 v[20:21], s[0:1], v38, v17, 0
	v_addc_co_u32_e32 v17, vcc, 0, v35, vcc
	v_add_co_u32_e32 v16, vcc, v16, v22
	v_addc_co_u32_e32 v16, vcc, v17, v23, vcc
	v_addc_co_u32_e32 v17, vcc, 0, v21, vcc
	v_add_co_u32_e32 v16, vcc, v16, v20
	v_addc_co_u32_e32 v17, vcc, 0, v17, vcc
	v_add_co_u32_e32 v20, vcc, v37, v16
	v_addc_co_u32_e32 v21, vcc, v38, v17, vcc
	v_ashrrev_i32_e32 v22, 31, v19
	v_add_co_u32_e32 v16, vcc, v18, v22
	v_addc_co_u32_e32 v17, vcc, v19, v22, vcc
	v_xor_b32_e32 v34, v16, v22
	v_xor_b32_e32 v23, v17, v22
	v_mad_u64_u32 v[16:17], s[0:1], v34, v21, 0
	v_mul_hi_u32 v18, v34, v20
	v_add_co_u32_e32 v35, vcc, v18, v16
	v_addc_co_u32_e32 v37, vcc, 0, v17, vcc
	v_mad_u64_u32 v[18:19], s[0:1], v23, v20, 0
	v_add_co_u32_e32 v18, vcc, v35, v18
	v_mad_u64_u32 v[16:17], s[0:1], v23, v21, 0
	v_addc_co_u32_e32 v18, vcc, v37, v19, vcc
	v_addc_co_u32_e32 v17, vcc, 0, v17, vcc
	v_add_co_u32_e32 v18, vcc, v18, v16
	v_addc_co_u32_e32 v19, vcc, 0, v17, vcc
	v_mul_lo_u32 v20, v29, v18
	v_mul_lo_u32 v21, v36, v19
	v_mad_u64_u32 v[16:17], s[0:1], v36, v18, 0
	v_add3_u32 v17, v17, v21, v20
	v_sub_u32_e32 v20, v23, v17
	v_sub_co_u32_e32 v16, vcc, v34, v16
	v_subb_co_u32_e64 v20, s[0:1], v20, v29, vcc
	v_sub_co_u32_e64 v21, s[0:1], v16, v36
	v_subbrev_co_u32_e64 v20, s[0:1], 0, v20, s[0:1]
	v_cmp_ge_u32_e64 s[0:1], v20, v29
	v_cndmask_b32_e64 v34, 0, -1, s[0:1]
	v_cmp_ge_u32_e64 s[0:1], v21, v36
	v_cndmask_b32_e64 v21, 0, -1, s[0:1]
	v_cmp_eq_u32_e64 s[0:1], v20, v29
	v_cndmask_b32_e64 v20, v34, v21, s[0:1]
	v_add_co_u32_e64 v21, s[0:1], 2, v18
	v_subb_co_u32_e32 v17, vcc, v23, v17, vcc
	v_addc_co_u32_e64 v34, s[0:1], 0, v19, s[0:1]
	v_cmp_ge_u32_e32 vcc, v17, v29
	v_add_co_u32_e64 v35, s[0:1], 1, v18
	v_cndmask_b32_e64 v23, 0, -1, vcc
	v_cmp_ge_u32_e32 vcc, v16, v36
	v_addc_co_u32_e64 v37, s[0:1], 0, v19, s[0:1]
	v_cndmask_b32_e64 v16, 0, -1, vcc
	v_cmp_eq_u32_e32 vcc, v17, v29
	v_cmp_ne_u32_e64 s[0:1], 0, v20
	v_cndmask_b32_e32 v16, v23, v16, vcc
	v_cndmask_b32_e64 v20, v37, v34, s[0:1]
	v_cmp_ne_u32_e32 vcc, 0, v16
	v_cndmask_b32_e64 v17, v35, v21, s[0:1]
	v_cndmask_b32_e32 v16, v19, v20, vcc
	v_cndmask_b32_e32 v17, v18, v17, vcc
	v_xor_b32_e32 v18, v22, v25
	v_xor_b32_e32 v19, v16, v18
	;; [unrolled: 1-line block ×3, first 2 shown]
	v_sub_co_u32_e32 v16, vcc, v16, v18
	v_subb_co_u32_e32 v17, vcc, v19, v18, vcc
                                        ; implicit-def: $vgpr22_vgpr23
                                        ; implicit-def: $vgpr18_vgpr19
.LBB69_55:                              ;   in Loop: Header=BB69_49 Depth=1
	s_andn2_saveexec_b64 s[0:1], s[6:7]
	s_cbranch_execz .LBB69_57
; %bb.56:                               ;   in Loop: Header=BB69_49 Depth=1
	v_cvt_f32_u32_e32 v16, v22
	v_sub_u32_e32 v17, 0, v22
	v_rcp_iflag_f32_e32 v16, v16
	v_mul_f32_e32 v16, 0x4f7ffffe, v16
	v_cvt_u32_f32_e32 v16, v16
	v_mul_lo_u32 v17, v17, v16
	v_mul_hi_u32 v17, v16, v17
	v_add_u32_e32 v16, v16, v17
	v_mul_hi_u32 v16, v18, v16
	v_mul_lo_u32 v17, v16, v22
	v_sub_u32_e32 v17, v18, v17
	v_add_u32_e32 v19, 1, v16
	v_sub_u32_e32 v18, v17, v22
	v_cmp_ge_u32_e32 vcc, v17, v22
	v_cndmask_b32_e32 v17, v17, v18, vcc
	v_cndmask_b32_e32 v16, v16, v19, vcc
	v_add_u32_e32 v18, 1, v16
	v_cmp_ge_u32_e32 vcc, v17, v22
	v_cndmask_b32_e32 v16, v16, v18, vcc
	v_mov_b32_e32 v17, v24
.LBB69_57:                              ;   in Loop: Header=BB69_49 Depth=1
	s_or_b64 exec, exec, s[0:1]
	v_or_b32_e32 v25, v9, v13
	v_cmp_ne_u64_e32 vcc, 0, v[24:25]
                                        ; implicit-def: $vgpr18_vgpr19
	s_and_saveexec_b64 s[0:1], vcc
	s_xor_b64 s[6:7], exec, s[0:1]
	s_cbranch_execz .LBB69_59
; %bb.58:                               ;   in Loop: Header=BB69_49 Depth=1
	v_ashrrev_i32_e32 v25, 31, v13
	v_add_co_u32_e32 v18, vcc, v12, v25
	v_addc_co_u32_e32 v13, vcc, v13, v25, vcc
	v_xor_b32_e32 v13, v13, v25
	v_xor_b32_e32 v29, v18, v25
	v_cvt_f32_u32_e32 v18, v29
	v_cvt_f32_u32_e32 v19, v13
	v_sub_co_u32_e32 v23, vcc, 0, v29
	v_subb_co_u32_e32 v34, vcc, 0, v13, vcc
	v_mac_f32_e32 v18, 0x4f800000, v19
	v_rcp_f32_e32 v18, v18
	v_mul_f32_e32 v18, 0x5f7ffffc, v18
	v_mul_f32_e32 v19, 0x2f800000, v18
	v_trunc_f32_e32 v19, v19
	v_mac_f32_e32 v18, 0xcf800000, v19
	v_cvt_u32_f32_e32 v22, v18
	v_cvt_u32_f32_e32 v35, v19
	v_mul_lo_u32 v20, v34, v22
	v_mad_u64_u32 v[18:19], s[0:1], v23, v22, 0
	v_mul_lo_u32 v21, v23, v35
	v_add3_u32 v19, v19, v21, v20
	v_mad_u64_u32 v[20:21], s[0:1], v22, v19, 0
	v_mul_hi_u32 v36, v22, v18
	v_add_co_u32_e32 v36, vcc, v36, v20
	v_addc_co_u32_e32 v37, vcc, 0, v21, vcc
	v_mad_u64_u32 v[20:21], s[0:1], v35, v19, 0
	v_mad_u64_u32 v[18:19], s[0:1], v35, v18, 0
	v_add_co_u32_e32 v18, vcc, v36, v18
	v_addc_co_u32_e32 v18, vcc, v37, v19, vcc
	v_addc_co_u32_e32 v19, vcc, 0, v21, vcc
	v_add_co_u32_e32 v18, vcc, v18, v20
	v_addc_co_u32_e32 v19, vcc, 0, v19, vcc
	v_add_co_u32_e32 v36, vcc, v22, v18
	v_addc_co_u32_e32 v37, vcc, v35, v19, vcc
	v_mul_lo_u32 v20, v23, v37
	v_mul_lo_u32 v21, v34, v36
	v_mad_u64_u32 v[18:19], s[0:1], v23, v36, 0
	v_add3_u32 v19, v19, v20, v21
	v_mad_u64_u32 v[22:23], s[0:1], v37, v18, 0
	v_mad_u64_u32 v[34:35], s[0:1], v36, v19, 0
	v_mul_hi_u32 v18, v36, v18
	v_add_co_u32_e32 v18, vcc, v18, v34
	v_mad_u64_u32 v[20:21], s[0:1], v37, v19, 0
	v_addc_co_u32_e32 v19, vcc, 0, v35, vcc
	v_add_co_u32_e32 v18, vcc, v18, v22
	v_addc_co_u32_e32 v18, vcc, v19, v23, vcc
	v_addc_co_u32_e32 v19, vcc, 0, v21, vcc
	v_add_co_u32_e32 v18, vcc, v18, v20
	v_addc_co_u32_e32 v19, vcc, 0, v19, vcc
	v_add_co_u32_e32 v20, vcc, v36, v18
	v_addc_co_u32_e32 v21, vcc, v37, v19, vcc
	v_ashrrev_i32_e32 v22, 31, v9
	v_add_co_u32_e32 v18, vcc, v8, v22
	v_xor_b32_e32 v23, v18, v22
	v_addc_co_u32_e32 v9, vcc, v9, v22, vcc
	v_mad_u64_u32 v[18:19], s[0:1], v23, v21, 0
	v_mul_hi_u32 v34, v23, v20
	v_xor_b32_e32 v9, v9, v22
	v_add_co_u32_e32 v34, vcc, v34, v18
	v_addc_co_u32_e32 v35, vcc, 0, v19, vcc
	v_mad_u64_u32 v[18:19], s[0:1], v9, v21, 0
	v_mad_u64_u32 v[20:21], s[0:1], v9, v20, 0
	v_add_co_u32_e32 v20, vcc, v34, v20
	v_addc_co_u32_e32 v20, vcc, v35, v21, vcc
	v_addc_co_u32_e32 v19, vcc, 0, v19, vcc
	v_add_co_u32_e32 v20, vcc, v20, v18
	v_addc_co_u32_e32 v21, vcc, 0, v19, vcc
	v_mul_lo_u32 v34, v13, v20
	v_mul_lo_u32 v35, v29, v21
	v_mad_u64_u32 v[18:19], s[0:1], v29, v20, 0
	v_add3_u32 v19, v19, v35, v34
	v_sub_u32_e32 v34, v9, v19
	v_sub_co_u32_e32 v18, vcc, v23, v18
	v_subb_co_u32_e64 v23, s[0:1], v34, v13, vcc
	v_sub_co_u32_e64 v34, s[0:1], v18, v29
	v_subbrev_co_u32_e64 v23, s[0:1], 0, v23, s[0:1]
	v_cmp_ge_u32_e64 s[0:1], v23, v13
	v_cndmask_b32_e64 v35, 0, -1, s[0:1]
	v_cmp_ge_u32_e64 s[0:1], v34, v29
	v_cndmask_b32_e64 v34, 0, -1, s[0:1]
	v_cmp_eq_u32_e64 s[0:1], v23, v13
	v_cndmask_b32_e64 v23, v35, v34, s[0:1]
	v_add_co_u32_e64 v34, s[0:1], 2, v20
	v_subb_co_u32_e32 v9, vcc, v9, v19, vcc
	v_addc_co_u32_e64 v35, s[0:1], 0, v21, s[0:1]
	v_cmp_ge_u32_e32 vcc, v9, v13
	v_add_co_u32_e64 v36, s[0:1], 1, v20
	v_cndmask_b32_e64 v19, 0, -1, vcc
	v_cmp_ge_u32_e32 vcc, v18, v29
	v_addc_co_u32_e64 v37, s[0:1], 0, v21, s[0:1]
	v_cndmask_b32_e64 v18, 0, -1, vcc
	v_cmp_eq_u32_e32 vcc, v9, v13
	v_cmp_ne_u32_e64 s[0:1], 0, v23
	v_cndmask_b32_e32 v9, v19, v18, vcc
	v_cmp_ne_u32_e32 vcc, 0, v9
	v_cndmask_b32_e64 v13, v36, v34, s[0:1]
	v_cndmask_b32_e64 v23, v37, v35, s[0:1]
	v_cndmask_b32_e32 v13, v20, v13, vcc
	v_xor_b32_e32 v19, v22, v25
	v_cndmask_b32_e32 v9, v21, v23, vcc
	v_xor_b32_e32 v13, v13, v19
	v_xor_b32_e32 v9, v9, v19
	v_sub_co_u32_e32 v18, vcc, v13, v19
	v_subb_co_u32_e32 v19, vcc, v9, v19, vcc
.LBB69_59:                              ;   in Loop: Header=BB69_49 Depth=1
	s_andn2_saveexec_b64 s[0:1], s[6:7]
	s_cbranch_execz .LBB69_61
; %bb.60:                               ;   in Loop: Header=BB69_49 Depth=1
	v_cvt_f32_u32_e32 v9, v12
	v_sub_u32_e32 v13, 0, v12
	v_mov_b32_e32 v19, v24
	v_rcp_iflag_f32_e32 v9, v9
	v_mul_f32_e32 v9, 0x4f7ffffe, v9
	v_cvt_u32_f32_e32 v9, v9
	v_mul_lo_u32 v13, v13, v9
	v_mul_hi_u32 v13, v9, v13
	v_add_u32_e32 v9, v9, v13
	v_mul_hi_u32 v9, v8, v9
	v_mul_lo_u32 v13, v9, v12
	v_sub_u32_e32 v8, v8, v13
	v_add_u32_e32 v18, 1, v9
	v_sub_u32_e32 v13, v8, v12
	v_cmp_ge_u32_e32 vcc, v8, v12
	v_cndmask_b32_e32 v8, v8, v13, vcc
	v_cndmask_b32_e32 v9, v9, v18, vcc
	v_add_u32_e32 v13, 1, v9
	v_cmp_ge_u32_e32 vcc, v8, v12
	v_cndmask_b32_e32 v18, v9, v13, vcc
.LBB69_61:                              ;   in Loop: Header=BB69_49 Depth=1
	s_or_b64 exec, exec, s[0:1]
	v_or_b32_e32 v25, v11, v15
	v_cmp_ne_u64_e32 vcc, 0, v[24:25]
                                        ; implicit-def: $vgpr8_vgpr9
	s_and_saveexec_b64 s[0:1], vcc
	s_xor_b64 s[6:7], exec, s[0:1]
	s_cbranch_execz .LBB69_63
; %bb.62:                               ;   in Loop: Header=BB69_49 Depth=1
	v_ashrrev_i32_e32 v22, 31, v15
	v_add_co_u32_e32 v8, vcc, v14, v22
	v_addc_co_u32_e32 v9, vcc, v15, v22, vcc
	v_xor_b32_e32 v23, v9, v22
	v_xor_b32_e32 v25, v8, v22
	v_cvt_f32_u32_e32 v8, v25
	v_cvt_f32_u32_e32 v9, v23
	v_sub_co_u32_e32 v15, vcc, 0, v25
	v_subb_co_u32_e32 v20, vcc, 0, v23, vcc
	v_mac_f32_e32 v8, 0x4f800000, v9
	v_rcp_f32_e32 v8, v8
	v_mul_f32_e32 v8, 0x5f7ffffc, v8
	v_mul_f32_e32 v9, 0x2f800000, v8
	v_trunc_f32_e32 v9, v9
	v_mac_f32_e32 v8, 0xcf800000, v9
	v_cvt_u32_f32_e32 v14, v8
	v_cvt_u32_f32_e32 v21, v9
	v_mul_lo_u32 v12, v20, v14
	v_mad_u64_u32 v[8:9], s[0:1], v15, v14, 0
	v_mul_lo_u32 v13, v15, v21
	v_add3_u32 v9, v9, v13, v12
	v_mad_u64_u32 v[12:13], s[0:1], v14, v9, 0
	v_mul_hi_u32 v29, v14, v8
	v_add_co_u32_e32 v29, vcc, v29, v12
	v_addc_co_u32_e32 v34, vcc, 0, v13, vcc
	v_mad_u64_u32 v[12:13], s[0:1], v21, v9, 0
	v_mad_u64_u32 v[8:9], s[0:1], v21, v8, 0
	v_add_co_u32_e32 v8, vcc, v29, v8
	v_addc_co_u32_e32 v8, vcc, v34, v9, vcc
	v_addc_co_u32_e32 v9, vcc, 0, v13, vcc
	v_add_co_u32_e32 v8, vcc, v8, v12
	v_addc_co_u32_e32 v9, vcc, 0, v9, vcc
	v_add_co_u32_e32 v29, vcc, v14, v8
	v_addc_co_u32_e32 v34, vcc, v21, v9, vcc
	v_mul_lo_u32 v12, v15, v34
	v_mul_lo_u32 v13, v20, v29
	v_mad_u64_u32 v[8:9], s[0:1], v15, v29, 0
	v_add3_u32 v9, v9, v12, v13
	v_mad_u64_u32 v[14:15], s[0:1], v34, v8, 0
	v_mad_u64_u32 v[20:21], s[0:1], v29, v9, 0
	v_mul_hi_u32 v8, v29, v8
	v_add_co_u32_e32 v8, vcc, v8, v20
	v_mad_u64_u32 v[12:13], s[0:1], v34, v9, 0
	v_addc_co_u32_e32 v9, vcc, 0, v21, vcc
	v_add_co_u32_e32 v8, vcc, v8, v14
	v_addc_co_u32_e32 v8, vcc, v9, v15, vcc
	v_addc_co_u32_e32 v9, vcc, 0, v13, vcc
	v_add_co_u32_e32 v8, vcc, v8, v12
	v_addc_co_u32_e32 v9, vcc, 0, v9, vcc
	v_add_co_u32_e32 v12, vcc, v29, v8
	v_addc_co_u32_e32 v13, vcc, v34, v9, vcc
	v_ashrrev_i32_e32 v14, 31, v11
	v_add_co_u32_e32 v8, vcc, v10, v14
	v_addc_co_u32_e32 v9, vcc, v11, v14, vcc
	v_xor_b32_e32 v20, v8, v14
	v_xor_b32_e32 v15, v9, v14
	v_mad_u64_u32 v[8:9], s[0:1], v20, v13, 0
	v_mul_hi_u32 v10, v20, v12
	v_add_co_u32_e32 v21, vcc, v10, v8
	v_addc_co_u32_e32 v29, vcc, 0, v9, vcc
	v_mad_u64_u32 v[10:11], s[0:1], v15, v12, 0
	v_add_co_u32_e32 v10, vcc, v21, v10
	v_mad_u64_u32 v[8:9], s[0:1], v15, v13, 0
	v_addc_co_u32_e32 v10, vcc, v29, v11, vcc
	v_addc_co_u32_e32 v9, vcc, 0, v9, vcc
	v_add_co_u32_e32 v10, vcc, v10, v8
	v_addc_co_u32_e32 v11, vcc, 0, v9, vcc
	v_mul_lo_u32 v12, v23, v10
	v_mul_lo_u32 v13, v25, v11
	v_mad_u64_u32 v[8:9], s[0:1], v25, v10, 0
	v_add3_u32 v9, v9, v13, v12
	v_sub_u32_e32 v12, v15, v9
	v_sub_co_u32_e32 v8, vcc, v20, v8
	v_subb_co_u32_e64 v12, s[0:1], v12, v23, vcc
	v_sub_co_u32_e64 v13, s[0:1], v8, v25
	v_subbrev_co_u32_e64 v12, s[0:1], 0, v12, s[0:1]
	v_cmp_ge_u32_e64 s[0:1], v12, v23
	v_cndmask_b32_e64 v20, 0, -1, s[0:1]
	v_cmp_ge_u32_e64 s[0:1], v13, v25
	v_cndmask_b32_e64 v13, 0, -1, s[0:1]
	v_cmp_eq_u32_e64 s[0:1], v12, v23
	v_cndmask_b32_e64 v12, v20, v13, s[0:1]
	v_add_co_u32_e64 v13, s[0:1], 2, v10
	v_subb_co_u32_e32 v9, vcc, v15, v9, vcc
	v_addc_co_u32_e64 v20, s[0:1], 0, v11, s[0:1]
	v_cmp_ge_u32_e32 vcc, v9, v23
	v_add_co_u32_e64 v21, s[0:1], 1, v10
	v_cndmask_b32_e64 v15, 0, -1, vcc
	v_cmp_ge_u32_e32 vcc, v8, v25
	v_addc_co_u32_e64 v29, s[0:1], 0, v11, s[0:1]
	v_cndmask_b32_e64 v8, 0, -1, vcc
	v_cmp_eq_u32_e32 vcc, v9, v23
	v_cmp_ne_u32_e64 s[0:1], 0, v12
	v_cndmask_b32_e32 v8, v15, v8, vcc
	v_cndmask_b32_e64 v12, v29, v20, s[0:1]
	v_cmp_ne_u32_e32 vcc, 0, v8
	v_cndmask_b32_e64 v9, v21, v13, s[0:1]
	v_cndmask_b32_e32 v8, v11, v12, vcc
	v_cndmask_b32_e32 v9, v10, v9, vcc
	v_xor_b32_e32 v10, v14, v22
	v_xor_b32_e32 v11, v8, v10
	;; [unrolled: 1-line block ×3, first 2 shown]
	v_sub_co_u32_e32 v8, vcc, v8, v10
	v_subb_co_u32_e32 v9, vcc, v11, v10, vcc
                                        ; implicit-def: $vgpr14_vgpr15
                                        ; implicit-def: $vgpr10_vgpr11
.LBB69_63:                              ;   in Loop: Header=BB69_49 Depth=1
	s_andn2_saveexec_b64 s[0:1], s[6:7]
	s_cbranch_execz .LBB69_48
; %bb.64:                               ;   in Loop: Header=BB69_49 Depth=1
	v_cvt_f32_u32_e32 v8, v14
	v_sub_u32_e32 v9, 0, v14
	v_rcp_iflag_f32_e32 v8, v8
	v_mul_f32_e32 v8, 0x4f7ffffe, v8
	v_cvt_u32_f32_e32 v8, v8
	v_mul_lo_u32 v9, v9, v8
	v_mul_hi_u32 v9, v8, v9
	v_add_u32_e32 v8, v8, v9
	v_mul_hi_u32 v8, v10, v8
	v_mul_lo_u32 v9, v8, v14
	v_sub_u32_e32 v9, v10, v9
	v_add_u32_e32 v11, 1, v8
	v_sub_u32_e32 v10, v9, v14
	v_cmp_ge_u32_e32 vcc, v9, v14
	v_cndmask_b32_e32 v9, v9, v10, vcc
	v_cndmask_b32_e32 v8, v8, v11, vcc
	v_add_u32_e32 v10, 1, v8
	v_cmp_ge_u32_e32 vcc, v9, v14
	v_cndmask_b32_e32 v8, v8, v10, vcc
	v_mov_b32_e32 v9, v24
	s_branch .LBB69_48
.LBB69_65:
	s_endpgm
	.section	.rodata,"a",@progbits
	.p2align	6, 0x0
	.amdhsa_kernel _ZN2at6native12_GLOBAL__N_125multi_tensor_apply_kernelINS1_18TensorListMetadataILi3EEENS1_24PointwiseOpScalarFunctorIlLi3ELi3ELi0EEEJSt7dividesIlElEEEvT_T0_DpT1_
		.amdhsa_group_segment_fixed_size 0
		.amdhsa_private_segment_fixed_size 0
		.amdhsa_kernarg_size 3416
		.amdhsa_user_sgpr_count 6
		.amdhsa_user_sgpr_private_segment_buffer 1
		.amdhsa_user_sgpr_dispatch_ptr 0
		.amdhsa_user_sgpr_queue_ptr 0
		.amdhsa_user_sgpr_kernarg_segment_ptr 1
		.amdhsa_user_sgpr_dispatch_id 0
		.amdhsa_user_sgpr_flat_scratch_init 0
		.amdhsa_user_sgpr_kernarg_preload_length 0
		.amdhsa_user_sgpr_kernarg_preload_offset 0
		.amdhsa_user_sgpr_private_segment_size 0
		.amdhsa_uses_dynamic_stack 0
		.amdhsa_system_sgpr_private_segment_wavefront_offset 0
		.amdhsa_system_sgpr_workgroup_id_x 1
		.amdhsa_system_sgpr_workgroup_id_y 0
		.amdhsa_system_sgpr_workgroup_id_z 0
		.amdhsa_system_sgpr_workgroup_info 0
		.amdhsa_system_vgpr_workitem_id 0
		.amdhsa_next_free_vgpr 67
		.amdhsa_next_free_sgpr 34
		.amdhsa_accum_offset 68
		.amdhsa_reserve_vcc 1
		.amdhsa_reserve_flat_scratch 0
		.amdhsa_float_round_mode_32 0
		.amdhsa_float_round_mode_16_64 0
		.amdhsa_float_denorm_mode_32 3
		.amdhsa_float_denorm_mode_16_64 3
		.amdhsa_dx10_clamp 1
		.amdhsa_ieee_mode 1
		.amdhsa_fp16_overflow 0
		.amdhsa_tg_split 0
		.amdhsa_exception_fp_ieee_invalid_op 0
		.amdhsa_exception_fp_denorm_src 0
		.amdhsa_exception_fp_ieee_div_zero 0
		.amdhsa_exception_fp_ieee_overflow 0
		.amdhsa_exception_fp_ieee_underflow 0
		.amdhsa_exception_fp_ieee_inexact 0
		.amdhsa_exception_int_div_zero 0
	.end_amdhsa_kernel
	.section	.text._ZN2at6native12_GLOBAL__N_125multi_tensor_apply_kernelINS1_18TensorListMetadataILi3EEENS1_24PointwiseOpScalarFunctorIlLi3ELi3ELi0EEEJSt7dividesIlElEEEvT_T0_DpT1_,"axG",@progbits,_ZN2at6native12_GLOBAL__N_125multi_tensor_apply_kernelINS1_18TensorListMetadataILi3EEENS1_24PointwiseOpScalarFunctorIlLi3ELi3ELi0EEEJSt7dividesIlElEEEvT_T0_DpT1_,comdat
.Lfunc_end69:
	.size	_ZN2at6native12_GLOBAL__N_125multi_tensor_apply_kernelINS1_18TensorListMetadataILi3EEENS1_24PointwiseOpScalarFunctorIlLi3ELi3ELi0EEEJSt7dividesIlElEEEvT_T0_DpT1_, .Lfunc_end69-_ZN2at6native12_GLOBAL__N_125multi_tensor_apply_kernelINS1_18TensorListMetadataILi3EEENS1_24PointwiseOpScalarFunctorIlLi3ELi3ELi0EEEJSt7dividesIlElEEEvT_T0_DpT1_
                                        ; -- End function
	.section	.AMDGPU.csdata,"",@progbits
; Kernel info:
; codeLenInByte = 7732
; NumSgprs: 38
; NumVgprs: 67
; NumAgprs: 0
; TotalNumVgprs: 67
; ScratchSize: 0
; MemoryBound: 1
; FloatMode: 240
; IeeeMode: 1
; LDSByteSize: 0 bytes/workgroup (compile time only)
; SGPRBlocks: 4
; VGPRBlocks: 8
; NumSGPRsForWavesPerEU: 38
; NumVGPRsForWavesPerEU: 67
; AccumOffset: 68
; Occupancy: 7
; WaveLimiterHint : 0
; COMPUTE_PGM_RSRC2:SCRATCH_EN: 0
; COMPUTE_PGM_RSRC2:USER_SGPR: 6
; COMPUTE_PGM_RSRC2:TRAP_HANDLER: 0
; COMPUTE_PGM_RSRC2:TGID_X_EN: 1
; COMPUTE_PGM_RSRC2:TGID_Y_EN: 0
; COMPUTE_PGM_RSRC2:TGID_Z_EN: 0
; COMPUTE_PGM_RSRC2:TIDIG_COMP_CNT: 0
; COMPUTE_PGM_RSRC3_GFX90A:ACCUM_OFFSET: 16
; COMPUTE_PGM_RSRC3_GFX90A:TG_SPLIT: 0
	.section	.text._ZN2at6native12_GLOBAL__N_125multi_tensor_apply_kernelINS1_18TensorListMetadataILi3EEENS1_24PointwiseOpScalarFunctorIsLi3ELi3ELi0EEEJSt7dividesIsEsEEEvT_T0_DpT1_,"axG",@progbits,_ZN2at6native12_GLOBAL__N_125multi_tensor_apply_kernelINS1_18TensorListMetadataILi3EEENS1_24PointwiseOpScalarFunctorIsLi3ELi3ELi0EEEJSt7dividesIsEsEEEvT_T0_DpT1_,comdat
	.globl	_ZN2at6native12_GLOBAL__N_125multi_tensor_apply_kernelINS1_18TensorListMetadataILi3EEENS1_24PointwiseOpScalarFunctorIsLi3ELi3ELi0EEEJSt7dividesIsEsEEEvT_T0_DpT1_ ; -- Begin function _ZN2at6native12_GLOBAL__N_125multi_tensor_apply_kernelINS1_18TensorListMetadataILi3EEENS1_24PointwiseOpScalarFunctorIsLi3ELi3ELi0EEEJSt7dividesIsEsEEEvT_T0_DpT1_
	.p2align	8
	.type	_ZN2at6native12_GLOBAL__N_125multi_tensor_apply_kernelINS1_18TensorListMetadataILi3EEENS1_24PointwiseOpScalarFunctorIsLi3ELi3ELi0EEEJSt7dividesIsEsEEEvT_T0_DpT1_,@function
_ZN2at6native12_GLOBAL__N_125multi_tensor_apply_kernelINS1_18TensorListMetadataILi3EEENS1_24PointwiseOpScalarFunctorIsLi3ELi3ELi0EEEJSt7dividesIsEsEEEvT_T0_DpT1_: ; @_ZN2at6native12_GLOBAL__N_125multi_tensor_apply_kernelINS1_18TensorListMetadataILi3EEENS1_24PointwiseOpScalarFunctorIsLi3ELi3ELi0EEEJSt7dividesIsEsEEEvT_T0_DpT1_
; %bb.0:
	v_mov_b32_e32 v1, s6
	global_load_ubyte v1, v1, s[4:5] offset:1536
	s_load_dword s0, s[4:5], 0xc48
	s_mul_i32 s7, s6, 3
	s_mul_hi_u32 s2, s6, 3
	s_mov_b32 s1, 0
	s_mov_b32 s3, s1
	s_waitcnt lgkmcnt(0)
	s_lshr_b32 s26, s0, 16
	s_add_u32 s0, s4, s6
	s_addc_u32 s8, s5, 0
	s_add_u32 s6, s0, s7
	s_addc_u32 s7, s8, s2
	s_load_dword s6, s[6:7], 0x740
	s_waitcnt lgkmcnt(0)
	s_ashr_i32 s7, s6, 31
	s_lshl_b64 s[18:19], s[6:7], 17
	s_waitcnt vmcnt(0)
	v_readfirstlane_b32 s0, v1
	s_lshl_b32 s0, s0, 3
	s_load_dwordx2 s[10:11], s[4:5], s0 offset:0x0
	s_load_dwordx2 s[12:13], s[4:5], s0 offset:0x180
	;; [unrolled: 1-line block ×4, first 2 shown]
	s_waitcnt lgkmcnt(0)
	s_and_b32 s0, s10, 7
	s_add_u32 s2, s12, s18
	s_or_b32 s2, s14, s2
	s_and_b32 s2, s2, 7
	s_cmp_eq_u32 s2, 0
	s_cselect_b64 s[20:21], -1, 0
	s_lshl_b64 s[6:7], s[6:7], 16
	s_sub_u32 s16, s8, s6
	s_subb_u32 s17, s9, s7
	s_and_b32 s2, s8, 3
	s_or_b64 s[0:1], s[0:1], s[2:3]
	s_cmp_eq_u64 s[0:1], 0
	s_cselect_b64 s[0:1], -1, 0
	s_and_b64 s[2:3], s[20:21], s[0:1]
	s_mov_b64 s[0:1], -1
	s_and_b64 vcc, exec, s[2:3]
	s_cbranch_vccnz .LBB70_29
; %bb.1:
	v_cmp_lt_i64_e64 s[0:1], s[16:17], 1
	s_and_b64 vcc, exec, s[0:1]
	s_cbranch_vccnz .LBB70_28
; %bb.2:
	s_load_dword s0, s[4:5], 0xc5c
	v_mov_b32_e32 v2, 0x10000
	v_mov_b32_e32 v3, 0
	v_cmp_lt_u64_e32 vcc, s[16:17], v[2:3]
	v_lshlrev_b32_e32 v14, 1, v0
	s_waitcnt lgkmcnt(0)
	s_and_b32 s2, s0, 0xffff
	s_and_b64 s[0:1], vcc, exec
	v_mov_b32_e32 v19, s11
	v_add_co_u32_e32 v2, vcc, s10, v14
	v_addc_co_u32_e32 v1, vcc, 0, v19, vcc
	v_mov_b32_e32 v21, s13
	v_add_co_u32_e32 v4, vcc, s12, v14
	v_addc_co_u32_e32 v3, vcc, 0, v21, vcc
	v_mov_b32_e32 v15, 0
	v_mov_b32_e32 v23, s15
	v_add_co_u32_e32 v6, vcc, s14, v14
	v_addc_co_u32_e32 v5, vcc, 0, v23, vcc
	v_mad_u64_u32 v[12:13], s[0:1], s2, 6, v[14:15]
	v_add_co_u32_e32 v8, vcc, s10, v12
	v_addc_co_u32_e32 v7, vcc, v19, v13, vcc
	v_add_co_u32_e32 v10, vcc, s12, v12
	v_addc_co_u32_e32 v9, vcc, v21, v13, vcc
	v_add_co_u32_e32 v12, vcc, s14, v12
	s_mul_i32 s6, s2, 3
	v_addc_co_u32_e32 v11, vcc, v23, v13, vcc
	s_cselect_b32 s21, s17, 0
	s_cselect_b32 s20, s16, 0x10000
	s_lshl_b32 s28, s2, 2
	v_add_co_u32_e32 v25, vcc, s6, v0
	v_addc_co_u32_e64 v26, s[0:1], 0, 0, vcc
	v_add_co_u32_e32 v17, vcc, s28, v14
	v_addc_co_u32_e64 v20, s[0:1], 0, 0, vcc
	v_add_co_u32_e32 v14, vcc, s10, v17
	v_addc_co_u32_e32 v13, vcc, v19, v20, vcc
	v_add_co_u32_e32 v16, vcc, s12, v17
	v_addc_co_u32_e32 v15, vcc, v21, v20, vcc
	v_add_co_u32_e32 v18, vcc, s14, v17
	s_lshl_b32 s3, s2, 1
	v_addc_co_u32_e32 v17, vcc, v23, v20, vcc
	v_add_co_u32_e32 v27, vcc, s3, v0
	v_addc_co_u32_e64 v28, s[0:1], 0, 0, vcc
	v_add_co_u32_e32 v29, vcc, s2, v0
	v_lshlrev_b32_e32 v24, 1, v29
	v_addc_co_u32_e64 v30, s[0:1], 0, 0, vcc
	v_add_co_u32_e32 v20, vcc, s10, v24
	v_addc_co_u32_e32 v19, vcc, 0, v19, vcc
	v_add_co_u32_e32 v22, vcc, s12, v24
	v_addc_co_u32_e32 v21, vcc, 0, v21, vcc
	v_add_co_u32_e32 v24, vcc, s14, v24
	s_mov_b32 s27, 0
	s_lshl_b32 s29, s2, 3
	v_addc_co_u32_e32 v23, vcc, 0, v23, vcc
	s_mov_b64 s[22:23], 0
	s_branch .LBB70_4
.LBB70_3:                               ;   in Loop: Header=BB70_4 Depth=1
	s_or_b64 exec, exec, s[0:1]
	s_add_u32 s22, s22, s28
	s_addc_u32 s23, s23, 0
	s_waitcnt vmcnt(1)
	v_pk_mov_b32 v[32:33], s[16:17], s[16:17] op_sel:[0,1]
	v_cmp_lt_i64_e32 vcc, s[22:23], v[32:33]
	v_mov_b32_e32 v32, 0x10000
	v_mov_b32_e32 v33, 0
	v_cmp_lt_u64_e64 s[0:1], s[22:23], v[32:33]
	s_and_b64 s[0:1], vcc, s[0:1]
	v_mov_b32_e32 v31, s27
	v_add_co_u32_e32 v2, vcc, s29, v2
	v_addc_co_u32_e32 v1, vcc, v1, v31, vcc
	v_add_co_u32_e32 v4, vcc, s29, v4
	v_addc_co_u32_e32 v3, vcc, v3, v31, vcc
	;; [unrolled: 2-line block ×12, first 2 shown]
	s_and_b64 vcc, exec, s[0:1]
	s_cbranch_vccz .LBB70_28
.LBB70_4:                               ; =>This Inner Loop Header: Depth=1
	v_mov_b32_e32 v31, s23
	v_add_co_u32_e32 v32, vcc, s22, v0
	v_addc_co_u32_e32 v33, vcc, 0, v31, vcc
	v_cmp_gt_u64_e32 vcc, s[20:21], v[32:33]
	v_mov_b32_e32 v32, 0
	s_waitcnt vmcnt(0)
	v_mov_b32_e32 v35, 0
	s_and_saveexec_b64 s[2:3], vcc
	s_cbranch_execz .LBB70_6
; %bb.5:                                ;   in Loop: Header=BB70_4 Depth=1
	v_mov_b32_e32 v31, s19
	v_add_co_u32_e64 v36, s[0:1], s18, v2
	v_addc_co_u32_e64 v37, s[0:1], v1, v31, s[0:1]
	v_add_co_u32_e64 v38, s[0:1], s18, v4
	v_addc_co_u32_e64 v39, s[0:1], v3, v31, s[0:1]
	global_load_ushort v32, v[36:37], off
	global_load_ushort v35, v[38:39], off
.LBB70_6:                               ;   in Loop: Header=BB70_4 Depth=1
	s_or_b64 exec, exec, s[2:3]
	v_mov_b32_e32 v31, 0
	v_mov_b32_e32 v37, 0
	s_and_saveexec_b64 s[2:3], vcc
	s_cbranch_execz .LBB70_8
; %bb.7:                                ;   in Loop: Header=BB70_4 Depth=1
	v_mov_b32_e32 v33, s19
	v_add_co_u32_e64 v36, s[0:1], s18, v6
	v_addc_co_u32_e64 v37, s[0:1], v5, v33, s[0:1]
	global_load_ushort v37, v[36:37], off
.LBB70_8:                               ;   in Loop: Header=BB70_4 Depth=1
	s_or_b64 exec, exec, s[2:3]
	v_mov_b32_e32 v33, s23
	v_add_co_u32_e64 v38, s[0:1], s22, v29
	v_addc_co_u32_e64 v39, s[0:1], v30, v33, s[0:1]
	v_cmp_gt_u64_e64 s[0:1], s[20:21], v[38:39]
	v_mov_b32_e32 v36, 0
	s_and_saveexec_b64 s[6:7], s[0:1]
	s_cbranch_execz .LBB70_10
; %bb.9:                                ;   in Loop: Header=BB70_4 Depth=1
	v_mov_b32_e32 v31, s19
	v_add_co_u32_e64 v38, s[2:3], s18, v22
	v_addc_co_u32_e64 v39, s[2:3], v21, v31, s[2:3]
	v_add_co_u32_e64 v40, s[2:3], s18, v20
	v_addc_co_u32_e64 v41, s[2:3], v19, v31, s[2:3]
	global_load_ushort v31, v[40:41], off
	global_load_ushort v36, v[38:39], off
.LBB70_10:                              ;   in Loop: Header=BB70_4 Depth=1
	s_or_b64 exec, exec, s[6:7]
	v_mov_b32_e32 v33, 0
	v_mov_b32_e32 v39, 0
	s_and_saveexec_b64 s[6:7], s[0:1]
	s_cbranch_execz .LBB70_12
; %bb.11:                               ;   in Loop: Header=BB70_4 Depth=1
	v_mov_b32_e32 v34, s19
	v_add_co_u32_e64 v38, s[2:3], s18, v24
	v_addc_co_u32_e64 v39, s[2:3], v23, v34, s[2:3]
	global_load_ushort v39, v[38:39], off
.LBB70_12:                              ;   in Loop: Header=BB70_4 Depth=1
	s_or_b64 exec, exec, s[6:7]
	v_mov_b32_e32 v34, s23
	v_add_co_u32_e64 v40, s[2:3], s22, v27
	v_addc_co_u32_e64 v41, s[2:3], v28, v34, s[2:3]
	v_cmp_gt_u64_e64 s[2:3], s[20:21], v[40:41]
	v_mov_b32_e32 v38, 0
	s_and_saveexec_b64 s[8:9], s[2:3]
	s_cbranch_execz .LBB70_14
; %bb.13:                               ;   in Loop: Header=BB70_4 Depth=1
	v_mov_b32_e32 v33, s19
	v_add_co_u32_e64 v40, s[6:7], s18, v16
	v_addc_co_u32_e64 v41, s[6:7], v15, v33, s[6:7]
	v_add_co_u32_e64 v42, s[6:7], s18, v14
	v_addc_co_u32_e64 v43, s[6:7], v13, v33, s[6:7]
	global_load_ushort v33, v[42:43], off
	global_load_ushort v38, v[40:41], off
.LBB70_14:                              ;   in Loop: Header=BB70_4 Depth=1
	s_or_b64 exec, exec, s[8:9]
	v_mov_b32_e32 v34, 0
	v_mov_b32_e32 v41, 0
	s_and_saveexec_b64 s[8:9], s[2:3]
	s_cbranch_execz .LBB70_16
; %bb.15:                               ;   in Loop: Header=BB70_4 Depth=1
	v_mov_b32_e32 v41, s19
	v_add_co_u32_e64 v40, s[6:7], s18, v18
	v_addc_co_u32_e64 v41, s[6:7], v17, v41, s[6:7]
	global_load_ushort v41, v[40:41], off
.LBB70_16:                              ;   in Loop: Header=BB70_4 Depth=1
	s_or_b64 exec, exec, s[8:9]
	v_mov_b32_e32 v40, s23
	v_add_co_u32_e64 v42, s[6:7], s22, v25
	v_addc_co_u32_e64 v43, s[6:7], v26, v40, s[6:7]
	v_cmp_gt_u64_e64 s[6:7], s[20:21], v[42:43]
	v_mov_b32_e32 v40, 0
	s_and_saveexec_b64 s[24:25], s[6:7]
	s_cbranch_execnz .LBB70_22
; %bb.17:                               ;   in Loop: Header=BB70_4 Depth=1
	s_or_b64 exec, exec, s[24:25]
	v_mov_b32_e32 v42, 0
	s_and_saveexec_b64 s[24:25], s[6:7]
	s_cbranch_execnz .LBB70_23
.LBB70_18:                              ;   in Loop: Header=BB70_4 Depth=1
	s_or_b64 exec, exec, s[24:25]
	s_and_saveexec_b64 s[8:9], vcc
	s_cbranch_execnz .LBB70_24
.LBB70_19:                              ;   in Loop: Header=BB70_4 Depth=1
	s_or_b64 exec, exec, s[8:9]
	s_and_saveexec_b64 s[8:9], s[0:1]
	s_cbranch_execnz .LBB70_25
.LBB70_20:                              ;   in Loop: Header=BB70_4 Depth=1
	s_or_b64 exec, exec, s[8:9]
	s_and_saveexec_b64 s[0:1], s[2:3]
	s_cbranch_execnz .LBB70_26
.LBB70_21:                              ;   in Loop: Header=BB70_4 Depth=1
	s_or_b64 exec, exec, s[0:1]
	s_and_saveexec_b64 s[0:1], s[6:7]
	s_cbranch_execz .LBB70_3
	s_branch .LBB70_27
.LBB70_22:                              ;   in Loop: Header=BB70_4 Depth=1
	v_mov_b32_e32 v34, s19
	v_add_co_u32_e64 v42, s[8:9], s18, v10
	v_addc_co_u32_e64 v43, s[8:9], v9, v34, s[8:9]
	v_add_co_u32_e64 v44, s[8:9], s18, v8
	v_addc_co_u32_e64 v45, s[8:9], v7, v34, s[8:9]
	global_load_ushort v34, v[44:45], off
	global_load_ushort v40, v[42:43], off
	s_or_b64 exec, exec, s[24:25]
	v_mov_b32_e32 v42, 0
	s_and_saveexec_b64 s[24:25], s[6:7]
	s_cbranch_execz .LBB70_18
.LBB70_23:                              ;   in Loop: Header=BB70_4 Depth=1
	v_mov_b32_e32 v43, s19
	v_add_co_u32_e64 v42, s[8:9], s18, v12
	v_addc_co_u32_e64 v43, s[8:9], v11, v43, s[8:9]
	global_load_ushort v42, v[42:43], off
	s_or_b64 exec, exec, s[24:25]
	s_and_saveexec_b64 s[8:9], vcc
	s_cbranch_execz .LBB70_19
.LBB70_24:                              ;   in Loop: Header=BB70_4 Depth=1
	s_waitcnt vmcnt(0)
	v_cvt_f32_i32_sdwa v43, sext(v37) dst_sel:DWORD dst_unused:UNUSED_PAD src0_sel:WORD_0
	v_xor_b32_sdwa v37, sext(v35), sext(v37) dst_sel:DWORD dst_unused:UNUSED_PAD src0_sel:WORD_0 src1_sel:WORD_0
	v_cvt_f32_i32_sdwa v35, sext(v35) dst_sel:DWORD dst_unused:UNUSED_PAD src0_sel:WORD_0
	v_ashrrev_i32_e32 v37, 30, v37
	v_rcp_iflag_f32_e32 v44, v43
	v_or_b32_e32 v37, 1, v37
	v_mov_b32_e32 v45, s19
	v_mul_f32_e32 v44, v35, v44
	v_trunc_f32_e32 v44, v44
	v_cvt_i32_f32_e32 v46, v44
	v_mad_f32 v35, -v44, v43, v35
	v_cmp_ge_f32_e64 vcc, |v35|, |v43|
	v_cndmask_b32_e32 v35, 0, v37, vcc
	v_add_u32_e32 v35, v46, v35
	v_add_co_u32_e32 v44, vcc, s18, v2
	v_mad_legacy_u16 v32, v35, s26, v32
	v_addc_co_u32_e32 v45, vcc, v1, v45, vcc
	global_store_short v[44:45], v32, off
	s_or_b64 exec, exec, s[8:9]
	s_and_saveexec_b64 s[8:9], s[0:1]
	s_cbranch_execz .LBB70_20
.LBB70_25:                              ;   in Loop: Header=BB70_4 Depth=1
	s_waitcnt vmcnt(0)
	v_cvt_f32_i32_sdwa v32, sext(v39) dst_sel:DWORD dst_unused:UNUSED_PAD src0_sel:WORD_0
	v_xor_b32_sdwa v35, sext(v36), sext(v39) dst_sel:DWORD dst_unused:UNUSED_PAD src0_sel:WORD_0 src1_sel:WORD_0
	v_cvt_f32_i32_sdwa v36, sext(v36) dst_sel:DWORD dst_unused:UNUSED_PAD src0_sel:WORD_0
	v_ashrrev_i32_e32 v35, 30, v35
	v_rcp_iflag_f32_e32 v37, v32
	v_or_b32_e32 v35, 1, v35
	v_mov_b32_e32 v39, s19
	v_mul_f32_e32 v37, v36, v37
	v_trunc_f32_e32 v37, v37
	v_cvt_i32_f32_e32 v43, v37
	v_mad_f32 v36, -v37, v32, v36
	v_cmp_ge_f32_e64 vcc, |v36|, |v32|
	v_cndmask_b32_e32 v32, 0, v35, vcc
	v_add_u32_e32 v32, v43, v32
	v_add_co_u32_e32 v36, vcc, s18, v20
	v_mad_legacy_u16 v31, v32, s26, v31
	v_addc_co_u32_e32 v37, vcc, v19, v39, vcc
	global_store_short v[36:37], v31, off
	s_or_b64 exec, exec, s[8:9]
	s_and_saveexec_b64 s[0:1], s[2:3]
	s_cbranch_execz .LBB70_21
.LBB70_26:                              ;   in Loop: Header=BB70_4 Depth=1
	s_waitcnt vmcnt(0)
	v_cvt_f32_i32_sdwa v31, sext(v41) dst_sel:DWORD dst_unused:UNUSED_PAD src0_sel:WORD_0
	v_cvt_f32_i32_sdwa v35, sext(v38) dst_sel:DWORD dst_unused:UNUSED_PAD src0_sel:WORD_0
	v_xor_b32_sdwa v32, sext(v38), sext(v41) dst_sel:DWORD dst_unused:UNUSED_PAD src0_sel:WORD_0 src1_sel:WORD_0
	v_ashrrev_i32_e32 v32, 30, v32
	v_rcp_iflag_f32_e32 v36, v31
	v_or_b32_e32 v32, 1, v32
	v_mov_b32_e32 v37, s19
	v_mul_f32_e32 v36, v35, v36
	v_trunc_f32_e32 v36, v36
	v_cvt_i32_f32_e32 v38, v36
	v_mad_f32 v35, -v36, v31, v35
	v_cmp_ge_f32_e64 vcc, |v35|, |v31|
	v_cndmask_b32_e32 v31, 0, v32, vcc
	v_add_u32_e32 v31, v38, v31
	v_add_co_u32_e32 v32, vcc, s18, v14
	v_mad_legacy_u16 v31, v31, s26, v33
	v_addc_co_u32_e32 v33, vcc, v13, v37, vcc
	global_store_short v[32:33], v31, off
	s_or_b64 exec, exec, s[0:1]
	s_and_saveexec_b64 s[0:1], s[6:7]
	s_cbranch_execz .LBB70_3
.LBB70_27:                              ;   in Loop: Header=BB70_4 Depth=1
	s_waitcnt vmcnt(0)
	v_cvt_f32_i32_sdwa v31, sext(v42) dst_sel:DWORD dst_unused:UNUSED_PAD src0_sel:WORD_0
	v_cvt_f32_i32_sdwa v33, sext(v40) dst_sel:DWORD dst_unused:UNUSED_PAD src0_sel:WORD_0
	v_xor_b32_sdwa v32, sext(v40), sext(v42) dst_sel:DWORD dst_unused:UNUSED_PAD src0_sel:WORD_0 src1_sel:WORD_0
	v_ashrrev_i32_e32 v32, 30, v32
	v_rcp_iflag_f32_e32 v35, v31
	v_or_b32_e32 v32, 1, v32
	v_mov_b32_e32 v36, s19
	v_mul_f32_e32 v35, v33, v35
	v_trunc_f32_e32 v35, v35
	v_cvt_i32_f32_e32 v37, v35
	v_mad_f32 v33, -v35, v31, v33
	v_cmp_ge_f32_e64 vcc, |v33|, |v31|
	v_cndmask_b32_e32 v31, 0, v32, vcc
	v_add_u32_e32 v31, v37, v31
	v_add_co_u32_e32 v32, vcc, s18, v8
	v_mad_legacy_u16 v31, v31, s26, v34
	v_addc_co_u32_e32 v33, vcc, v7, v36, vcc
	global_store_short v[32:33], v31, off
	s_branch .LBB70_3
.LBB70_28:
	s_mov_b64 s[0:1], 0
.LBB70_29:
	s_andn2_b64 vcc, exec, s[0:1]
	s_cbranch_vccnz .LBB70_33
; %bb.30:
	v_mov_b32_e32 v3, 0
	v_lshlrev_b32_e32 v2, 2, v0
	s_mov_b32 s0, 0
	v_cmp_gt_i64_e32 vcc, s[16:17], v[2:3]
	s_and_saveexec_b64 s[2:3], vcc
	s_cbranch_execz .LBB70_33
; %bb.31:
	s_load_dword s1, s[4:5], 0xc5c
	v_lshlrev_b32_e32 v1, 3, v0
	v_mov_b32_e32 v2, s19
	v_add_co_u32_e32 v4, vcc, s18, v1
	s_waitcnt lgkmcnt(0)
	s_and_b32 s1, s1, 0xffff
	v_addc_co_u32_e32 v1, vcc, 0, v2, vcc
	s_lshl_b32 s8, s1, 3
	v_add_lshl_u32 v2, v0, s1, 2
	s_lshl_b32 s9, s1, 2
	s_mov_b64 s[4:5], 0
	v_mov_b32_e32 v0, s11
	v_mov_b32_e32 v5, s13
	;; [unrolled: 1-line block ×3, first 2 shown]
	s_mov_b64 s[6:7], 0xffff
	v_mov_b32_e32 v7, s0
	v_mov_b32_e32 v8, s0
.LBB70_32:                              ; =>This Inner Loop Header: Depth=1
	v_add_co_u32_e32 v10, vcc, s10, v4
	v_addc_co_u32_e32 v11, vcc, v0, v1, vcc
	v_add_co_u32_e32 v12, vcc, s12, v4
	v_addc_co_u32_e32 v13, vcc, v5, v1, vcc
	;; [unrolled: 2-line block ×3, first 2 shown]
	global_load_dwordx2 v[16:17], v[12:13], off
	global_load_dwordx2 v[18:19], v[14:15], off
	;; [unrolled: 1-line block ×3, first 2 shown]
	v_cmp_le_i64_e32 vcc, s[16:17], v[2:3]
	v_cmp_lt_u64_e64 s[0:1], s[6:7], v[2:3]
	s_or_b64 s[0:1], vcc, s[0:1]
	v_add_co_u32_e64 v4, s[2:3], s8, v4
	v_addc_co_u32_e64 v1, s[2:3], v1, v7, s[2:3]
	v_add_co_u32_e64 v2, s[2:3], s9, v2
	s_and_b64 s[0:1], exec, s[0:1]
	v_addc_co_u32_e64 v3, s[2:3], v3, v8, s[2:3]
	s_or_b64 s[4:5], s[0:1], s[4:5]
	s_waitcnt vmcnt(2)
	v_cvt_f32_i32_sdwa v12, sext(v16) dst_sel:DWORD dst_unused:UNUSED_PAD src0_sel:WORD_0
	s_waitcnt vmcnt(1)
	v_cvt_f32_i32_sdwa v13, sext(v18) dst_sel:DWORD dst_unused:UNUSED_PAD src0_sel:WORD_0
	v_cvt_f32_i32_sdwa v23, sext(v18) dst_sel:DWORD dst_unused:UNUSED_PAD src0_sel:WORD_1
	v_xor_b32_sdwa v9, sext(v16), sext(v18) dst_sel:DWORD dst_unused:UNUSED_PAD src0_sel:WORD_0 src1_sel:WORD_0
	v_xor_b32_sdwa v15, sext(v16), sext(v18) dst_sel:DWORD dst_unused:UNUSED_PAD src0_sel:WORD_1 src1_sel:WORD_1
	v_cvt_f32_i32_sdwa v22, sext(v16) dst_sel:DWORD dst_unused:UNUSED_PAD src0_sel:WORD_1
	v_alignbit_b32 v16, v17, v16, 16
	v_alignbit_b32 v18, v19, v18, 16
	v_xor_b32_sdwa v25, sext(v17), sext(v19) dst_sel:DWORD dst_unused:UNUSED_PAD src0_sel:WORD_1 src1_sel:WORD_1
	v_cvt_f32_i32_sdwa v19, sext(v19) dst_sel:DWORD dst_unused:UNUSED_PAD src0_sel:WORD_1
	v_xor_b32_sdwa v26, sext(v16), sext(v18) dst_sel:DWORD dst_unused:UNUSED_PAD src0_sel:WORD_1 src1_sel:WORD_1
	v_cvt_f32_i32_sdwa v18, sext(v18) dst_sel:DWORD dst_unused:UNUSED_PAD src0_sel:WORD_1
	v_rcp_iflag_f32_e32 v27, v13
	v_rcp_iflag_f32_e32 v28, v23
	v_cvt_f32_i32_sdwa v17, sext(v17) dst_sel:DWORD dst_unused:UNUSED_PAD src0_sel:WORD_1
	v_rcp_iflag_f32_e32 v29, v19
	v_cvt_f32_i32_sdwa v16, sext(v16) dst_sel:DWORD dst_unused:UNUSED_PAD src0_sel:WORD_1
	v_rcp_iflag_f32_e32 v30, v18
	v_mul_f32_e32 v27, v12, v27
	v_mul_f32_e32 v28, v22, v28
	v_trunc_f32_e32 v27, v27
	v_ashrrev_i32_e32 v9, 30, v9
	v_mul_f32_e32 v29, v17, v29
	v_trunc_f32_e32 v28, v28
	v_mad_f32 v12, -v27, v13, v12
	v_ashrrev_i32_e32 v15, 30, v15
	v_or_b32_e32 v9, 1, v9
	v_mul_f32_e32 v30, v16, v30
	v_trunc_f32_e32 v29, v29
	v_cvt_i32_f32_e32 v27, v27
	v_mad_f32 v22, -v28, v23, v22
	v_cvt_i32_f32_e32 v28, v28
	v_cmp_ge_f32_e64 vcc, |v12|, |v13|
	v_or_b32_e32 v15, 1, v15
	v_trunc_f32_e32 v30, v30
	v_mad_f32 v17, -v29, v19, v17
	v_cvt_i32_f32_e32 v29, v29
	v_cndmask_b32_e32 v9, 0, v9, vcc
	v_cmp_ge_f32_e64 vcc, |v22|, |v23|
	v_ashrrev_i32_e32 v25, 30, v25
	v_cndmask_b32_e32 v12, 0, v15, vcc
	v_cvt_i32_f32_e32 v15, v30
	v_ashrrev_i32_e32 v26, 30, v26
	v_or_b32_e32 v25, 1, v25
	v_mad_f32 v13, -v30, v18, v16
	v_cmp_ge_f32_e64 vcc, |v17|, |v19|
	s_waitcnt vmcnt(0)
	v_lshrrev_b32_e32 v14, 16, v20
	v_or_b32_e32 v26, 1, v26
	v_cndmask_b32_e32 v16, 0, v25, vcc
	v_cmp_ge_f32_e64 vcc, |v13|, |v18|
	v_add_u32_e32 v9, v27, v9
	v_add_u32_e32 v12, v28, v12
	v_lshrrev_b32_e32 v24, 16, v21
	v_cndmask_b32_e32 v13, 0, v26, vcc
	v_add_u32_e32 v16, v29, v16
	v_mul_lo_u16_e32 v9, s26, v9
	v_mad_legacy_u16 v12, v12, s26, v14
	v_add_u32_e32 v13, v15, v13
	v_mad_legacy_u16 v14, v16, s26, v24
	v_add_u16_e32 v9, v9, v20
	v_lshlrev_b32_e32 v12, 16, v12
	v_mad_legacy_u16 v13, v13, s26, v21
	v_lshlrev_b32_e32 v14, 16, v14
	v_or_b32_e32 v9, v12, v9
	v_or3_b32 v13, 0, v13, v14
	v_or3_b32 v12, v9, 0, 0
	global_store_dwordx2 v[10:11], v[12:13], off
	s_andn2_b64 exec, exec, s[4:5]
	s_cbranch_execnz .LBB70_32
.LBB70_33:
	s_endpgm
	.section	.rodata,"a",@progbits
	.p2align	6, 0x0
	.amdhsa_kernel _ZN2at6native12_GLOBAL__N_125multi_tensor_apply_kernelINS1_18TensorListMetadataILi3EEENS1_24PointwiseOpScalarFunctorIsLi3ELi3ELi0EEEJSt7dividesIsEsEEEvT_T0_DpT1_
		.amdhsa_group_segment_fixed_size 0
		.amdhsa_private_segment_fixed_size 0
		.amdhsa_kernarg_size 3408
		.amdhsa_user_sgpr_count 6
		.amdhsa_user_sgpr_private_segment_buffer 1
		.amdhsa_user_sgpr_dispatch_ptr 0
		.amdhsa_user_sgpr_queue_ptr 0
		.amdhsa_user_sgpr_kernarg_segment_ptr 1
		.amdhsa_user_sgpr_dispatch_id 0
		.amdhsa_user_sgpr_flat_scratch_init 0
		.amdhsa_user_sgpr_kernarg_preload_length 0
		.amdhsa_user_sgpr_kernarg_preload_offset 0
		.amdhsa_user_sgpr_private_segment_size 0
		.amdhsa_uses_dynamic_stack 0
		.amdhsa_system_sgpr_private_segment_wavefront_offset 0
		.amdhsa_system_sgpr_workgroup_id_x 1
		.amdhsa_system_sgpr_workgroup_id_y 0
		.amdhsa_system_sgpr_workgroup_id_z 0
		.amdhsa_system_sgpr_workgroup_info 0
		.amdhsa_system_vgpr_workitem_id 0
		.amdhsa_next_free_vgpr 47
		.amdhsa_next_free_sgpr 30
		.amdhsa_accum_offset 48
		.amdhsa_reserve_vcc 1
		.amdhsa_reserve_flat_scratch 0
		.amdhsa_float_round_mode_32 0
		.amdhsa_float_round_mode_16_64 0
		.amdhsa_float_denorm_mode_32 3
		.amdhsa_float_denorm_mode_16_64 3
		.amdhsa_dx10_clamp 1
		.amdhsa_ieee_mode 1
		.amdhsa_fp16_overflow 0
		.amdhsa_tg_split 0
		.amdhsa_exception_fp_ieee_invalid_op 0
		.amdhsa_exception_fp_denorm_src 0
		.amdhsa_exception_fp_ieee_div_zero 0
		.amdhsa_exception_fp_ieee_overflow 0
		.amdhsa_exception_fp_ieee_underflow 0
		.amdhsa_exception_fp_ieee_inexact 0
		.amdhsa_exception_int_div_zero 0
	.end_amdhsa_kernel
	.section	.text._ZN2at6native12_GLOBAL__N_125multi_tensor_apply_kernelINS1_18TensorListMetadataILi3EEENS1_24PointwiseOpScalarFunctorIsLi3ELi3ELi0EEEJSt7dividesIsEsEEEvT_T0_DpT1_,"axG",@progbits,_ZN2at6native12_GLOBAL__N_125multi_tensor_apply_kernelINS1_18TensorListMetadataILi3EEENS1_24PointwiseOpScalarFunctorIsLi3ELi3ELi0EEEJSt7dividesIsEsEEEvT_T0_DpT1_,comdat
.Lfunc_end70:
	.size	_ZN2at6native12_GLOBAL__N_125multi_tensor_apply_kernelINS1_18TensorListMetadataILi3EEENS1_24PointwiseOpScalarFunctorIsLi3ELi3ELi0EEEJSt7dividesIsEsEEEvT_T0_DpT1_, .Lfunc_end70-_ZN2at6native12_GLOBAL__N_125multi_tensor_apply_kernelINS1_18TensorListMetadataILi3EEENS1_24PointwiseOpScalarFunctorIsLi3ELi3ELi0EEEJSt7dividesIsEsEEEvT_T0_DpT1_
                                        ; -- End function
	.section	.AMDGPU.csdata,"",@progbits
; Kernel info:
; codeLenInByte = 2356
; NumSgprs: 34
; NumVgprs: 47
; NumAgprs: 0
; TotalNumVgprs: 47
; ScratchSize: 0
; MemoryBound: 0
; FloatMode: 240
; IeeeMode: 1
; LDSByteSize: 0 bytes/workgroup (compile time only)
; SGPRBlocks: 4
; VGPRBlocks: 5
; NumSGPRsForWavesPerEU: 34
; NumVGPRsForWavesPerEU: 47
; AccumOffset: 48
; Occupancy: 8
; WaveLimiterHint : 0
; COMPUTE_PGM_RSRC2:SCRATCH_EN: 0
; COMPUTE_PGM_RSRC2:USER_SGPR: 6
; COMPUTE_PGM_RSRC2:TRAP_HANDLER: 0
; COMPUTE_PGM_RSRC2:TGID_X_EN: 1
; COMPUTE_PGM_RSRC2:TGID_Y_EN: 0
; COMPUTE_PGM_RSRC2:TGID_Z_EN: 0
; COMPUTE_PGM_RSRC2:TIDIG_COMP_CNT: 0
; COMPUTE_PGM_RSRC3_GFX90A:ACCUM_OFFSET: 11
; COMPUTE_PGM_RSRC3_GFX90A:TG_SPLIT: 0
	.section	.text._ZN2at6native12_GLOBAL__N_125multi_tensor_apply_kernelINS1_18TensorListMetadataILi3EEENS1_24PointwiseOpScalarFunctorIdLi3ELi3ELi0EEEJSt7dividesIdEdEEEvT_T0_DpT1_,"axG",@progbits,_ZN2at6native12_GLOBAL__N_125multi_tensor_apply_kernelINS1_18TensorListMetadataILi3EEENS1_24PointwiseOpScalarFunctorIdLi3ELi3ELi0EEEJSt7dividesIdEdEEEvT_T0_DpT1_,comdat
	.globl	_ZN2at6native12_GLOBAL__N_125multi_tensor_apply_kernelINS1_18TensorListMetadataILi3EEENS1_24PointwiseOpScalarFunctorIdLi3ELi3ELi0EEEJSt7dividesIdEdEEEvT_T0_DpT1_ ; -- Begin function _ZN2at6native12_GLOBAL__N_125multi_tensor_apply_kernelINS1_18TensorListMetadataILi3EEENS1_24PointwiseOpScalarFunctorIdLi3ELi3ELi0EEEJSt7dividesIdEdEEEvT_T0_DpT1_
	.p2align	8
	.type	_ZN2at6native12_GLOBAL__N_125multi_tensor_apply_kernelINS1_18TensorListMetadataILi3EEENS1_24PointwiseOpScalarFunctorIdLi3ELi3ELi0EEEJSt7dividesIdEdEEEvT_T0_DpT1_,@function
_ZN2at6native12_GLOBAL__N_125multi_tensor_apply_kernelINS1_18TensorListMetadataILi3EEENS1_24PointwiseOpScalarFunctorIdLi3ELi3ELi0EEEJSt7dividesIdEdEEEvT_T0_DpT1_: ; @_ZN2at6native12_GLOBAL__N_125multi_tensor_apply_kernelINS1_18TensorListMetadataILi3EEENS1_24PointwiseOpScalarFunctorIdLi3ELi3ELi0EEEJSt7dividesIdEdEEEvT_T0_DpT1_
; %bb.0:
	v_mov_b32_e32 v1, s6
	global_load_ubyte v1, v1, s[4:5] offset:1536
	s_add_u32 s0, s4, s6
	s_mul_hi_u32 s1, s6, 3
	s_mul_i32 s6, s6, 3
	s_addc_u32 s2, s5, 0
	s_add_u32 s0, s0, s6
	s_addc_u32 s1, s2, s1
	s_load_dword s10, s[0:1], 0x740
	s_load_dwordx2 s[12:13], s[4:5], 0xc50
	s_mov_b32 s1, 0
	s_mov_b32 s19, s1
	s_waitcnt lgkmcnt(0)
	s_ashr_i32 s11, s10, 31
	s_lshl_b64 s[16:17], s[10:11], 19
	s_waitcnt vmcnt(0)
	v_readfirstlane_b32 s0, v1
	s_lshl_b32 s0, s0, 3
	s_load_dwordx2 s[8:9], s[4:5], s0 offset:0x0
	s_load_dwordx2 s[6:7], s[4:5], s0 offset:0x180
	;; [unrolled: 1-line block ×4, first 2 shown]
	s_waitcnt lgkmcnt(0)
	s_add_u32 s24, s8, s16
	s_addc_u32 s25, s9, s17
	s_and_b32 s0, s24, 31
	s_add_u32 s26, s6, s16
	s_addc_u32 s27, s7, s17
	s_add_u32 s28, s2, s16
	s_addc_u32 s29, s3, s17
	s_or_b32 s14, s28, s26
	s_and_b32 s14, s14, 31
	s_cmp_eq_u32 s14, 0
	s_cselect_b64 s[22:23], -1, 0
	s_lshl_b64 s[10:11], s[10:11], 16
	s_sub_u32 s14, s20, s10
	s_subb_u32 s15, s21, s11
	s_and_b32 s18, s20, 3
	s_or_b64 s[0:1], s[0:1], s[18:19]
	s_cmp_eq_u64 s[0:1], 0
	s_cselect_b64 s[0:1], -1, 0
	s_and_b64 s[10:11], s[22:23], s[0:1]
	s_mov_b64 s[0:1], -1
	s_and_b64 vcc, exec, s[10:11]
	s_cbranch_vccnz .LBB71_29
; %bb.1:
	v_cmp_lt_i64_e64 s[0:1], s[14:15], 1
	s_and_b64 vcc, exec, s[0:1]
	s_cbranch_vccnz .LBB71_28
; %bb.2:
	s_load_dword s0, s[4:5], 0xc64
	v_mov_b32_e32 v2, 0x10000
	v_mov_b32_e32 v3, 0
	v_cmp_lt_u64_e32 vcc, s[14:15], v[2:3]
	v_lshlrev_b32_e32 v14, 3, v0
	s_waitcnt lgkmcnt(0)
	s_and_b32 s20, s0, 0xffff
	s_and_b64 s[0:1], vcc, exec
	v_mov_b32_e32 v19, s9
	v_add_co_u32_e32 v2, vcc, s8, v14
	v_addc_co_u32_e32 v1, vcc, 0, v19, vcc
	v_mov_b32_e32 v21, s7
	v_add_co_u32_e32 v4, vcc, s6, v14
	v_addc_co_u32_e32 v3, vcc, 0, v21, vcc
	v_mov_b32_e32 v15, 0
	v_mov_b32_e32 v23, s3
	v_add_co_u32_e32 v6, vcc, s2, v14
	v_addc_co_u32_e32 v5, vcc, 0, v23, vcc
	v_mad_u64_u32 v[12:13], s[10:11], s20, 24, v[14:15]
	v_add_co_u32_e32 v8, vcc, s8, v12
	v_addc_co_u32_e32 v7, vcc, v19, v13, vcc
	v_add_co_u32_e32 v10, vcc, s6, v12
	v_addc_co_u32_e32 v9, vcc, v21, v13, vcc
	v_add_co_u32_e32 v12, vcc, s2, v12
	s_mul_i32 s22, s20, 3
	v_addc_co_u32_e32 v11, vcc, v23, v13, vcc
	s_cselect_b32 s19, s15, 0
	s_cselect_b32 s18, s14, 0x10000
	v_add_co_u32_e32 v25, vcc, s22, v0
	s_lshl_b32 s3, s20, 4
	v_addc_co_u32_e64 v50, s[10:11], 0, 0, vcc
	v_add_co_u32_e32 v17, vcc, s3, v14
	v_addc_co_u32_e64 v20, s[10:11], 0, 0, vcc
	v_add_co_u32_e32 v14, vcc, s8, v17
	v_addc_co_u32_e32 v13, vcc, v19, v20, vcc
	v_add_co_u32_e32 v16, vcc, s6, v17
	v_addc_co_u32_e32 v15, vcc, v21, v20, vcc
	v_add_co_u32_e32 v18, vcc, s2, v17
	s_lshl_b32 s21, s20, 1
	v_addc_co_u32_e32 v17, vcc, v23, v20, vcc
	v_add_co_u32_e32 v51, vcc, s21, v0
	v_addc_co_u32_e64 v52, s[10:11], 0, 0, vcc
	v_add_co_u32_e32 v53, vcc, s20, v0
	v_lshlrev_b32_e32 v24, 3, v53
	v_addc_co_u32_e64 v54, s[10:11], 0, 0, vcc
	v_add_co_u32_e32 v20, vcc, s8, v24
	v_addc_co_u32_e32 v19, vcc, 0, v19, vcc
	v_add_co_u32_e32 v22, vcc, s6, v24
	v_addc_co_u32_e32 v21, vcc, 0, v21, vcc
	v_add_co_u32_e32 v24, vcc, s2, v24
	s_mov_b32 s30, 0
	v_cmp_eq_f64_e64 s[0:1], s[12:13], 1.0
	s_lshl_b32 s31, s20, 2
	s_lshl_b32 s33, s20, 5
	v_addc_co_u32_e32 v23, vcc, 0, v23, vcc
	s_mov_b64 s[20:21], 0
	s_branch .LBB71_4
.LBB71_3:                               ;   in Loop: Header=BB71_4 Depth=1
	s_or_b64 exec, exec, s[2:3]
	s_add_u32 s20, s20, s31
	s_addc_u32 s21, s21, 0
	s_waitcnt vmcnt(1)
	v_pk_mov_b32 v[26:27], s[14:15], s[14:15] op_sel:[0,1]
	v_cmp_lt_i64_e32 vcc, s[20:21], v[26:27]
	v_mov_b32_e32 v26, 0x10000
	v_mov_b32_e32 v27, 0
	v_cmp_lt_u64_e64 s[2:3], s[20:21], v[26:27]
	s_and_b64 s[2:3], vcc, s[2:3]
	v_mov_b32_e32 v26, s30
	v_add_co_u32_e32 v2, vcc, s33, v2
	v_addc_co_u32_e32 v1, vcc, v1, v26, vcc
	v_add_co_u32_e32 v4, vcc, s33, v4
	v_addc_co_u32_e32 v3, vcc, v3, v26, vcc
	;; [unrolled: 2-line block ×12, first 2 shown]
	s_and_b64 vcc, exec, s[2:3]
	s_cbranch_vccz .LBB71_28
.LBB71_4:                               ; =>This Inner Loop Header: Depth=1
	v_mov_b32_e32 v27, s21
	v_add_co_u32_e32 v26, vcc, s20, v0
	v_addc_co_u32_e32 v27, vcc, 0, v27, vcc
	s_waitcnt vmcnt(0)
	v_pk_mov_b32 v[28:29], 0, 0
	v_cmp_gt_u64_e32 vcc, s[18:19], v[26:27]
	v_pk_mov_b32 v[26:27], v[28:29], v[28:29] op_sel:[0,1]
	v_pk_mov_b32 v[30:31], v[28:29], v[28:29] op_sel:[0,1]
	s_and_saveexec_b64 s[6:7], vcc
	s_cbranch_execz .LBB71_6
; %bb.5:                                ;   in Loop: Header=BB71_4 Depth=1
	v_mov_b32_e32 v26, s17
	v_add_co_u32_e64 v32, s[2:3], s16, v2
	v_addc_co_u32_e64 v33, s[2:3], v1, v26, s[2:3]
	v_add_co_u32_e64 v34, s[2:3], s16, v4
	v_addc_co_u32_e64 v35, s[2:3], v3, v26, s[2:3]
	global_load_dwordx2 v[26:27], v[32:33], off
	global_load_dwordx2 v[30:31], v[34:35], off
.LBB71_6:                               ;   in Loop: Header=BB71_4 Depth=1
	s_or_b64 exec, exec, s[6:7]
	s_and_saveexec_b64 s[6:7], vcc
	s_cbranch_execz .LBB71_8
; %bb.7:                                ;   in Loop: Header=BB71_4 Depth=1
	v_mov_b32_e32 v29, s17
	v_add_co_u32_e64 v28, s[2:3], s16, v6
	v_addc_co_u32_e64 v29, s[2:3], v5, v29, s[2:3]
	global_load_dwordx2 v[28:29], v[28:29], off
.LBB71_8:                               ;   in Loop: Header=BB71_4 Depth=1
	s_or_b64 exec, exec, s[6:7]
	v_mov_b32_e32 v33, s21
	v_add_co_u32_e64 v32, s[2:3], s20, v53
	v_addc_co_u32_e64 v33, s[2:3], v54, v33, s[2:3]
	v_pk_mov_b32 v[34:35], 0, 0
	v_cmp_gt_u64_e64 s[2:3], s[18:19], v[32:33]
	v_pk_mov_b32 v[32:33], v[34:35], v[34:35] op_sel:[0,1]
	v_pk_mov_b32 v[36:37], v[34:35], v[34:35] op_sel:[0,1]
	s_and_saveexec_b64 s[8:9], s[2:3]
	s_cbranch_execz .LBB71_10
; %bb.9:                                ;   in Loop: Header=BB71_4 Depth=1
	v_mov_b32_e32 v32, s17
	v_add_co_u32_e64 v38, s[6:7], s16, v20
	v_addc_co_u32_e64 v39, s[6:7], v19, v32, s[6:7]
	v_add_co_u32_e64 v40, s[6:7], s16, v22
	v_addc_co_u32_e64 v41, s[6:7], v21, v32, s[6:7]
	global_load_dwordx2 v[32:33], v[38:39], off
	global_load_dwordx2 v[36:37], v[40:41], off
.LBB71_10:                              ;   in Loop: Header=BB71_4 Depth=1
	s_or_b64 exec, exec, s[8:9]
	s_and_saveexec_b64 s[8:9], s[2:3]
	s_cbranch_execz .LBB71_12
; %bb.11:                               ;   in Loop: Header=BB71_4 Depth=1
	v_mov_b32_e32 v35, s17
	v_add_co_u32_e64 v34, s[6:7], s16, v24
	v_addc_co_u32_e64 v35, s[6:7], v23, v35, s[6:7]
	global_load_dwordx2 v[34:35], v[34:35], off
.LBB71_12:                              ;   in Loop: Header=BB71_4 Depth=1
	s_or_b64 exec, exec, s[8:9]
	v_mov_b32_e32 v39, s21
	v_add_co_u32_e64 v38, s[6:7], s20, v51
	v_addc_co_u32_e64 v39, s[6:7], v52, v39, s[6:7]
	v_pk_mov_b32 v[40:41], 0, 0
	v_cmp_gt_u64_e64 s[6:7], s[18:19], v[38:39]
	v_pk_mov_b32 v[38:39], v[40:41], v[40:41] op_sel:[0,1]
	v_pk_mov_b32 v[42:43], v[40:41], v[40:41] op_sel:[0,1]
	s_and_saveexec_b64 s[10:11], s[6:7]
	s_cbranch_execz .LBB71_14
; %bb.13:                               ;   in Loop: Header=BB71_4 Depth=1
	v_mov_b32_e32 v38, s17
	v_add_co_u32_e64 v44, s[8:9], s16, v14
	v_addc_co_u32_e64 v45, s[8:9], v13, v38, s[8:9]
	v_add_co_u32_e64 v46, s[8:9], s16, v16
	v_addc_co_u32_e64 v47, s[8:9], v15, v38, s[8:9]
	global_load_dwordx2 v[38:39], v[44:45], off
	global_load_dwordx2 v[42:43], v[46:47], off
.LBB71_14:                              ;   in Loop: Header=BB71_4 Depth=1
	s_or_b64 exec, exec, s[10:11]
	s_and_saveexec_b64 s[10:11], s[6:7]
	s_cbranch_execz .LBB71_16
; %bb.15:                               ;   in Loop: Header=BB71_4 Depth=1
	v_mov_b32_e32 v41, s17
	v_add_co_u32_e64 v40, s[8:9], s16, v18
	v_addc_co_u32_e64 v41, s[8:9], v17, v41, s[8:9]
	global_load_dwordx2 v[40:41], v[40:41], off
.LBB71_16:                              ;   in Loop: Header=BB71_4 Depth=1
	s_or_b64 exec, exec, s[10:11]
	v_mov_b32_e32 v45, s21
	v_add_co_u32_e64 v44, s[8:9], s20, v25
	v_addc_co_u32_e64 v45, s[8:9], v50, v45, s[8:9]
	v_pk_mov_b32 v[46:47], 0, 0
	v_cmp_gt_u64_e64 s[8:9], s[18:19], v[44:45]
	v_pk_mov_b32 v[44:45], v[46:47], v[46:47] op_sel:[0,1]
	v_pk_mov_b32 v[48:49], v[46:47], v[46:47] op_sel:[0,1]
	s_and_saveexec_b64 s[22:23], s[8:9]
	s_cbranch_execnz .LBB71_22
; %bb.17:                               ;   in Loop: Header=BB71_4 Depth=1
	s_or_b64 exec, exec, s[22:23]
	s_and_saveexec_b64 s[22:23], s[8:9]
	s_cbranch_execnz .LBB71_23
.LBB71_18:                              ;   in Loop: Header=BB71_4 Depth=1
	s_or_b64 exec, exec, s[22:23]
	s_and_saveexec_b64 s[10:11], vcc
	s_cbranch_execnz .LBB71_24
.LBB71_19:                              ;   in Loop: Header=BB71_4 Depth=1
	s_or_b64 exec, exec, s[10:11]
	s_and_saveexec_b64 s[10:11], s[2:3]
	s_cbranch_execnz .LBB71_25
.LBB71_20:                              ;   in Loop: Header=BB71_4 Depth=1
	s_or_b64 exec, exec, s[10:11]
	s_and_saveexec_b64 s[2:3], s[6:7]
	s_cbranch_execnz .LBB71_26
.LBB71_21:                              ;   in Loop: Header=BB71_4 Depth=1
	s_or_b64 exec, exec, s[2:3]
	s_and_saveexec_b64 s[2:3], s[8:9]
	s_cbranch_execz .LBB71_3
	s_branch .LBB71_27
.LBB71_22:                              ;   in Loop: Header=BB71_4 Depth=1
	v_mov_b32_e32 v44, s17
	v_add_co_u32_e64 v56, s[10:11], s16, v8
	v_addc_co_u32_e64 v57, s[10:11], v7, v44, s[10:11]
	v_add_co_u32_e64 v58, s[10:11], s16, v10
	v_addc_co_u32_e64 v59, s[10:11], v9, v44, s[10:11]
	global_load_dwordx2 v[44:45], v[56:57], off
	global_load_dwordx2 v[48:49], v[58:59], off
	s_or_b64 exec, exec, s[22:23]
	s_and_saveexec_b64 s[22:23], s[8:9]
	s_cbranch_execz .LBB71_18
.LBB71_23:                              ;   in Loop: Header=BB71_4 Depth=1
	v_mov_b32_e32 v47, s17
	v_add_co_u32_e64 v46, s[10:11], s16, v12
	v_addc_co_u32_e64 v47, s[10:11], v11, v47, s[10:11]
	global_load_dwordx2 v[46:47], v[46:47], off
	s_or_b64 exec, exec, s[22:23]
	s_and_saveexec_b64 s[10:11], vcc
	s_cbranch_execz .LBB71_19
.LBB71_24:                              ;   in Loop: Header=BB71_4 Depth=1
	s_waitcnt vmcnt(0)
	v_div_scale_f64 v[56:57], s[22:23], v[28:29], v[28:29], v[30:31]
	v_rcp_f64_e32 v[58:59], v[56:57]
	v_mov_b32_e32 v55, s17
	v_add_co_u32_e32 v60, vcc, s16, v2
	v_fma_f64 v[62:63], -v[56:57], v[58:59], 1.0
	v_fmac_f64_e32 v[58:59], v[58:59], v[62:63]
	v_addc_co_u32_e32 v61, vcc, v1, v55, vcc
	v_fma_f64 v[62:63], -v[56:57], v[58:59], 1.0
	v_fmac_f64_e32 v[58:59], v[58:59], v[62:63]
	v_div_scale_f64 v[62:63], vcc, v[30:31], v[28:29], v[30:31]
	v_mul_f64 v[64:65], v[62:63], v[58:59]
	v_fma_f64 v[56:57], -v[56:57], v[64:65], v[62:63]
	s_nop 1
	v_div_fmas_f64 v[56:57], v[56:57], v[58:59], v[64:65]
	v_div_fixup_f64 v[28:29], v[56:57], v[28:29], v[30:31]
	v_add_f64 v[30:31], v[26:27], v[28:29]
	v_fmac_f64_e32 v[26:27], s[12:13], v[28:29]
	v_cndmask_b32_e64 v27, v27, v31, s[0:1]
	v_cndmask_b32_e64 v26, v26, v30, s[0:1]
	global_store_dwordx2 v[60:61], v[26:27], off
	s_or_b64 exec, exec, s[10:11]
	s_and_saveexec_b64 s[10:11], s[2:3]
	s_cbranch_execz .LBB71_20
.LBB71_25:                              ;   in Loop: Header=BB71_4 Depth=1
	s_waitcnt vmcnt(0)
	v_div_scale_f64 v[26:27], s[2:3], v[34:35], v[34:35], v[36:37]
	v_rcp_f64_e32 v[28:29], v[26:27]
	v_div_scale_f64 v[30:31], vcc, v[36:37], v[34:35], v[36:37]
	v_fma_f64 v[56:57], -v[26:27], v[28:29], 1.0
	v_fmac_f64_e32 v[28:29], v[28:29], v[56:57]
	v_fma_f64 v[56:57], -v[26:27], v[28:29], 1.0
	v_fmac_f64_e32 v[28:29], v[28:29], v[56:57]
	v_mul_f64 v[56:57], v[30:31], v[28:29]
	v_fma_f64 v[26:27], -v[26:27], v[56:57], v[30:31]
	v_div_fmas_f64 v[26:27], v[26:27], v[28:29], v[56:57]
	v_div_fixup_f64 v[26:27], v[26:27], v[34:35], v[36:37]
	v_add_f64 v[28:29], v[32:33], v[26:27]
	v_fmac_f64_e32 v[32:33], s[12:13], v[26:27]
	v_cndmask_b32_e64 v27, v33, v29, s[0:1]
	v_cndmask_b32_e64 v26, v32, v28, s[0:1]
	v_mov_b32_e32 v29, s17
	v_add_co_u32_e32 v28, vcc, s16, v20
	v_addc_co_u32_e32 v29, vcc, v19, v29, vcc
	global_store_dwordx2 v[28:29], v[26:27], off
	s_or_b64 exec, exec, s[10:11]
	s_and_saveexec_b64 s[2:3], s[6:7]
	s_cbranch_execz .LBB71_21
.LBB71_26:                              ;   in Loop: Header=BB71_4 Depth=1
	s_waitcnt vmcnt(0)
	v_div_scale_f64 v[26:27], s[6:7], v[40:41], v[40:41], v[42:43]
	v_rcp_f64_e32 v[28:29], v[26:27]
	v_div_scale_f64 v[30:31], vcc, v[42:43], v[40:41], v[42:43]
	v_fma_f64 v[32:33], -v[26:27], v[28:29], 1.0
	v_fmac_f64_e32 v[28:29], v[28:29], v[32:33]
	v_fma_f64 v[32:33], -v[26:27], v[28:29], 1.0
	v_fmac_f64_e32 v[28:29], v[28:29], v[32:33]
	v_mul_f64 v[32:33], v[30:31], v[28:29]
	v_fma_f64 v[26:27], -v[26:27], v[32:33], v[30:31]
	v_div_fmas_f64 v[26:27], v[26:27], v[28:29], v[32:33]
	v_div_fixup_f64 v[26:27], v[26:27], v[40:41], v[42:43]
	v_add_f64 v[28:29], v[38:39], v[26:27]
	v_fmac_f64_e32 v[38:39], s[12:13], v[26:27]
	v_cndmask_b32_e64 v27, v39, v29, s[0:1]
	v_cndmask_b32_e64 v26, v38, v28, s[0:1]
	v_mov_b32_e32 v29, s17
	v_add_co_u32_e32 v28, vcc, s16, v14
	v_addc_co_u32_e32 v29, vcc, v13, v29, vcc
	global_store_dwordx2 v[28:29], v[26:27], off
	s_or_b64 exec, exec, s[2:3]
	s_and_saveexec_b64 s[2:3], s[8:9]
	s_cbranch_execz .LBB71_3
.LBB71_27:                              ;   in Loop: Header=BB71_4 Depth=1
	s_waitcnt vmcnt(0)
	v_div_scale_f64 v[26:27], s[6:7], v[46:47], v[46:47], v[48:49]
	v_rcp_f64_e32 v[28:29], v[26:27]
	v_div_scale_f64 v[30:31], vcc, v[48:49], v[46:47], v[48:49]
	v_fma_f64 v[32:33], -v[26:27], v[28:29], 1.0
	v_fmac_f64_e32 v[28:29], v[28:29], v[32:33]
	v_fma_f64 v[32:33], -v[26:27], v[28:29], 1.0
	v_fmac_f64_e32 v[28:29], v[28:29], v[32:33]
	v_mul_f64 v[32:33], v[30:31], v[28:29]
	v_fma_f64 v[26:27], -v[26:27], v[32:33], v[30:31]
	v_div_fmas_f64 v[26:27], v[26:27], v[28:29], v[32:33]
	v_div_fixup_f64 v[26:27], v[26:27], v[46:47], v[48:49]
	v_add_f64 v[28:29], v[44:45], v[26:27]
	v_fmac_f64_e32 v[44:45], s[12:13], v[26:27]
	v_cndmask_b32_e64 v27, v45, v29, s[0:1]
	v_cndmask_b32_e64 v26, v44, v28, s[0:1]
	v_mov_b32_e32 v29, s17
	v_add_co_u32_e32 v28, vcc, s16, v8
	v_addc_co_u32_e32 v29, vcc, v7, v29, vcc
	global_store_dwordx2 v[28:29], v[26:27], off
	s_branch .LBB71_3
.LBB71_28:
	s_mov_b64 s[0:1], 0
.LBB71_29:
	s_andn2_b64 vcc, exec, s[0:1]
	s_cbranch_vccnz .LBB71_33
; %bb.30:
	v_mov_b32_e32 v3, 0
	v_lshlrev_b32_e32 v2, 2, v0
	s_mov_b32 s2, 0
	v_cmp_gt_i64_e32 vcc, s[14:15], v[2:3]
	s_and_saveexec_b64 s[0:1], vcc
	s_cbranch_execz .LBB71_33
; %bb.31:
	s_load_dword s3, s[4:5], 0xc64
	v_cmp_eq_f64_e64 s[0:1], s[12:13], 1.0
	v_lshlrev_b32_e32 v4, 5, v0
	s_mov_b64 s[10:11], 0
	s_mov_b64 s[16:17], 0xffff
	s_waitcnt lgkmcnt(0)
	s_and_b32 s3, s3, 0xffff
	v_add_lshl_u32 v2, v0, s3, 2
	s_lshl_b32 s18, s3, 2
	s_lshl_b32 s19, s3, 5
	v_mov_b32_e32 v0, s2
.LBB71_32:                              ; =>This Inner Loop Header: Depth=1
	v_cmp_le_i64_e64 s[4:5], s[14:15], v[2:3]
	v_cmp_lt_u64_e64 s[6:7], s[16:17], v[2:3]
	v_add_co_u32_e64 v2, s[8:9], s18, v2
	v_mov_b32_e32 v5, s27
	s_waitcnt vmcnt(0)
	v_add_co_u32_e32 v30, vcc, s26, v4
	v_mov_b32_e32 v6, s29
	v_add_co_u32_e64 v32, s[2:3], s28, v4
	v_addc_co_u32_e64 v3, s[8:9], v3, v0, s[8:9]
	v_mov_b32_e32 v1, s25
	v_add_co_u32_e64 v34, s[8:9], s24, v4
	v_addc_co_u32_e32 v31, vcc, 0, v5, vcc
	v_addc_co_u32_e64 v33, vcc, 0, v6, s[2:3]
	v_addc_co_u32_e64 v35, s[8:9], 0, v1, s[8:9]
	global_load_dwordx4 v[6:9], v[32:33], off
	global_load_dwordx4 v[10:13], v[30:31], off
	global_load_dwordx4 v[14:17], v[30:31], off offset:16
	global_load_dwordx4 v[18:21], v[32:33], off offset:16
	global_load_dwordx4 v[22:25], v[34:35], off
	global_load_dwordx4 v[26:29], v[34:35], off offset:16
	s_or_b64 s[2:3], s[4:5], s[6:7]
	s_add_u32 s24, s24, s19
	s_addc_u32 s25, s25, 0
	s_add_u32 s28, s28, s19
	s_addc_u32 s29, s29, 0
	s_add_u32 s26, s26, s19
	s_addc_u32 s27, s27, 0
	s_and_b64 s[2:3], exec, s[2:3]
	s_or_b64 s[10:11], s[2:3], s[10:11]
	s_waitcnt vmcnt(4)
	v_div_scale_f64 v[30:31], s[2:3], v[6:7], v[6:7], v[10:11]
	v_div_scale_f64 v[36:37], s[2:3], v[8:9], v[8:9], v[12:13]
	v_rcp_f64_e32 v[48:49], v[30:31]
	s_waitcnt vmcnt(2)
	v_div_scale_f64 v[40:41], s[4:5], v[18:19], v[18:19], v[14:15]
	v_rcp_f64_e32 v[50:51], v[36:37]
	v_div_scale_f64 v[44:45], s[6:7], v[20:21], v[20:21], v[16:17]
	v_rcp_f64_e32 v[52:53], v[40:41]
	v_rcp_f64_e32 v[54:55], v[44:45]
	v_fma_f64 v[56:57], -v[30:31], v[48:49], 1.0
	v_fma_f64 v[58:59], -v[36:37], v[50:51], 1.0
	v_fmac_f64_e32 v[48:49], v[48:49], v[56:57]
	v_fma_f64 v[60:61], -v[40:41], v[52:53], 1.0
	v_fmac_f64_e32 v[50:51], v[50:51], v[58:59]
	v_fma_f64 v[56:57], -v[30:31], v[48:49], 1.0
	v_div_scale_f64 v[32:33], vcc, v[10:11], v[6:7], v[10:11]
	v_fma_f64 v[62:63], -v[44:45], v[54:55], 1.0
	v_fmac_f64_e32 v[52:53], v[52:53], v[60:61]
	v_fma_f64 v[58:59], -v[36:37], v[50:51], 1.0
	v_fmac_f64_e32 v[48:49], v[48:49], v[56:57]
	v_div_scale_f64 v[38:39], s[2:3], v[12:13], v[8:9], v[12:13]
	v_fmac_f64_e32 v[54:55], v[54:55], v[62:63]
	v_fma_f64 v[60:61], -v[40:41], v[52:53], 1.0
	v_fmac_f64_e32 v[50:51], v[50:51], v[58:59]
	v_mul_f64 v[56:57], v[32:33], v[48:49]
	v_div_scale_f64 v[42:43], s[4:5], v[14:15], v[18:19], v[14:15]
	v_fma_f64 v[62:63], -v[44:45], v[54:55], 1.0
	v_fmac_f64_e32 v[52:53], v[52:53], v[60:61]
	v_mul_f64 v[58:59], v[38:39], v[50:51]
	v_fma_f64 v[30:31], -v[30:31], v[56:57], v[32:33]
	v_div_scale_f64 v[46:47], s[6:7], v[16:17], v[20:21], v[16:17]
	v_fmac_f64_e32 v[54:55], v[54:55], v[62:63]
	v_mul_f64 v[60:61], v[42:43], v[52:53]
	v_fma_f64 v[32:33], -v[36:37], v[58:59], v[38:39]
	v_div_fmas_f64 v[30:31], v[30:31], v[48:49], v[56:57]
	s_mov_b64 vcc, s[2:3]
	v_mul_f64 v[62:63], v[46:47], v[54:55]
	v_fma_f64 v[36:37], -v[40:41], v[60:61], v[42:43]
	v_div_fixup_f64 v[6:7], v[30:31], v[6:7], v[10:11]
	v_div_fmas_f64 v[10:11], v[32:33], v[50:51], v[58:59]
	s_mov_b64 vcc, s[4:5]
	v_fma_f64 v[38:39], -v[44:45], v[62:63], v[46:47]
	v_div_fixup_f64 v[8:9], v[10:11], v[8:9], v[12:13]
	v_div_fmas_f64 v[10:11], v[36:37], v[52:53], v[60:61]
	s_mov_b64 vcc, s[6:7]
	s_waitcnt vmcnt(1)
	v_add_f64 v[12:13], v[24:25], v[8:9]
	v_fmac_f64_e32 v[24:25], s[12:13], v[8:9]
	v_div_fixup_f64 v[10:11], v[10:11], v[18:19], v[14:15]
	v_div_fmas_f64 v[14:15], v[38:39], v[54:55], v[62:63]
	v_cndmask_b32_e64 v9, v25, v13, s[0:1]
	v_cndmask_b32_e64 v8, v24, v12, s[0:1]
	s_waitcnt vmcnt(0)
	v_add_f64 v[12:13], v[26:27], v[10:11]
	v_fmac_f64_e32 v[26:27], s[12:13], v[10:11]
	v_div_fixup_f64 v[14:15], v[14:15], v[20:21], v[16:17]
	v_add_f64 v[30:31], v[22:23], v[6:7]
	v_fmac_f64_e32 v[22:23], s[12:13], v[6:7]
	v_cndmask_b32_e64 v11, v27, v13, s[0:1]
	v_cndmask_b32_e64 v10, v26, v12, s[0:1]
	v_add_f64 v[12:13], v[28:29], v[14:15]
	v_fmac_f64_e32 v[28:29], s[12:13], v[14:15]
	v_cndmask_b32_e64 v7, v23, v31, s[0:1]
	v_cndmask_b32_e64 v6, v22, v30, s[0:1]
	;; [unrolled: 1-line block ×4, first 2 shown]
	global_store_dwordx4 v[34:35], v[6:9], off
	global_store_dwordx4 v[34:35], v[10:13], off offset:16
	s_andn2_b64 exec, exec, s[10:11]
	s_cbranch_execnz .LBB71_32
.LBB71_33:
	s_endpgm
	.section	.rodata,"a",@progbits
	.p2align	6, 0x0
	.amdhsa_kernel _ZN2at6native12_GLOBAL__N_125multi_tensor_apply_kernelINS1_18TensorListMetadataILi3EEENS1_24PointwiseOpScalarFunctorIdLi3ELi3ELi0EEEJSt7dividesIdEdEEEvT_T0_DpT1_
		.amdhsa_group_segment_fixed_size 0
		.amdhsa_private_segment_fixed_size 0
		.amdhsa_kernarg_size 3416
		.amdhsa_user_sgpr_count 6
		.amdhsa_user_sgpr_private_segment_buffer 1
		.amdhsa_user_sgpr_dispatch_ptr 0
		.amdhsa_user_sgpr_queue_ptr 0
		.amdhsa_user_sgpr_kernarg_segment_ptr 1
		.amdhsa_user_sgpr_dispatch_id 0
		.amdhsa_user_sgpr_flat_scratch_init 0
		.amdhsa_user_sgpr_kernarg_preload_length 0
		.amdhsa_user_sgpr_kernarg_preload_offset 0
		.amdhsa_user_sgpr_private_segment_size 0
		.amdhsa_uses_dynamic_stack 0
		.amdhsa_system_sgpr_private_segment_wavefront_offset 0
		.amdhsa_system_sgpr_workgroup_id_x 1
		.amdhsa_system_sgpr_workgroup_id_y 0
		.amdhsa_system_sgpr_workgroup_id_z 0
		.amdhsa_system_sgpr_workgroup_info 0
		.amdhsa_system_vgpr_workitem_id 0
		.amdhsa_next_free_vgpr 66
		.amdhsa_next_free_sgpr 34
		.amdhsa_accum_offset 68
		.amdhsa_reserve_vcc 1
		.amdhsa_reserve_flat_scratch 0
		.amdhsa_float_round_mode_32 0
		.amdhsa_float_round_mode_16_64 0
		.amdhsa_float_denorm_mode_32 3
		.amdhsa_float_denorm_mode_16_64 3
		.amdhsa_dx10_clamp 1
		.amdhsa_ieee_mode 1
		.amdhsa_fp16_overflow 0
		.amdhsa_tg_split 0
		.amdhsa_exception_fp_ieee_invalid_op 0
		.amdhsa_exception_fp_denorm_src 0
		.amdhsa_exception_fp_ieee_div_zero 0
		.amdhsa_exception_fp_ieee_overflow 0
		.amdhsa_exception_fp_ieee_underflow 0
		.amdhsa_exception_fp_ieee_inexact 0
		.amdhsa_exception_int_div_zero 0
	.end_amdhsa_kernel
	.section	.text._ZN2at6native12_GLOBAL__N_125multi_tensor_apply_kernelINS1_18TensorListMetadataILi3EEENS1_24PointwiseOpScalarFunctorIdLi3ELi3ELi0EEEJSt7dividesIdEdEEEvT_T0_DpT1_,"axG",@progbits,_ZN2at6native12_GLOBAL__N_125multi_tensor_apply_kernelINS1_18TensorListMetadataILi3EEENS1_24PointwiseOpScalarFunctorIdLi3ELi3ELi0EEEJSt7dividesIdEdEEEvT_T0_DpT1_,comdat
.Lfunc_end71:
	.size	_ZN2at6native12_GLOBAL__N_125multi_tensor_apply_kernelINS1_18TensorListMetadataILi3EEENS1_24PointwiseOpScalarFunctorIdLi3ELi3ELi0EEEJSt7dividesIdEdEEEvT_T0_DpT1_, .Lfunc_end71-_ZN2at6native12_GLOBAL__N_125multi_tensor_apply_kernelINS1_18TensorListMetadataILi3EEENS1_24PointwiseOpScalarFunctorIdLi3ELi3ELi0EEEJSt7dividesIdEdEEEvT_T0_DpT1_
                                        ; -- End function
	.section	.AMDGPU.csdata,"",@progbits
; Kernel info:
; codeLenInByte = 2640
; NumSgprs: 38
; NumVgprs: 66
; NumAgprs: 0
; TotalNumVgprs: 66
; ScratchSize: 0
; MemoryBound: 0
; FloatMode: 240
; IeeeMode: 1
; LDSByteSize: 0 bytes/workgroup (compile time only)
; SGPRBlocks: 4
; VGPRBlocks: 8
; NumSGPRsForWavesPerEU: 38
; NumVGPRsForWavesPerEU: 66
; AccumOffset: 68
; Occupancy: 7
; WaveLimiterHint : 0
; COMPUTE_PGM_RSRC2:SCRATCH_EN: 0
; COMPUTE_PGM_RSRC2:USER_SGPR: 6
; COMPUTE_PGM_RSRC2:TRAP_HANDLER: 0
; COMPUTE_PGM_RSRC2:TGID_X_EN: 1
; COMPUTE_PGM_RSRC2:TGID_Y_EN: 0
; COMPUTE_PGM_RSRC2:TGID_Z_EN: 0
; COMPUTE_PGM_RSRC2:TIDIG_COMP_CNT: 0
; COMPUTE_PGM_RSRC3_GFX90A:ACCUM_OFFSET: 16
; COMPUTE_PGM_RSRC3_GFX90A:TG_SPLIT: 0
	.section	.text._ZN2at6native12_GLOBAL__N_125multi_tensor_apply_kernelINS1_18TensorListMetadataILi3EEENS1_24PointwiseOpScalarFunctorIfLi3ELi3ELi0EEEJSt7dividesIfEfEEEvT_T0_DpT1_,"axG",@progbits,_ZN2at6native12_GLOBAL__N_125multi_tensor_apply_kernelINS1_18TensorListMetadataILi3EEENS1_24PointwiseOpScalarFunctorIfLi3ELi3ELi0EEEJSt7dividesIfEfEEEvT_T0_DpT1_,comdat
	.globl	_ZN2at6native12_GLOBAL__N_125multi_tensor_apply_kernelINS1_18TensorListMetadataILi3EEENS1_24PointwiseOpScalarFunctorIfLi3ELi3ELi0EEEJSt7dividesIfEfEEEvT_T0_DpT1_ ; -- Begin function _ZN2at6native12_GLOBAL__N_125multi_tensor_apply_kernelINS1_18TensorListMetadataILi3EEENS1_24PointwiseOpScalarFunctorIfLi3ELi3ELi0EEEJSt7dividesIfEfEEEvT_T0_DpT1_
	.p2align	8
	.type	_ZN2at6native12_GLOBAL__N_125multi_tensor_apply_kernelINS1_18TensorListMetadataILi3EEENS1_24PointwiseOpScalarFunctorIfLi3ELi3ELi0EEEJSt7dividesIfEfEEEvT_T0_DpT1_,@function
_ZN2at6native12_GLOBAL__N_125multi_tensor_apply_kernelINS1_18TensorListMetadataILi3EEENS1_24PointwiseOpScalarFunctorIfLi3ELi3ELi0EEEJSt7dividesIfEfEEEvT_T0_DpT1_: ; @_ZN2at6native12_GLOBAL__N_125multi_tensor_apply_kernelINS1_18TensorListMetadataILi3EEENS1_24PointwiseOpScalarFunctorIfLi3ELi3ELi0EEEJSt7dividesIfEfEEEvT_T0_DpT1_
; %bb.0:
	v_mov_b32_e32 v1, s6
	global_load_ubyte v1, v1, s[4:5] offset:1536
	s_load_dword s12, s[4:5], 0xc4c
	s_add_u32 s0, s4, s6
	s_mul_hi_u32 s2, s6, 3
	s_mul_i32 s6, s6, 3
	s_addc_u32 s7, s5, 0
	s_add_u32 s6, s0, s6
	s_addc_u32 s7, s7, s2
	s_load_dword s6, s[6:7], 0x740
	s_mov_b32 s1, 0
	s_mov_b32 s3, s1
	s_waitcnt lgkmcnt(0)
	s_ashr_i32 s7, s6, 31
	s_lshl_b64 s[22:23], s[6:7], 18
	s_waitcnt vmcnt(0)
	v_readfirstlane_b32 s0, v1
	s_lshl_b32 s0, s0, 3
	s_load_dwordx2 s[20:21], s[4:5], s0 offset:0x0
	s_load_dwordx2 s[18:19], s[4:5], s0 offset:0x180
	;; [unrolled: 1-line block ×4, first 2 shown]
	s_waitcnt lgkmcnt(0)
	s_and_b32 s0, s20, 15
	s_add_u32 s2, s18, s22
	s_or_b32 s2, s14, s2
	s_and_b32 s2, s2, 15
	s_cmp_eq_u32 s2, 0
	s_cselect_b64 s[10:11], -1, 0
	s_lshl_b64 s[6:7], s[6:7], 16
	s_sub_u32 s16, s8, s6
	s_subb_u32 s17, s9, s7
	s_and_b32 s2, s8, 3
	s_or_b64 s[0:1], s[0:1], s[2:3]
	s_cmp_eq_u64 s[0:1], 0
	s_cselect_b64 s[0:1], -1, 0
	s_and_b64 s[2:3], s[10:11], s[0:1]
	s_mov_b64 s[0:1], -1
	s_and_b64 vcc, exec, s[2:3]
	s_cbranch_vccnz .LBB72_29
; %bb.1:
	v_cmp_lt_i64_e64 s[0:1], s[16:17], 1
	s_and_b64 vcc, exec, s[0:1]
	s_cbranch_vccnz .LBB72_28
; %bb.2:
	s_load_dword s0, s[4:5], 0xc5c
	v_mov_b32_e32 v2, 0x10000
	v_mov_b32_e32 v3, 0
	v_cmp_lt_u64_e32 vcc, s[16:17], v[2:3]
	v_lshlrev_b32_e32 v14, 2, v0
	s_waitcnt lgkmcnt(0)
	s_and_b32 s6, s0, 0xffff
	s_and_b64 s[0:1], vcc, exec
	v_mov_b32_e32 v19, s21
	v_add_co_u32_e32 v2, vcc, s20, v14
	v_addc_co_u32_e32 v1, vcc, 0, v19, vcc
	v_mov_b32_e32 v21, s19
	v_add_co_u32_e32 v4, vcc, s18, v14
	v_addc_co_u32_e32 v3, vcc, 0, v21, vcc
	v_mov_b32_e32 v15, 0
	v_mov_b32_e32 v23, s15
	v_add_co_u32_e32 v6, vcc, s14, v14
	v_addc_co_u32_e32 v5, vcc, 0, v23, vcc
	v_mad_u64_u32 v[12:13], s[2:3], s6, 12, v[14:15]
	v_add_co_u32_e32 v8, vcc, s20, v12
	v_addc_co_u32_e32 v7, vcc, v19, v13, vcc
	v_add_co_u32_e32 v10, vcc, s18, v12
	v_addc_co_u32_e32 v9, vcc, v21, v13, vcc
	v_add_co_u32_e32 v12, vcc, s14, v12
	s_mul_i32 s8, s6, 3
	v_addc_co_u32_e32 v11, vcc, v23, v13, vcc
	v_add_co_u32_e32 v25, vcc, s8, v0
	v_addc_co_u32_e64 v26, s[2:3], 0, 0, vcc
	s_cselect_b32 s25, s17, 0
	s_cselect_b32 s24, s16, 0x10000
	s_lshl_b32 s2, s6, 3
	v_add_co_u32_e32 v17, vcc, s2, v14
	v_addc_co_u32_e64 v20, s[2:3], 0, 0, vcc
	v_add_co_u32_e32 v14, vcc, s20, v17
	v_addc_co_u32_e32 v13, vcc, v19, v20, vcc
	v_add_co_u32_e32 v16, vcc, s18, v17
	v_addc_co_u32_e32 v15, vcc, v21, v20, vcc
	v_add_co_u32_e32 v18, vcc, s14, v17
	s_lshl_b32 s7, s6, 1
	v_addc_co_u32_e32 v17, vcc, v23, v20, vcc
	v_add_co_u32_e32 v27, vcc, s7, v0
	v_addc_co_u32_e64 v28, s[2:3], 0, 0, vcc
	v_add_co_u32_e32 v29, vcc, s6, v0
	v_lshlrev_b32_e32 v24, 2, v29
	v_addc_co_u32_e64 v30, s[2:3], 0, 0, vcc
	v_add_co_u32_e32 v20, vcc, s20, v24
	v_addc_co_u32_e32 v19, vcc, 0, v19, vcc
	v_add_co_u32_e32 v22, vcc, s18, v24
	v_addc_co_u32_e32 v21, vcc, 0, v21, vcc
	v_add_co_u32_e32 v24, vcc, s14, v24
	s_mov_b32 s13, 0
	v_cmp_eq_f32_e64 s[0:1], s12, 1.0
	s_lshl_b32 s30, s6, 2
	s_lshl_b32 s31, s6, 4
	v_addc_co_u32_e32 v23, vcc, 0, v23, vcc
	s_mov_b64 s[26:27], 0
	s_branch .LBB72_4
.LBB72_3:                               ;   in Loop: Header=BB72_4 Depth=1
	s_or_b64 exec, exec, s[2:3]
	s_add_u32 s26, s26, s30
	s_addc_u32 s27, s27, 0
	s_waitcnt vmcnt(0)
	v_pk_mov_b32 v[32:33], s[16:17], s[16:17] op_sel:[0,1]
	v_cmp_lt_i64_e32 vcc, s[26:27], v[32:33]
	v_mov_b32_e32 v32, 0x10000
	v_mov_b32_e32 v33, 0
	v_cmp_lt_u64_e64 s[2:3], s[26:27], v[32:33]
	s_and_b64 s[2:3], vcc, s[2:3]
	v_mov_b32_e32 v31, s13
	v_add_co_u32_e32 v2, vcc, s31, v2
	v_addc_co_u32_e32 v1, vcc, v1, v31, vcc
	v_add_co_u32_e32 v4, vcc, s31, v4
	v_addc_co_u32_e32 v3, vcc, v3, v31, vcc
	;; [unrolled: 2-line block ×12, first 2 shown]
	s_and_b64 vcc, exec, s[2:3]
	s_cbranch_vccz .LBB72_28
.LBB72_4:                               ; =>This Inner Loop Header: Depth=1
	v_mov_b32_e32 v31, s27
	v_add_co_u32_e32 v32, vcc, s26, v0
	v_addc_co_u32_e32 v33, vcc, 0, v31, vcc
	v_cmp_gt_u64_e32 vcc, s[24:25], v[32:33]
	v_mov_b32_e32 v32, 0
	v_mov_b32_e32 v33, 0
	s_and_saveexec_b64 s[6:7], vcc
	s_cbranch_execz .LBB72_6
; %bb.5:                                ;   in Loop: Header=BB72_4 Depth=1
	v_mov_b32_e32 v31, s23
	v_add_co_u32_e64 v34, s[2:3], s22, v2
	v_addc_co_u32_e64 v35, s[2:3], v1, v31, s[2:3]
	v_add_co_u32_e64 v36, s[2:3], s22, v4
	v_addc_co_u32_e64 v37, s[2:3], v3, v31, s[2:3]
	global_load_dword v32, v[34:35], off
	global_load_dword v33, v[36:37], off
.LBB72_6:                               ;   in Loop: Header=BB72_4 Depth=1
	s_or_b64 exec, exec, s[6:7]
	v_mov_b32_e32 v31, 0
	v_mov_b32_e32 v35, 0
	s_and_saveexec_b64 s[6:7], vcc
	s_cbranch_execz .LBB72_8
; %bb.7:                                ;   in Loop: Header=BB72_4 Depth=1
	v_mov_b32_e32 v35, s23
	v_add_co_u32_e64 v34, s[2:3], s22, v6
	v_addc_co_u32_e64 v35, s[2:3], v5, v35, s[2:3]
	global_load_dword v35, v[34:35], off
.LBB72_8:                               ;   in Loop: Header=BB72_4 Depth=1
	s_or_b64 exec, exec, s[6:7]
	v_mov_b32_e32 v34, s27
	v_add_co_u32_e64 v36, s[2:3], s26, v29
	v_addc_co_u32_e64 v37, s[2:3], v30, v34, s[2:3]
	v_cmp_gt_u64_e64 s[2:3], s[24:25], v[36:37]
	v_mov_b32_e32 v36, 0
	s_and_saveexec_b64 s[8:9], s[2:3]
	s_cbranch_execz .LBB72_10
; %bb.9:                                ;   in Loop: Header=BB72_4 Depth=1
	v_mov_b32_e32 v31, s23
	v_add_co_u32_e64 v38, s[6:7], s22, v20
	v_addc_co_u32_e64 v39, s[6:7], v19, v31, s[6:7]
	v_add_co_u32_e64 v40, s[6:7], s22, v22
	v_addc_co_u32_e64 v41, s[6:7], v21, v31, s[6:7]
	global_load_dword v31, v[38:39], off
	global_load_dword v36, v[40:41], off
.LBB72_10:                              ;   in Loop: Header=BB72_4 Depth=1
	s_or_b64 exec, exec, s[8:9]
	v_mov_b32_e32 v34, 0
	v_mov_b32_e32 v39, 0
	s_and_saveexec_b64 s[8:9], s[2:3]
	s_cbranch_execz .LBB72_12
; %bb.11:                               ;   in Loop: Header=BB72_4 Depth=1
	v_mov_b32_e32 v37, s23
	v_add_co_u32_e64 v38, s[6:7], s22, v24
	v_addc_co_u32_e64 v39, s[6:7], v23, v37, s[6:7]
	global_load_dword v39, v[38:39], off
.LBB72_12:                              ;   in Loop: Header=BB72_4 Depth=1
	s_or_b64 exec, exec, s[8:9]
	v_mov_b32_e32 v37, s27
	v_add_co_u32_e64 v40, s[6:7], s26, v27
	v_addc_co_u32_e64 v41, s[6:7], v28, v37, s[6:7]
	v_cmp_gt_u64_e64 s[6:7], s[24:25], v[40:41]
	v_mov_b32_e32 v38, 0
	s_and_saveexec_b64 s[10:11], s[6:7]
	s_cbranch_execz .LBB72_14
; %bb.13:                               ;   in Loop: Header=BB72_4 Depth=1
	v_mov_b32_e32 v34, s23
	v_add_co_u32_e64 v40, s[8:9], s22, v14
	v_addc_co_u32_e64 v41, s[8:9], v13, v34, s[8:9]
	v_add_co_u32_e64 v42, s[8:9], s22, v16
	v_addc_co_u32_e64 v43, s[8:9], v15, v34, s[8:9]
	global_load_dword v34, v[40:41], off
	global_load_dword v38, v[42:43], off
.LBB72_14:                              ;   in Loop: Header=BB72_4 Depth=1
	s_or_b64 exec, exec, s[10:11]
	v_mov_b32_e32 v37, 0
	v_mov_b32_e32 v41, 0
	s_and_saveexec_b64 s[10:11], s[6:7]
	s_cbranch_execz .LBB72_16
; %bb.15:                               ;   in Loop: Header=BB72_4 Depth=1
	v_mov_b32_e32 v41, s23
	v_add_co_u32_e64 v40, s[8:9], s22, v18
	v_addc_co_u32_e64 v41, s[8:9], v17, v41, s[8:9]
	global_load_dword v41, v[40:41], off
.LBB72_16:                              ;   in Loop: Header=BB72_4 Depth=1
	s_or_b64 exec, exec, s[10:11]
	v_mov_b32_e32 v40, s27
	v_add_co_u32_e64 v42, s[8:9], s26, v25
	v_addc_co_u32_e64 v43, s[8:9], v26, v40, s[8:9]
	v_cmp_gt_u64_e64 s[8:9], s[24:25], v[42:43]
	v_mov_b32_e32 v40, 0
	s_and_saveexec_b64 s[28:29], s[8:9]
	s_cbranch_execnz .LBB72_22
; %bb.17:                               ;   in Loop: Header=BB72_4 Depth=1
	s_or_b64 exec, exec, s[28:29]
	v_mov_b32_e32 v42, 0
	s_and_saveexec_b64 s[28:29], s[8:9]
	s_cbranch_execnz .LBB72_23
.LBB72_18:                              ;   in Loop: Header=BB72_4 Depth=1
	s_or_b64 exec, exec, s[28:29]
	s_and_saveexec_b64 s[10:11], vcc
	s_cbranch_execnz .LBB72_24
.LBB72_19:                              ;   in Loop: Header=BB72_4 Depth=1
	s_or_b64 exec, exec, s[10:11]
	s_and_saveexec_b64 s[10:11], s[2:3]
	s_cbranch_execnz .LBB72_25
.LBB72_20:                              ;   in Loop: Header=BB72_4 Depth=1
	s_or_b64 exec, exec, s[10:11]
	s_and_saveexec_b64 s[2:3], s[6:7]
	s_cbranch_execnz .LBB72_26
.LBB72_21:                              ;   in Loop: Header=BB72_4 Depth=1
	s_or_b64 exec, exec, s[2:3]
	s_and_saveexec_b64 s[2:3], s[8:9]
	s_cbranch_execz .LBB72_3
	s_branch .LBB72_27
.LBB72_22:                              ;   in Loop: Header=BB72_4 Depth=1
	v_mov_b32_e32 v37, s23
	v_add_co_u32_e64 v42, s[10:11], s22, v8
	v_addc_co_u32_e64 v43, s[10:11], v7, v37, s[10:11]
	v_add_co_u32_e64 v44, s[10:11], s22, v10
	v_addc_co_u32_e64 v45, s[10:11], v9, v37, s[10:11]
	global_load_dword v37, v[42:43], off
	global_load_dword v40, v[44:45], off
	s_or_b64 exec, exec, s[28:29]
	v_mov_b32_e32 v42, 0
	s_and_saveexec_b64 s[28:29], s[8:9]
	s_cbranch_execz .LBB72_18
.LBB72_23:                              ;   in Loop: Header=BB72_4 Depth=1
	v_mov_b32_e32 v43, s23
	v_add_co_u32_e64 v42, s[10:11], s22, v12
	v_addc_co_u32_e64 v43, s[10:11], v11, v43, s[10:11]
	global_load_dword v42, v[42:43], off
	s_or_b64 exec, exec, s[28:29]
	s_and_saveexec_b64 s[10:11], vcc
	s_cbranch_execz .LBB72_19
.LBB72_24:                              ;   in Loop: Header=BB72_4 Depth=1
	s_waitcnt vmcnt(0)
	v_div_scale_f32 v46, s[28:29], v35, v35, v33
	v_rcp_f32_e32 v47, v46
	v_mov_b32_e32 v43, s23
	v_add_co_u32_e32 v44, vcc, s22, v2
	v_addc_co_u32_e32 v45, vcc, v1, v43, vcc
	v_fma_f32 v43, -v46, v47, 1.0
	v_fmac_f32_e32 v47, v43, v47
	v_div_scale_f32 v43, vcc, v33, v35, v33
	v_mul_f32_e32 v48, v43, v47
	v_fma_f32 v49, -v46, v48, v43
	v_fmac_f32_e32 v48, v49, v47
	v_fma_f32 v43, -v46, v48, v43
	v_div_fmas_f32 v43, v43, v47, v48
	v_div_fixup_f32 v33, v43, v35, v33
	v_add_f32_e32 v35, v32, v33
	v_fmac_f32_e32 v32, s12, v33
	v_cndmask_b32_e64 v32, v32, v35, s[0:1]
	global_store_dword v[44:45], v32, off
	s_or_b64 exec, exec, s[10:11]
	s_and_saveexec_b64 s[10:11], s[2:3]
	s_cbranch_execz .LBB72_20
.LBB72_25:                              ;   in Loop: Header=BB72_4 Depth=1
	s_waitcnt vmcnt(0)
	v_div_scale_f32 v32, s[2:3], v39, v39, v36
	v_rcp_f32_e32 v33, v32
	v_div_scale_f32 v35, vcc, v36, v39, v36
	v_fma_f32 v43, -v32, v33, 1.0
	v_fmac_f32_e32 v33, v43, v33
	v_mul_f32_e32 v43, v35, v33
	v_fma_f32 v44, -v32, v43, v35
	v_fmac_f32_e32 v43, v44, v33
	v_fma_f32 v32, -v32, v43, v35
	v_div_fmas_f32 v32, v32, v33, v43
	v_div_fixup_f32 v32, v32, v39, v36
	v_add_f32_e32 v33, v31, v32
	v_fmac_f32_e32 v31, s12, v32
	v_cndmask_b32_e64 v31, v31, v33, s[0:1]
	v_mov_b32_e32 v33, s23
	v_add_co_u32_e32 v32, vcc, s22, v20
	v_addc_co_u32_e32 v33, vcc, v19, v33, vcc
	global_store_dword v[32:33], v31, off
	s_or_b64 exec, exec, s[10:11]
	s_and_saveexec_b64 s[2:3], s[6:7]
	s_cbranch_execz .LBB72_21
.LBB72_26:                              ;   in Loop: Header=BB72_4 Depth=1
	s_waitcnt vmcnt(0)
	v_div_scale_f32 v31, s[6:7], v41, v41, v38
	v_rcp_f32_e32 v32, v31
	v_div_scale_f32 v33, vcc, v38, v41, v38
	v_fma_f32 v35, -v31, v32, 1.0
	v_fmac_f32_e32 v32, v35, v32
	v_mul_f32_e32 v35, v33, v32
	v_fma_f32 v36, -v31, v35, v33
	v_fmac_f32_e32 v35, v36, v32
	v_fma_f32 v31, -v31, v35, v33
	v_div_fmas_f32 v31, v31, v32, v35
	v_div_fixup_f32 v31, v31, v41, v38
	v_add_f32_e32 v32, v34, v31
	v_fmac_f32_e32 v34, s12, v31
	v_cndmask_b32_e64 v31, v34, v32, s[0:1]
	v_mov_b32_e32 v33, s23
	v_add_co_u32_e32 v32, vcc, s22, v14
	v_addc_co_u32_e32 v33, vcc, v13, v33, vcc
	global_store_dword v[32:33], v31, off
	s_or_b64 exec, exec, s[2:3]
	s_and_saveexec_b64 s[2:3], s[8:9]
	s_cbranch_execz .LBB72_3
.LBB72_27:                              ;   in Loop: Header=BB72_4 Depth=1
	s_waitcnt vmcnt(0)
	v_div_scale_f32 v31, s[6:7], v42, v42, v40
	v_rcp_f32_e32 v32, v31
	v_div_scale_f32 v33, vcc, v40, v42, v40
	v_fma_f32 v34, -v31, v32, 1.0
	v_fmac_f32_e32 v32, v34, v32
	v_mul_f32_e32 v34, v33, v32
	v_fma_f32 v35, -v31, v34, v33
	v_fmac_f32_e32 v34, v35, v32
	v_fma_f32 v31, -v31, v34, v33
	v_div_fmas_f32 v31, v31, v32, v34
	v_div_fixup_f32 v31, v31, v42, v40
	v_add_f32_e32 v32, v37, v31
	v_fmac_f32_e32 v37, s12, v31
	v_cndmask_b32_e64 v31, v37, v32, s[0:1]
	v_mov_b32_e32 v33, s23
	v_add_co_u32_e32 v32, vcc, s22, v8
	v_addc_co_u32_e32 v33, vcc, v7, v33, vcc
	global_store_dword v[32:33], v31, off
	s_branch .LBB72_3
.LBB72_28:
	s_mov_b64 s[0:1], 0
.LBB72_29:
	s_andn2_b64 vcc, exec, s[0:1]
	s_cbranch_vccnz .LBB72_33
; %bb.30:
	v_mov_b32_e32 v3, 0
	v_lshlrev_b32_e32 v2, 2, v0
	s_mov_b32 s2, 0
	v_cmp_gt_i64_e32 vcc, s[16:17], v[2:3]
	s_and_saveexec_b64 s[0:1], vcc
	s_cbranch_execz .LBB72_33
; %bb.31:
	s_load_dword s3, s[4:5], 0xc5c
	v_lshlrev_b32_e32 v1, 4, v0
	v_mov_b32_e32 v4, s23
	v_cmp_eq_f32_e64 s[0:1], s12, 1.0
	s_mov_b32 s13, s12
	s_waitcnt lgkmcnt(0)
	s_and_b32 s3, s3, 0xffff
	s_lshl_b32 s24, s3, 2
	s_add_u32 s20, s20, 8
	s_addc_u32 s4, s21, 0
	s_lshl_b32 s21, s3, 4
	s_add_u32 s18, s18, 8
	v_add_lshl_u32 v2, v0, s3, 2
	v_add_co_u32_e32 v0, vcc, s22, v1
	s_addc_u32 s5, s19, 0
	v_addc_co_u32_e32 v1, vcc, 0, v4, vcc
	s_mov_b64 s[8:9], 0
	v_mov_b32_e32 v4, s4
	v_mov_b32_e32 v5, s5
	;; [unrolled: 1-line block ×3, first 2 shown]
	s_mov_b64 s[10:11], 0xffff
	v_mov_b32_e32 v7, s2
	v_mov_b32_e32 v8, s2
.LBB72_32:                              ; =>This Inner Loop Header: Depth=1
	v_add_co_u32_e32 v18, vcc, s18, v0
	v_addc_co_u32_e32 v19, vcc, v5, v1, vcc
	v_add_co_u32_e32 v20, vcc, s14, v0
	v_addc_co_u32_e32 v21, vcc, v6, v1, vcc
	global_load_dwordx4 v[10:13], v[18:19], off offset:-8
	global_load_dwordx4 v[14:17], v[20:21], off
	v_add_co_u32_e32 v22, vcc, s20, v0
	v_addc_co_u32_e32 v23, vcc, v4, v1, vcc
	global_load_dwordx4 v[18:21], v[22:23], off offset:-8
	v_cmp_le_i64_e32 vcc, s[16:17], v[2:3]
	v_cmp_lt_u64_e64 s[2:3], s[10:11], v[2:3]
	s_or_b64 s[2:3], vcc, s[2:3]
	v_add_co_u32_e64 v2, s[4:5], s24, v2
	s_and_b64 s[2:3], exec, s[2:3]
	v_addc_co_u32_e64 v3, s[4:5], v3, v7, s[4:5]
	s_or_b64 s[8:9], s[2:3], s[8:9]
	v_add_co_u32_e64 v0, s[4:5], s21, v0
	v_addc_co_u32_e64 v1, s[4:5], v1, v8, s[4:5]
	s_waitcnt vmcnt(1)
	v_div_scale_f32 v9, s[2:3], v15, v15, v11
	v_div_scale_f32 v25, s[2:3], v14, v14, v10
	v_rcp_f32_e32 v31, v9
	v_div_scale_f32 v27, s[4:5], v17, v17, v13
	v_rcp_f32_e32 v32, v25
	;; [unrolled: 2-line block ×3, first 2 shown]
	v_rcp_f32_e32 v34, v29
	v_fma_f32 v35, -v9, v31, 1.0
	v_div_scale_f32 v24, vcc, v11, v15, v11
	v_fma_f32 v36, -v25, v32, 1.0
	v_fmac_f32_e32 v31, v35, v31
	v_div_scale_f32 v26, s[2:3], v10, v14, v10
	v_fma_f32 v37, -v27, v33, 1.0
	v_fmac_f32_e32 v32, v36, v32
	v_mul_f32_e32 v35, v24, v31
	v_div_scale_f32 v28, s[4:5], v13, v17, v13
	v_fma_f32 v38, -v29, v34, 1.0
	v_fmac_f32_e32 v33, v37, v33
	v_mul_f32_e32 v36, v26, v32
	v_fma_f32 v39, -v9, v35, v24
	v_div_scale_f32 v30, s[6:7], v12, v16, v12
	v_fmac_f32_e32 v34, v38, v34
	v_mul_f32_e32 v37, v28, v33
	v_fma_f32 v40, -v25, v36, v26
	v_fmac_f32_e32 v35, v39, v31
	v_mul_f32_e32 v38, v30, v34
	v_fma_f32 v41, -v27, v37, v28
	v_fmac_f32_e32 v36, v40, v32
	v_fma_f32 v9, -v9, v35, v24
	v_fma_f32 v42, -v29, v38, v30
	v_fmac_f32_e32 v37, v41, v33
	v_fma_f32 v24, -v25, v36, v26
	v_div_fmas_f32 v9, v9, v31, v35
	s_mov_b64 vcc, s[2:3]
	v_fmac_f32_e32 v38, v42, v34
	v_fma_f32 v25, -v27, v37, v28
	v_div_fixup_f32 v11, v9, v15, v11
	v_div_fmas_f32 v9, v24, v32, v36
	s_mov_b64 vcc, s[4:5]
	v_fma_f32 v26, -v29, v38, v30
	v_div_fixup_f32 v10, v9, v14, v10
	v_div_fmas_f32 v9, v25, v33, v37
	s_mov_b64 vcc, s[6:7]
	v_div_fixup_f32 v13, v9, v17, v13
	v_div_fmas_f32 v9, v26, v34, v38
	s_waitcnt vmcnt(0)
	v_pk_add_f32 v[14:15], v[18:19], v[10:11]
	v_pk_fma_f32 v[10:11], s[12:13], v[10:11], v[18:19]
	v_div_fixup_f32 v12, v9, v16, v12
	v_cndmask_b32_e64 v11, v11, v15, s[0:1]
	v_cndmask_b32_e64 v10, v10, v14, s[0:1]
	v_pk_add_f32 v[14:15], v[20:21], v[12:13]
	v_pk_fma_f32 v[12:13], s[12:13], v[12:13], v[20:21]
	v_cndmask_b32_e64 v13, v13, v15, s[0:1]
	v_cndmask_b32_e64 v12, v12, v14, s[0:1]
	global_store_dwordx4 v[22:23], v[10:13], off offset:-8
	s_andn2_b64 exec, exec, s[8:9]
	s_cbranch_execnz .LBB72_32
.LBB72_33:
	s_endpgm
	.section	.rodata,"a",@progbits
	.p2align	6, 0x0
	.amdhsa_kernel _ZN2at6native12_GLOBAL__N_125multi_tensor_apply_kernelINS1_18TensorListMetadataILi3EEENS1_24PointwiseOpScalarFunctorIfLi3ELi3ELi0EEEJSt7dividesIfEfEEEvT_T0_DpT1_
		.amdhsa_group_segment_fixed_size 0
		.amdhsa_private_segment_fixed_size 0
		.amdhsa_kernarg_size 3408
		.amdhsa_user_sgpr_count 6
		.amdhsa_user_sgpr_private_segment_buffer 1
		.amdhsa_user_sgpr_dispatch_ptr 0
		.amdhsa_user_sgpr_queue_ptr 0
		.amdhsa_user_sgpr_kernarg_segment_ptr 1
		.amdhsa_user_sgpr_dispatch_id 0
		.amdhsa_user_sgpr_flat_scratch_init 0
		.amdhsa_user_sgpr_kernarg_preload_length 0
		.amdhsa_user_sgpr_kernarg_preload_offset 0
		.amdhsa_user_sgpr_private_segment_size 0
		.amdhsa_uses_dynamic_stack 0
		.amdhsa_system_sgpr_private_segment_wavefront_offset 0
		.amdhsa_system_sgpr_workgroup_id_x 1
		.amdhsa_system_sgpr_workgroup_id_y 0
		.amdhsa_system_sgpr_workgroup_id_z 0
		.amdhsa_system_sgpr_workgroup_info 0
		.amdhsa_system_vgpr_workitem_id 0
		.amdhsa_next_free_vgpr 50
		.amdhsa_next_free_sgpr 32
		.amdhsa_accum_offset 52
		.amdhsa_reserve_vcc 1
		.amdhsa_reserve_flat_scratch 0
		.amdhsa_float_round_mode_32 0
		.amdhsa_float_round_mode_16_64 0
		.amdhsa_float_denorm_mode_32 3
		.amdhsa_float_denorm_mode_16_64 3
		.amdhsa_dx10_clamp 1
		.amdhsa_ieee_mode 1
		.amdhsa_fp16_overflow 0
		.amdhsa_tg_split 0
		.amdhsa_exception_fp_ieee_invalid_op 0
		.amdhsa_exception_fp_denorm_src 0
		.amdhsa_exception_fp_ieee_div_zero 0
		.amdhsa_exception_fp_ieee_overflow 0
		.amdhsa_exception_fp_ieee_underflow 0
		.amdhsa_exception_fp_ieee_inexact 0
		.amdhsa_exception_int_div_zero 0
	.end_amdhsa_kernel
	.section	.text._ZN2at6native12_GLOBAL__N_125multi_tensor_apply_kernelINS1_18TensorListMetadataILi3EEENS1_24PointwiseOpScalarFunctorIfLi3ELi3ELi0EEEJSt7dividesIfEfEEEvT_T0_DpT1_,"axG",@progbits,_ZN2at6native12_GLOBAL__N_125multi_tensor_apply_kernelINS1_18TensorListMetadataILi3EEENS1_24PointwiseOpScalarFunctorIfLi3ELi3ELi0EEEJSt7dividesIfEfEEEvT_T0_DpT1_,comdat
.Lfunc_end72:
	.size	_ZN2at6native12_GLOBAL__N_125multi_tensor_apply_kernelINS1_18TensorListMetadataILi3EEENS1_24PointwiseOpScalarFunctorIfLi3ELi3ELi0EEEJSt7dividesIfEfEEEvT_T0_DpT1_, .Lfunc_end72-_ZN2at6native12_GLOBAL__N_125multi_tensor_apply_kernelINS1_18TensorListMetadataILi3EEENS1_24PointwiseOpScalarFunctorIfLi3ELi3ELi0EEEJSt7dividesIfEfEEEvT_T0_DpT1_
                                        ; -- End function
	.section	.AMDGPU.csdata,"",@progbits
; Kernel info:
; codeLenInByte = 2404
; NumSgprs: 36
; NumVgprs: 50
; NumAgprs: 0
; TotalNumVgprs: 50
; ScratchSize: 0
; MemoryBound: 0
; FloatMode: 240
; IeeeMode: 1
; LDSByteSize: 0 bytes/workgroup (compile time only)
; SGPRBlocks: 4
; VGPRBlocks: 6
; NumSGPRsForWavesPerEU: 36
; NumVGPRsForWavesPerEU: 50
; AccumOffset: 52
; Occupancy: 8
; WaveLimiterHint : 0
; COMPUTE_PGM_RSRC2:SCRATCH_EN: 0
; COMPUTE_PGM_RSRC2:USER_SGPR: 6
; COMPUTE_PGM_RSRC2:TRAP_HANDLER: 0
; COMPUTE_PGM_RSRC2:TGID_X_EN: 1
; COMPUTE_PGM_RSRC2:TGID_Y_EN: 0
; COMPUTE_PGM_RSRC2:TGID_Z_EN: 0
; COMPUTE_PGM_RSRC2:TIDIG_COMP_CNT: 0
; COMPUTE_PGM_RSRC3_GFX90A:ACCUM_OFFSET: 12
; COMPUTE_PGM_RSRC3_GFX90A:TG_SPLIT: 0
	.section	.text._ZN2at6native12_GLOBAL__N_125multi_tensor_apply_kernelINS1_18TensorListMetadataILi3EEENS1_24PointwiseOpScalarFunctorIN3c107complexIdEELi3ELi3ELi0EEEJSt7dividesIS8_ES8_EEEvT_T0_DpT1_,"axG",@progbits,_ZN2at6native12_GLOBAL__N_125multi_tensor_apply_kernelINS1_18TensorListMetadataILi3EEENS1_24PointwiseOpScalarFunctorIN3c107complexIdEELi3ELi3ELi0EEEJSt7dividesIS8_ES8_EEEvT_T0_DpT1_,comdat
	.globl	_ZN2at6native12_GLOBAL__N_125multi_tensor_apply_kernelINS1_18TensorListMetadataILi3EEENS1_24PointwiseOpScalarFunctorIN3c107complexIdEELi3ELi3ELi0EEEJSt7dividesIS8_ES8_EEEvT_T0_DpT1_ ; -- Begin function _ZN2at6native12_GLOBAL__N_125multi_tensor_apply_kernelINS1_18TensorListMetadataILi3EEENS1_24PointwiseOpScalarFunctorIN3c107complexIdEELi3ELi3ELi0EEEJSt7dividesIS8_ES8_EEEvT_T0_DpT1_
	.p2align	8
	.type	_ZN2at6native12_GLOBAL__N_125multi_tensor_apply_kernelINS1_18TensorListMetadataILi3EEENS1_24PointwiseOpScalarFunctorIN3c107complexIdEELi3ELi3ELi0EEEJSt7dividesIS8_ES8_EEEvT_T0_DpT1_,@function
_ZN2at6native12_GLOBAL__N_125multi_tensor_apply_kernelINS1_18TensorListMetadataILi3EEENS1_24PointwiseOpScalarFunctorIN3c107complexIdEELi3ELi3ELi0EEEJSt7dividesIS8_ES8_EEEvT_T0_DpT1_: ; @_ZN2at6native12_GLOBAL__N_125multi_tensor_apply_kernelINS1_18TensorListMetadataILi3EEENS1_24PointwiseOpScalarFunctorIN3c107complexIdEELi3ELi3ELi0EEEJSt7dividesIS8_ES8_EEEvT_T0_DpT1_
; %bb.0:
	v_mov_b32_e32 v1, s6
	global_load_ubyte v1, v1, s[4:5] offset:1536
	s_add_u32 s0, s4, s6
	s_mul_hi_u32 s1, s6, 3
	s_mul_i32 s6, s6, 3
	s_addc_u32 s2, s5, 0
	s_add_u32 s0, s0, s6
	s_addc_u32 s1, s2, s1
	s_load_dword s8, s[0:1], 0x740
	s_load_dwordx4 s[16:19], s[4:5], 0xc50
	s_mov_b32 s11, 0
	s_mov_b32 s13, s11
	s_waitcnt lgkmcnt(0)
	s_ashr_i32 s9, s8, 31
	s_lshl_b64 s[22:23], s[8:9], 20
	s_waitcnt vmcnt(0)
	v_readfirstlane_b32 s0, v1
	s_lshl_b32 s10, s0, 3
	s_load_dwordx2 s[0:1], s[4:5], s10 offset:0x0
	s_load_dwordx2 s[2:3], s[4:5], s10 offset:0x180
	;; [unrolled: 1-line block ×4, first 2 shown]
	s_waitcnt lgkmcnt(0)
	s_add_u32 s33, s0, s22
	s_addc_u32 s36, s1, s23
	s_add_u32 s37, s2, s22
	s_addc_u32 s38, s3, s23
	;; [unrolled: 2-line block ×3, first 2 shown]
	s_or_b32 s12, s39, s37
	s_and_b32 s10, s33, 63
	s_and_b32 s12, s12, 63
	s_cmp_eq_u32 s12, 0
	s_cselect_b64 s[24:25], -1, 0
	s_lshl_b64 s[8:9], s[8:9], 16
	s_sub_u32 s20, s14, s8
	s_subb_u32 s21, s15, s9
	s_and_b32 s12, s14, 3
	s_or_b64 s[8:9], s[10:11], s[12:13]
	s_cmp_eq_u64 s[8:9], 0
	s_cselect_b64 s[8:9], -1, 0
	s_and_b64 s[10:11], s[24:25], s[8:9]
	s_mov_b64 s[8:9], -1
	s_and_b64 vcc, exec, s[10:11]
	s_cbranch_vccnz .LBB73_109
; %bb.1:
	v_cmp_lt_i64_e64 s[8:9], s[20:21], 1
	s_and_b64 vcc, exec, s[8:9]
	s_cbranch_vccnz .LBB73_108
; %bb.2:
	s_load_dword s8, s[4:5], 0xc6c
	v_mov_b32_e32 v2, 0x10000
	v_mov_b32_e32 v3, 0
	v_lshlrev_b32_e32 v4, 4, v0
	v_cmp_lt_u64_e32 vcc, s[20:21], v[2:3]
	s_waitcnt lgkmcnt(0)
	s_and_b32 s42, s8, 0xffff
	v_or_b32_e32 v2, 8, v4
	s_and_b64 s[8:9], vcc, exec
	v_mov_b32_e32 v5, s3
	v_add_co_u32_e32 v50, vcc, s2, v2
	v_addc_co_u32_e32 v51, vcc, 0, v5, vcc
	v_mov_b32_e32 v6, s1
	v_add_co_u32_e32 v52, vcc, s0, v2
	v_addc_co_u32_e32 v53, vcc, 0, v6, vcc
	v_add_lshl_u32 v7, v0, s42, 4
	v_mov_b32_e32 v8, s7
	v_add_co_u32_e32 v54, vcc, s6, v7
	v_addc_co_u32_e32 v55, vcc, 0, v8, vcc
	v_add_co_u32_e32 v56, vcc, s6, v2
	v_mov_b32_e32 v1, 0
	v_addc_co_u32_e32 v57, vcc, 0, v8, vcc
	v_cmp_neq_f64_e64 s[8:9], s[16:17], 1.0
	v_cmp_neq_f64_e64 s[10:11], s[18:19], 0
	v_mov_b32_e32 v3, v1
	v_add_co_u32_e32 v58, vcc, s0, v7
	s_cselect_b32 s25, s21, 0
	s_cselect_b32 s24, s20, 0x10000
	s_or_b64 s[26:27], s[8:9], s[10:11]
	v_addc_co_u32_e32 v59, vcc, 0, v6, vcc
	v_mad_u64_u32 v[2:3], s[8:9], s42, 48, v[2:3]
	v_add_co_u32_e32 v60, vcc, s2, v2
	v_addc_co_u32_e32 v61, vcc, v5, v3, vcc
	v_add_co_u32_e32 v62, vcc, s2, v7
	v_addc_co_u32_e32 v63, vcc, 0, v5, vcc
	;; [unrolled: 2-line block ×4, first 2 shown]
	s_lshl_b32 s1, s42, 5
	v_add_co_u32_e32 v2, vcc, s1, v4
	v_addc_co_u32_e64 v3, s[8:9], 0, 0, vcc
	v_add_co_u32_e32 v68, vcc, s6, v2
	v_addc_co_u32_e32 v69, vcc, v8, v3, vcc
	v_or_b32_e32 v2, 8, v2
	v_add_co_u32_e32 v70, vcc, s2, v2
	s_mov_b32 s41, 0
	v_addc_co_u32_e32 v71, vcc, v5, v3, vcc
	s_lshl_b32 s28, s42, 2
	s_mov_b32 s29, s41
	v_add_co_u32_e32 v72, vcc, s0, v2
	s_lshl_b32 s43, s42, 1
	s_mov_b32 s44, s41
	s_mul_i32 s45, s42, 3
	s_mov_b32 s46, s41
	s_lshl_b32 s47, s42, 6
	s_mov_b32 s48, s41
	v_addc_co_u32_e32 v73, vcc, v6, v3, vcc
	v_pk_mov_b32 v[74:75], v[0:1], v[0:1] op_sel:[0,1]
	s_mov_b64 s[30:31], s[28:29]
	s_branch .LBB73_4
.LBB73_3:                               ;   in Loop: Header=BB73_4 Depth=1
	s_or_b64 exec, exec, s[0:1]
	v_pk_mov_b32 v[2:3], s[20:21], s[20:21] op_sel:[0,1]
	v_cmp_ge_i64_e32 vcc, s[30:31], v[2:3]
	v_mov_b32_e32 v2, 0xffff
	v_mov_b32_e32 v3, 0
	v_cmp_gt_u64_e64 s[0:1], s[30:31], v[2:3]
	s_or_b64 s[0:1], vcc, s[0:1]
	v_mov_b32_e32 v1, s29
	v_add_co_u32_e32 v74, vcc, s28, v74
	v_addc_co_u32_e32 v75, vcc, v75, v1, vcc
	v_mov_b32_e32 v1, s48
	v_add_co_u32_e32 v50, vcc, s47, v50
	v_addc_co_u32_e32 v51, vcc, v51, v1, vcc
	v_add_co_u32_e32 v52, vcc, s47, v52
	v_addc_co_u32_e32 v53, vcc, v53, v1, vcc
	;; [unrolled: 2-line block ×11, first 2 shown]
	v_add_co_u32_e32 v72, vcc, s47, v72
	s_add_u32 s30, s30, s28
	v_addc_co_u32_e32 v73, vcc, v73, v1, vcc
	s_addc_u32 s31, s31, 0
	s_and_b64 vcc, exec, s[0:1]
	s_cbranch_vccnz .LBB73_108
.LBB73_4:                               ; =>This Inner Loop Header: Depth=1
	v_pk_mov_b32 v[48:49], 0, 0
	v_cmp_gt_u64_e64 s[0:1], s[24:25], v[74:75]
	v_pk_mov_b32 v[44:45], v[48:49], v[48:49] op_sel:[0,1]
	v_pk_mov_b32 v[42:43], v[48:49], v[48:49] op_sel:[0,1]
	;; [unrolled: 1-line block ×4, first 2 shown]
	s_and_saveexec_b64 s[2:3], s[0:1]
	s_cbranch_execz .LBB73_6
; %bb.5:                                ;   in Loop: Header=BB73_4 Depth=1
	v_mov_b32_e32 v1, s23
	v_add_co_u32_e32 v6, vcc, s22, v50
	v_addc_co_u32_e32 v7, vcc, v51, v1, vcc
	v_add_co_u32_e32 v8, vcc, s22, v52
	v_addc_co_u32_e32 v9, vcc, v53, v1, vcc
	global_load_dwordx4 v[2:5], v[8:9], off offset:-8
	global_load_dwordx4 v[42:45], v[6:7], off offset:-8
.LBB73_6:                               ;   in Loop: Header=BB73_4 Depth=1
	s_or_b64 exec, exec, s[2:3]
	v_pk_mov_b32 v[46:47], v[48:49], v[48:49] op_sel:[0,1]
	s_and_saveexec_b64 s[2:3], s[0:1]
	s_cbranch_execz .LBB73_8
; %bb.7:                                ;   in Loop: Header=BB73_4 Depth=1
	v_mov_b32_e32 v1, s23
	v_add_co_u32_e32 v6, vcc, s22, v56
	v_addc_co_u32_e32 v7, vcc, v57, v1, vcc
	global_load_dwordx4 v[46:49], v[6:7], off offset:-8
.LBB73_8:                               ;   in Loop: Header=BB73_4 Depth=1
	s_or_b64 exec, exec, s[2:3]
	v_mov_b32_e32 v1, s41
	v_add_co_u32_e32 v6, vcc, s42, v74
	v_addc_co_u32_e32 v7, vcc, v1, v75, vcc
	v_pk_mov_b32 v[40:41], 0, 0
	v_cmp_gt_u64_e64 s[2:3], s[24:25], v[6:7]
	v_pk_mov_b32 v[36:37], v[40:41], v[40:41] op_sel:[0,1]
	v_pk_mov_b32 v[34:35], v[40:41], v[40:41] op_sel:[0,1]
	;; [unrolled: 1-line block ×4, first 2 shown]
	s_and_saveexec_b64 s[6:7], s[2:3]
	s_cbranch_execz .LBB73_10
; %bb.9:                                ;   in Loop: Header=BB73_4 Depth=1
	v_mov_b32_e32 v1, s23
	v_add_co_u32_e32 v10, vcc, s22, v62
	v_addc_co_u32_e32 v11, vcc, v63, v1, vcc
	v_add_co_u32_e32 v12, vcc, s22, v58
	v_addc_co_u32_e32 v13, vcc, v59, v1, vcc
	global_load_dwordx4 v[6:9], v[12:13], off
	global_load_dwordx4 v[34:37], v[10:11], off
.LBB73_10:                              ;   in Loop: Header=BB73_4 Depth=1
	s_or_b64 exec, exec, s[6:7]
	v_pk_mov_b32 v[38:39], v[40:41], v[40:41] op_sel:[0,1]
	s_and_saveexec_b64 s[6:7], s[2:3]
	s_cbranch_execz .LBB73_12
; %bb.11:                               ;   in Loop: Header=BB73_4 Depth=1
	v_mov_b32_e32 v1, s23
	v_add_co_u32_e32 v10, vcc, s22, v54
	v_addc_co_u32_e32 v11, vcc, v55, v1, vcc
	global_load_dwordx4 v[38:41], v[10:11], off
.LBB73_12:                              ;   in Loop: Header=BB73_4 Depth=1
	s_or_b64 exec, exec, s[6:7]
	v_mov_b32_e32 v1, s44
	v_add_co_u32_e32 v10, vcc, s43, v74
	v_addc_co_u32_e32 v11, vcc, v1, v75, vcc
	v_pk_mov_b32 v[32:33], 0, 0
	v_cmp_gt_u64_e64 s[6:7], s[24:25], v[10:11]
	v_pk_mov_b32 v[28:29], v[32:33], v[32:33] op_sel:[0,1]
	v_pk_mov_b32 v[26:27], v[32:33], v[32:33] op_sel:[0,1]
	;; [unrolled: 1-line block ×4, first 2 shown]
	s_and_saveexec_b64 s[8:9], s[6:7]
	s_cbranch_execz .LBB73_14
; %bb.13:                               ;   in Loop: Header=BB73_4 Depth=1
	v_mov_b32_e32 v1, s23
	v_add_co_u32_e32 v14, vcc, s22, v70
	v_addc_co_u32_e32 v15, vcc, v71, v1, vcc
	v_add_co_u32_e32 v16, vcc, s22, v72
	v_addc_co_u32_e32 v17, vcc, v73, v1, vcc
	global_load_dwordx4 v[10:13], v[16:17], off offset:-8
	global_load_dwordx4 v[26:29], v[14:15], off offset:-8
.LBB73_14:                              ;   in Loop: Header=BB73_4 Depth=1
	s_or_b64 exec, exec, s[8:9]
	v_pk_mov_b32 v[30:31], v[32:33], v[32:33] op_sel:[0,1]
	s_and_saveexec_b64 s[8:9], s[6:7]
	s_cbranch_execz .LBB73_16
; %bb.15:                               ;   in Loop: Header=BB73_4 Depth=1
	v_mov_b32_e32 v1, s23
	v_add_co_u32_e32 v14, vcc, s22, v68
	v_addc_co_u32_e32 v15, vcc, v69, v1, vcc
	global_load_dwordx4 v[30:33], v[14:15], off
.LBB73_16:                              ;   in Loop: Header=BB73_4 Depth=1
	s_or_b64 exec, exec, s[8:9]
	v_mov_b32_e32 v1, s46
	v_add_co_u32_e32 v14, vcc, s45, v74
	v_addc_co_u32_e32 v15, vcc, v1, v75, vcc
	v_pk_mov_b32 v[24:25], 0, 0
	v_cmp_gt_u64_e64 s[8:9], s[24:25], v[14:15]
	v_pk_mov_b32 v[20:21], v[24:25], v[24:25] op_sel:[0,1]
	v_pk_mov_b32 v[18:19], v[24:25], v[24:25] op_sel:[0,1]
	;; [unrolled: 1-line block ×4, first 2 shown]
	s_and_saveexec_b64 s[10:11], s[8:9]
	s_cbranch_execz .LBB73_18
; %bb.17:                               ;   in Loop: Header=BB73_4 Depth=1
	v_mov_b32_e32 v1, s23
	v_add_co_u32_e32 v22, vcc, s22, v60
	v_addc_co_u32_e32 v23, vcc, v61, v1, vcc
	v_add_co_u32_e32 v76, vcc, s22, v64
	v_addc_co_u32_e32 v77, vcc, v65, v1, vcc
	global_load_dwordx4 v[14:17], v[76:77], off offset:-8
	global_load_dwordx4 v[18:21], v[22:23], off offset:-8
.LBB73_18:                              ;   in Loop: Header=BB73_4 Depth=1
	s_or_b64 exec, exec, s[10:11]
	v_pk_mov_b32 v[22:23], v[24:25], v[24:25] op_sel:[0,1]
	s_and_saveexec_b64 s[10:11], s[8:9]
	s_cbranch_execz .LBB73_20
; %bb.19:                               ;   in Loop: Header=BB73_4 Depth=1
	v_mov_b32_e32 v1, s23
	v_add_co_u32_e32 v22, vcc, s22, v66
	v_addc_co_u32_e32 v23, vcc, v67, v1, vcc
	global_load_dwordx4 v[22:25], v[22:23], off offset:-8
.LBB73_20:                              ;   in Loop: Header=BB73_4 Depth=1
	s_or_b64 exec, exec, s[10:11]
	s_waitcnt vmcnt(0)
	v_xor_b32_e32 v1, 0x80000000, v47
	v_cmp_gt_f64_e32 vcc, 0, v[46:47]
	v_cndmask_b32_e32 v83, v47, v1, vcc
	v_cndmask_b32_e32 v82, v46, v46, vcc
	v_xor_b32_e32 v1, 0x80000000, v49
	v_cmp_gt_f64_e32 vcc, 0, v[48:49]
	v_cndmask_b32_e32 v81, v49, v1, vcc
	v_cndmask_b32_e32 v80, v48, v48, vcc
	v_cmp_ge_f64_e64 s[10:11], v[82:83], v[80:81]
	s_and_b64 vcc, exec, s[26:27]
	s_cbranch_vccz .LBB73_30
; %bb.21:                               ;   in Loop: Header=BB73_4 Depth=1
                                        ; implicit-def: $vgpr78_vgpr79
                                        ; implicit-def: $vgpr84_vgpr85
	s_and_saveexec_b64 s[12:13], s[10:11]
	s_xor_b64 s[14:15], exec, s[12:13]
	s_cbranch_execz .LBB73_27
; %bb.22:                               ;   in Loop: Header=BB73_4 Depth=1
	v_cmp_neq_f64_e32 vcc, 0, v[46:47]
	v_cmp_neq_f64_e64 s[12:13], 0, v[48:49]
	s_or_b64 s[12:13], s[12:13], vcc
                                        ; implicit-def: $vgpr78_vgpr79
                                        ; implicit-def: $vgpr84_vgpr85
	s_and_saveexec_b64 s[34:35], s[12:13]
	s_xor_b64 s[12:13], exec, s[34:35]
	s_cbranch_execz .LBB73_24
; %bb.23:                               ;   in Loop: Header=BB73_4 Depth=1
	v_div_scale_f64 v[76:77], s[34:35], v[46:47], v[46:47], v[48:49]
	v_rcp_f64_e32 v[78:79], v[76:77]
	v_div_scale_f64 v[84:85], vcc, v[48:49], v[46:47], v[48:49]
	v_fma_f64 v[86:87], -v[76:77], v[78:79], 1.0
	v_fmac_f64_e32 v[78:79], v[78:79], v[86:87]
	v_fma_f64 v[86:87], -v[76:77], v[78:79], 1.0
	v_fmac_f64_e32 v[78:79], v[78:79], v[86:87]
	v_mul_f64 v[86:87], v[84:85], v[78:79]
	v_fma_f64 v[76:77], -v[76:77], v[86:87], v[84:85]
	v_div_fmas_f64 v[76:77], v[76:77], v[78:79], v[86:87]
	v_div_fixup_f64 v[76:77], v[76:77], v[46:47], v[48:49]
	v_fma_f64 v[78:79], v[48:49], v[76:77], v[46:47]
	v_div_scale_f64 v[84:85], s[34:35], v[78:79], v[78:79], 1.0
	v_rcp_f64_e32 v[86:87], v[84:85]
	v_fma_f64 v[88:89], -v[84:85], v[86:87], 1.0
	v_fmac_f64_e32 v[86:87], v[86:87], v[88:89]
	v_fma_f64 v[88:89], -v[84:85], v[86:87], 1.0
	v_fmac_f64_e32 v[86:87], v[86:87], v[88:89]
	v_div_scale_f64 v[88:89], vcc, 1.0, v[78:79], 1.0
	v_mul_f64 v[90:91], v[88:89], v[86:87]
	v_fma_f64 v[84:85], -v[84:85], v[90:91], v[88:89]
	s_nop 1
	v_div_fmas_f64 v[84:85], v[84:85], v[86:87], v[90:91]
	v_div_fixup_f64 v[78:79], v[84:85], v[78:79], 1.0
	v_fma_f64 v[84:85], v[44:45], v[76:77], v[42:43]
	v_fma_f64 v[76:77], -v[42:43], v[76:77], v[44:45]
	v_mul_f64 v[84:85], v[84:85], v[78:79]
	v_mul_f64 v[78:79], v[76:77], v[78:79]
.LBB73_24:                              ;   in Loop: Header=BB73_4 Depth=1
	s_andn2_saveexec_b64 s[12:13], s[12:13]
	s_cbranch_execz .LBB73_26
; %bb.25:                               ;   in Loop: Header=BB73_4 Depth=1
	v_div_scale_f64 v[76:77], s[34:35], v[82:83], v[82:83], v[42:43]
	v_rcp_f64_e32 v[78:79], v[76:77]
	v_div_scale_f64 v[88:89], s[34:35], v[80:81], v[80:81], v[44:45]
	v_div_scale_f64 v[84:85], vcc, v[42:43], v[82:83], v[42:43]
	v_fma_f64 v[86:87], -v[76:77], v[78:79], 1.0
	v_fmac_f64_e32 v[78:79], v[78:79], v[86:87]
	v_fma_f64 v[86:87], -v[76:77], v[78:79], 1.0
	v_fmac_f64_e32 v[78:79], v[78:79], v[86:87]
	v_rcp_f64_e32 v[90:91], v[88:89]
	v_mul_f64 v[86:87], v[84:85], v[78:79]
	v_fma_f64 v[76:77], -v[76:77], v[86:87], v[84:85]
	v_div_fmas_f64 v[76:77], v[76:77], v[78:79], v[86:87]
	v_div_fixup_f64 v[84:85], v[76:77], v[82:83], v[42:43]
	v_fma_f64 v[76:77], -v[88:89], v[90:91], 1.0
	v_fmac_f64_e32 v[90:91], v[90:91], v[76:77]
	v_fma_f64 v[76:77], -v[88:89], v[90:91], 1.0
	v_fmac_f64_e32 v[90:91], v[90:91], v[76:77]
	v_div_scale_f64 v[76:77], vcc, v[44:45], v[80:81], v[44:45]
	v_mul_f64 v[78:79], v[76:77], v[90:91]
	v_fma_f64 v[76:77], -v[88:89], v[78:79], v[76:77]
	s_nop 1
	v_div_fmas_f64 v[76:77], v[76:77], v[90:91], v[78:79]
	v_div_fixup_f64 v[78:79], v[76:77], v[80:81], v[44:45]
.LBB73_26:                              ;   in Loop: Header=BB73_4 Depth=1
	s_or_b64 exec, exec, s[12:13]
.LBB73_27:                              ;   in Loop: Header=BB73_4 Depth=1
	s_andn2_saveexec_b64 s[12:13], s[14:15]
	s_cbranch_execz .LBB73_29
; %bb.28:                               ;   in Loop: Header=BB73_4 Depth=1
	v_div_scale_f64 v[76:77], s[14:15], v[48:49], v[48:49], v[46:47]
	v_rcp_f64_e32 v[78:79], v[76:77]
	v_div_scale_f64 v[84:85], vcc, v[46:47], v[48:49], v[46:47]
	v_fma_f64 v[86:87], -v[76:77], v[78:79], 1.0
	v_fmac_f64_e32 v[78:79], v[78:79], v[86:87]
	v_fma_f64 v[86:87], -v[76:77], v[78:79], 1.0
	v_fmac_f64_e32 v[78:79], v[78:79], v[86:87]
	v_mul_f64 v[86:87], v[84:85], v[78:79]
	v_fma_f64 v[76:77], -v[76:77], v[86:87], v[84:85]
	v_div_fmas_f64 v[76:77], v[76:77], v[78:79], v[86:87]
	v_div_fixup_f64 v[76:77], v[76:77], v[48:49], v[46:47]
	v_fma_f64 v[78:79], v[46:47], v[76:77], v[48:49]
	v_div_scale_f64 v[84:85], s[14:15], v[78:79], v[78:79], 1.0
	v_rcp_f64_e32 v[86:87], v[84:85]
	v_fma_f64 v[88:89], -v[84:85], v[86:87], 1.0
	v_fmac_f64_e32 v[86:87], v[86:87], v[88:89]
	v_fma_f64 v[88:89], -v[84:85], v[86:87], 1.0
	v_fmac_f64_e32 v[86:87], v[86:87], v[88:89]
	v_div_scale_f64 v[88:89], vcc, 1.0, v[78:79], 1.0
	v_mul_f64 v[90:91], v[88:89], v[86:87]
	v_fma_f64 v[84:85], -v[84:85], v[90:91], v[88:89]
	s_nop 1
	v_div_fmas_f64 v[84:85], v[84:85], v[86:87], v[90:91]
	v_div_fixup_f64 v[78:79], v[84:85], v[78:79], 1.0
	v_fma_f64 v[84:85], v[42:43], v[76:77], v[44:45]
	v_fma_f64 v[76:77], v[44:45], v[76:77], -v[42:43]
	v_mul_f64 v[84:85], v[84:85], v[78:79]
	v_mul_f64 v[78:79], v[76:77], v[78:79]
.LBB73_29:                              ;   in Loop: Header=BB73_4 Depth=1
	s_or_b64 exec, exec, s[12:13]
	v_mul_f64 v[76:77], s[18:19], v[78:79]
	v_mul_f64 v[78:79], s[16:17], v[78:79]
	v_fma_f64 v[76:77], s[16:17], v[84:85], -v[76:77]
	v_fmac_f64_e32 v[78:79], s[18:19], v[84:85]
	s_branch .LBB73_40
.LBB73_30:                              ;   in Loop: Header=BB73_4 Depth=1
                                        ; implicit-def: $vgpr78_vgpr79
                                        ; implicit-def: $vgpr76_vgpr77
	s_cbranch_execz .LBB73_40
; %bb.31:                               ;   in Loop: Header=BB73_4 Depth=1
                                        ; implicit-def: $vgpr78_vgpr79
                                        ; implicit-def: $vgpr76_vgpr77
	s_and_saveexec_b64 s[12:13], s[10:11]
	s_xor_b64 s[12:13], exec, s[12:13]
	s_cbranch_execz .LBB73_37
; %bb.32:                               ;   in Loop: Header=BB73_4 Depth=1
	v_cmp_neq_f64_e32 vcc, 0, v[46:47]
	v_cmp_neq_f64_e64 s[10:11], 0, v[48:49]
	s_or_b64 s[10:11], s[10:11], vcc
                                        ; implicit-def: $vgpr78_vgpr79
                                        ; implicit-def: $vgpr76_vgpr77
	s_and_saveexec_b64 s[14:15], s[10:11]
	s_xor_b64 s[10:11], exec, s[14:15]
	s_cbranch_execz .LBB73_34
; %bb.33:                               ;   in Loop: Header=BB73_4 Depth=1
	v_div_scale_f64 v[76:77], s[14:15], v[46:47], v[46:47], v[48:49]
	v_rcp_f64_e32 v[78:79], v[76:77]
	v_div_scale_f64 v[80:81], vcc, v[48:49], v[46:47], v[48:49]
	v_fma_f64 v[82:83], -v[76:77], v[78:79], 1.0
	v_fmac_f64_e32 v[78:79], v[78:79], v[82:83]
	v_fma_f64 v[82:83], -v[76:77], v[78:79], 1.0
	v_fmac_f64_e32 v[78:79], v[78:79], v[82:83]
	v_mul_f64 v[82:83], v[80:81], v[78:79]
	v_fma_f64 v[76:77], -v[76:77], v[82:83], v[80:81]
	v_div_fmas_f64 v[76:77], v[76:77], v[78:79], v[82:83]
	v_div_fixup_f64 v[78:79], v[76:77], v[46:47], v[48:49]
	v_fmac_f64_e32 v[46:47], v[48:49], v[78:79]
	v_div_scale_f64 v[48:49], s[14:15], v[46:47], v[46:47], 1.0
	v_rcp_f64_e32 v[76:77], v[48:49]
	v_fma_f64 v[80:81], -v[48:49], v[76:77], 1.0
	v_fmac_f64_e32 v[76:77], v[76:77], v[80:81]
	v_fma_f64 v[80:81], -v[48:49], v[76:77], 1.0
	v_fmac_f64_e32 v[76:77], v[76:77], v[80:81]
	v_div_scale_f64 v[80:81], vcc, 1.0, v[46:47], 1.0
	v_mul_f64 v[82:83], v[80:81], v[76:77]
	v_fma_f64 v[48:49], -v[48:49], v[82:83], v[80:81]
                                        ; implicit-def: $vgpr80_vgpr81
	s_nop 1
	v_div_fmas_f64 v[48:49], v[48:49], v[76:77], v[82:83]
	v_div_fixup_f64 v[46:47], v[48:49], v[46:47], 1.0
	v_fma_f64 v[48:49], v[44:45], v[78:79], v[42:43]
	v_fma_f64 v[42:43], -v[42:43], v[78:79], v[44:45]
	v_mul_f64 v[76:77], v[48:49], v[46:47]
	v_mul_f64 v[78:79], v[42:43], v[46:47]
                                        ; implicit-def: $vgpr82_vgpr83
                                        ; implicit-def: $vgpr42_vgpr43
.LBB73_34:                              ;   in Loop: Header=BB73_4 Depth=1
	s_andn2_saveexec_b64 s[10:11], s[10:11]
	s_cbranch_execz .LBB73_36
; %bb.35:                               ;   in Loop: Header=BB73_4 Depth=1
	v_div_scale_f64 v[46:47], s[14:15], v[82:83], v[82:83], v[42:43]
	v_rcp_f64_e32 v[48:49], v[46:47]
	v_div_scale_f64 v[84:85], s[14:15], v[80:81], v[80:81], v[44:45]
	v_div_scale_f64 v[76:77], vcc, v[42:43], v[82:83], v[42:43]
	v_fma_f64 v[78:79], -v[46:47], v[48:49], 1.0
	v_fmac_f64_e32 v[48:49], v[48:49], v[78:79]
	v_fma_f64 v[78:79], -v[46:47], v[48:49], 1.0
	v_fmac_f64_e32 v[48:49], v[48:49], v[78:79]
	v_rcp_f64_e32 v[86:87], v[84:85]
	v_mul_f64 v[78:79], v[76:77], v[48:49]
	v_fma_f64 v[46:47], -v[46:47], v[78:79], v[76:77]
	v_div_fmas_f64 v[46:47], v[46:47], v[48:49], v[78:79]
	v_div_fixup_f64 v[76:77], v[46:47], v[82:83], v[42:43]
	v_fma_f64 v[42:43], -v[84:85], v[86:87], 1.0
	v_fmac_f64_e32 v[86:87], v[86:87], v[42:43]
	v_fma_f64 v[42:43], -v[84:85], v[86:87], 1.0
	v_fmac_f64_e32 v[86:87], v[86:87], v[42:43]
	v_div_scale_f64 v[42:43], vcc, v[44:45], v[80:81], v[44:45]
	v_mul_f64 v[46:47], v[42:43], v[86:87]
	v_fma_f64 v[42:43], -v[84:85], v[46:47], v[42:43]
	s_nop 1
	v_div_fmas_f64 v[42:43], v[42:43], v[86:87], v[46:47]
	v_div_fixup_f64 v[78:79], v[42:43], v[80:81], v[44:45]
.LBB73_36:                              ;   in Loop: Header=BB73_4 Depth=1
	s_or_b64 exec, exec, s[10:11]
                                        ; implicit-def: $vgpr48_vgpr49
                                        ; implicit-def: $vgpr42_vgpr43
.LBB73_37:                              ;   in Loop: Header=BB73_4 Depth=1
	s_andn2_saveexec_b64 s[10:11], s[12:13]
	s_cbranch_execz .LBB73_39
; %bb.38:                               ;   in Loop: Header=BB73_4 Depth=1
	v_div_scale_f64 v[76:77], s[12:13], v[48:49], v[48:49], v[46:47]
	v_rcp_f64_e32 v[78:79], v[76:77]
	v_div_scale_f64 v[80:81], vcc, v[46:47], v[48:49], v[46:47]
	v_fma_f64 v[82:83], -v[76:77], v[78:79], 1.0
	v_fmac_f64_e32 v[78:79], v[78:79], v[82:83]
	v_fma_f64 v[82:83], -v[76:77], v[78:79], 1.0
	v_fmac_f64_e32 v[78:79], v[78:79], v[82:83]
	v_mul_f64 v[82:83], v[80:81], v[78:79]
	v_fma_f64 v[76:77], -v[76:77], v[82:83], v[80:81]
	v_div_fmas_f64 v[76:77], v[76:77], v[78:79], v[82:83]
	v_div_fixup_f64 v[78:79], v[76:77], v[48:49], v[46:47]
	v_fmac_f64_e32 v[48:49], v[46:47], v[78:79]
	v_div_scale_f64 v[46:47], s[12:13], v[48:49], v[48:49], 1.0
	v_rcp_f64_e32 v[76:77], v[46:47]
	v_fma_f64 v[80:81], -v[46:47], v[76:77], 1.0
	v_fmac_f64_e32 v[76:77], v[76:77], v[80:81]
	v_fma_f64 v[80:81], -v[46:47], v[76:77], 1.0
	v_fmac_f64_e32 v[76:77], v[76:77], v[80:81]
	v_div_scale_f64 v[80:81], vcc, 1.0, v[48:49], 1.0
	v_mul_f64 v[82:83], v[80:81], v[76:77]
	v_fma_f64 v[46:47], -v[46:47], v[82:83], v[80:81]
	s_nop 1
	v_div_fmas_f64 v[46:47], v[46:47], v[76:77], v[82:83]
	v_div_fixup_f64 v[46:47], v[46:47], v[48:49], 1.0
	v_fma_f64 v[48:49], v[42:43], v[78:79], v[44:45]
	v_fma_f64 v[42:43], v[44:45], v[78:79], -v[42:43]
	v_mul_f64 v[76:77], v[48:49], v[46:47]
	v_mul_f64 v[78:79], v[42:43], v[46:47]
.LBB73_39:                              ;   in Loop: Header=BB73_4 Depth=1
	s_or_b64 exec, exec, s[10:11]
.LBB73_40:                              ;   in Loop: Header=BB73_4 Depth=1
	v_xor_b32_e32 v1, 0x80000000, v39
	v_cmp_gt_f64_e32 vcc, 0, v[38:39]
	v_cndmask_b32_e32 v49, v39, v1, vcc
	v_cndmask_b32_e32 v48, v38, v38, vcc
	v_xor_b32_e32 v1, 0x80000000, v41
	v_cmp_gt_f64_e32 vcc, 0, v[40:41]
	v_cndmask_b32_e32 v47, v41, v1, vcc
	v_cndmask_b32_e32 v46, v40, v40, vcc
	v_cndmask_b32_e64 v1, 0, 1, s[26:27]
	v_cmp_ne_u32_e64 s[10:11], 1, v1
	s_andn2_b64 vcc, exec, s[26:27]
	v_cmp_ge_f64_e64 s[12:13], v[48:49], v[46:47]
	s_cbranch_vccnz .LBB73_50
; %bb.41:                               ;   in Loop: Header=BB73_4 Depth=1
                                        ; implicit-def: $vgpr44_vgpr45
                                        ; implicit-def: $vgpr80_vgpr81
	s_and_saveexec_b64 s[14:15], s[12:13]
	s_xor_b64 s[34:35], exec, s[14:15]
	s_cbranch_execz .LBB73_47
; %bb.42:                               ;   in Loop: Header=BB73_4 Depth=1
	v_cmp_neq_f64_e32 vcc, 0, v[38:39]
	v_cmp_neq_f64_e64 s[14:15], 0, v[40:41]
	s_or_b64 s[14:15], s[14:15], vcc
                                        ; implicit-def: $vgpr44_vgpr45
                                        ; implicit-def: $vgpr80_vgpr81
	s_and_saveexec_b64 s[50:51], s[14:15]
	s_xor_b64 s[14:15], exec, s[50:51]
	s_cbranch_execz .LBB73_44
; %bb.43:                               ;   in Loop: Header=BB73_4 Depth=1
	v_div_scale_f64 v[42:43], s[50:51], v[38:39], v[38:39], v[40:41]
	v_rcp_f64_e32 v[44:45], v[42:43]
	v_div_scale_f64 v[80:81], vcc, v[40:41], v[38:39], v[40:41]
	v_fma_f64 v[82:83], -v[42:43], v[44:45], 1.0
	v_fmac_f64_e32 v[44:45], v[44:45], v[82:83]
	v_fma_f64 v[82:83], -v[42:43], v[44:45], 1.0
	v_fmac_f64_e32 v[44:45], v[44:45], v[82:83]
	v_mul_f64 v[82:83], v[80:81], v[44:45]
	v_fma_f64 v[42:43], -v[42:43], v[82:83], v[80:81]
	v_div_fmas_f64 v[42:43], v[42:43], v[44:45], v[82:83]
	v_div_fixup_f64 v[42:43], v[42:43], v[38:39], v[40:41]
	v_fma_f64 v[44:45], v[40:41], v[42:43], v[38:39]
	v_div_scale_f64 v[80:81], s[50:51], v[44:45], v[44:45], 1.0
	v_rcp_f64_e32 v[82:83], v[80:81]
	v_fma_f64 v[84:85], -v[80:81], v[82:83], 1.0
	v_fmac_f64_e32 v[82:83], v[82:83], v[84:85]
	v_fma_f64 v[84:85], -v[80:81], v[82:83], 1.0
	v_fmac_f64_e32 v[82:83], v[82:83], v[84:85]
	v_div_scale_f64 v[84:85], vcc, 1.0, v[44:45], 1.0
	v_mul_f64 v[86:87], v[84:85], v[82:83]
	v_fma_f64 v[80:81], -v[80:81], v[86:87], v[84:85]
	s_nop 1
	v_div_fmas_f64 v[80:81], v[80:81], v[82:83], v[86:87]
	v_div_fixup_f64 v[44:45], v[80:81], v[44:45], 1.0
	v_fma_f64 v[80:81], v[36:37], v[42:43], v[34:35]
	v_fma_f64 v[42:43], -v[34:35], v[42:43], v[36:37]
	v_mul_f64 v[80:81], v[80:81], v[44:45]
	v_mul_f64 v[44:45], v[42:43], v[44:45]
.LBB73_44:                              ;   in Loop: Header=BB73_4 Depth=1
	s_andn2_saveexec_b64 s[14:15], s[14:15]
	s_cbranch_execz .LBB73_46
; %bb.45:                               ;   in Loop: Header=BB73_4 Depth=1
	v_div_scale_f64 v[42:43], s[50:51], v[48:49], v[48:49], v[34:35]
	v_rcp_f64_e32 v[44:45], v[42:43]
	v_div_scale_f64 v[84:85], s[50:51], v[46:47], v[46:47], v[36:37]
	v_div_scale_f64 v[80:81], vcc, v[34:35], v[48:49], v[34:35]
	v_fma_f64 v[82:83], -v[42:43], v[44:45], 1.0
	v_fmac_f64_e32 v[44:45], v[44:45], v[82:83]
	v_fma_f64 v[82:83], -v[42:43], v[44:45], 1.0
	v_fmac_f64_e32 v[44:45], v[44:45], v[82:83]
	v_rcp_f64_e32 v[86:87], v[84:85]
	v_mul_f64 v[82:83], v[80:81], v[44:45]
	v_fma_f64 v[42:43], -v[42:43], v[82:83], v[80:81]
	v_div_fmas_f64 v[42:43], v[42:43], v[44:45], v[82:83]
	v_div_fixup_f64 v[80:81], v[42:43], v[48:49], v[34:35]
	v_fma_f64 v[42:43], -v[84:85], v[86:87], 1.0
	v_fmac_f64_e32 v[86:87], v[86:87], v[42:43]
	v_fma_f64 v[42:43], -v[84:85], v[86:87], 1.0
	v_fmac_f64_e32 v[86:87], v[86:87], v[42:43]
	v_div_scale_f64 v[42:43], vcc, v[36:37], v[46:47], v[36:37]
	v_mul_f64 v[44:45], v[42:43], v[86:87]
	v_fma_f64 v[42:43], -v[84:85], v[44:45], v[42:43]
	s_nop 1
	v_div_fmas_f64 v[42:43], v[42:43], v[86:87], v[44:45]
	v_div_fixup_f64 v[44:45], v[42:43], v[46:47], v[36:37]
.LBB73_46:                              ;   in Loop: Header=BB73_4 Depth=1
	s_or_b64 exec, exec, s[14:15]
.LBB73_47:                              ;   in Loop: Header=BB73_4 Depth=1
	s_andn2_saveexec_b64 s[14:15], s[34:35]
	s_cbranch_execz .LBB73_49
; %bb.48:                               ;   in Loop: Header=BB73_4 Depth=1
	v_div_scale_f64 v[42:43], s[34:35], v[40:41], v[40:41], v[38:39]
	v_rcp_f64_e32 v[44:45], v[42:43]
	v_div_scale_f64 v[80:81], vcc, v[38:39], v[40:41], v[38:39]
	v_fma_f64 v[82:83], -v[42:43], v[44:45], 1.0
	v_fmac_f64_e32 v[44:45], v[44:45], v[82:83]
	v_fma_f64 v[82:83], -v[42:43], v[44:45], 1.0
	v_fmac_f64_e32 v[44:45], v[44:45], v[82:83]
	v_mul_f64 v[82:83], v[80:81], v[44:45]
	v_fma_f64 v[42:43], -v[42:43], v[82:83], v[80:81]
	v_div_fmas_f64 v[42:43], v[42:43], v[44:45], v[82:83]
	v_div_fixup_f64 v[42:43], v[42:43], v[40:41], v[38:39]
	v_fma_f64 v[44:45], v[38:39], v[42:43], v[40:41]
	v_div_scale_f64 v[80:81], s[34:35], v[44:45], v[44:45], 1.0
	v_rcp_f64_e32 v[82:83], v[80:81]
	v_fma_f64 v[84:85], -v[80:81], v[82:83], 1.0
	v_fmac_f64_e32 v[82:83], v[82:83], v[84:85]
	v_fma_f64 v[84:85], -v[80:81], v[82:83], 1.0
	v_fmac_f64_e32 v[82:83], v[82:83], v[84:85]
	v_div_scale_f64 v[84:85], vcc, 1.0, v[44:45], 1.0
	v_mul_f64 v[86:87], v[84:85], v[82:83]
	v_fma_f64 v[80:81], -v[80:81], v[86:87], v[84:85]
	s_nop 1
	v_div_fmas_f64 v[80:81], v[80:81], v[82:83], v[86:87]
	v_div_fixup_f64 v[44:45], v[80:81], v[44:45], 1.0
	v_fma_f64 v[80:81], v[34:35], v[42:43], v[36:37]
	v_fma_f64 v[42:43], v[36:37], v[42:43], -v[34:35]
	v_mul_f64 v[80:81], v[80:81], v[44:45]
	v_mul_f64 v[44:45], v[42:43], v[44:45]
.LBB73_49:                              ;   in Loop: Header=BB73_4 Depth=1
	s_or_b64 exec, exec, s[14:15]
	v_mul_f64 v[42:43], s[18:19], v[44:45]
	v_mul_f64 v[44:45], s[16:17], v[44:45]
	v_fma_f64 v[42:43], s[16:17], v[80:81], -v[42:43]
	v_fmac_f64_e32 v[44:45], s[18:19], v[80:81]
	s_branch .LBB73_60
.LBB73_50:                              ;   in Loop: Header=BB73_4 Depth=1
                                        ; implicit-def: $vgpr44_vgpr45
                                        ; implicit-def: $vgpr42_vgpr43
	s_cbranch_execz .LBB73_60
; %bb.51:                               ;   in Loop: Header=BB73_4 Depth=1
                                        ; implicit-def: $vgpr44_vgpr45
                                        ; implicit-def: $vgpr42_vgpr43
	s_and_saveexec_b64 s[14:15], s[12:13]
	s_xor_b64 s[14:15], exec, s[14:15]
	s_cbranch_execz .LBB73_57
; %bb.52:                               ;   in Loop: Header=BB73_4 Depth=1
	v_cmp_neq_f64_e32 vcc, 0, v[38:39]
	v_cmp_neq_f64_e64 s[12:13], 0, v[40:41]
	s_or_b64 s[12:13], s[12:13], vcc
                                        ; implicit-def: $vgpr44_vgpr45
                                        ; implicit-def: $vgpr42_vgpr43
	s_and_saveexec_b64 s[34:35], s[12:13]
	s_xor_b64 s[12:13], exec, s[34:35]
	s_cbranch_execz .LBB73_54
; %bb.53:                               ;   in Loop: Header=BB73_4 Depth=1
	v_div_scale_f64 v[42:43], s[34:35], v[38:39], v[38:39], v[40:41]
	v_rcp_f64_e32 v[44:45], v[42:43]
	v_div_scale_f64 v[46:47], vcc, v[40:41], v[38:39], v[40:41]
	v_fma_f64 v[48:49], -v[42:43], v[44:45], 1.0
	v_fmac_f64_e32 v[44:45], v[44:45], v[48:49]
	v_fma_f64 v[48:49], -v[42:43], v[44:45], 1.0
	v_fmac_f64_e32 v[44:45], v[44:45], v[48:49]
	v_mul_f64 v[48:49], v[46:47], v[44:45]
	v_fma_f64 v[42:43], -v[42:43], v[48:49], v[46:47]
	v_div_fmas_f64 v[42:43], v[42:43], v[44:45], v[48:49]
	v_div_fixup_f64 v[44:45], v[42:43], v[38:39], v[40:41]
	v_fmac_f64_e32 v[38:39], v[40:41], v[44:45]
	v_div_scale_f64 v[40:41], s[34:35], v[38:39], v[38:39], 1.0
	v_rcp_f64_e32 v[42:43], v[40:41]
	v_fma_f64 v[46:47], -v[40:41], v[42:43], 1.0
	v_fmac_f64_e32 v[42:43], v[42:43], v[46:47]
	v_fma_f64 v[46:47], -v[40:41], v[42:43], 1.0
	v_fmac_f64_e32 v[42:43], v[42:43], v[46:47]
	v_div_scale_f64 v[46:47], vcc, 1.0, v[38:39], 1.0
	v_mul_f64 v[48:49], v[46:47], v[42:43]
	v_fma_f64 v[40:41], -v[40:41], v[48:49], v[46:47]
                                        ; implicit-def: $vgpr46_vgpr47
	s_nop 1
	v_div_fmas_f64 v[40:41], v[40:41], v[42:43], v[48:49]
	v_div_fixup_f64 v[38:39], v[40:41], v[38:39], 1.0
	v_fma_f64 v[40:41], v[36:37], v[44:45], v[34:35]
	v_fma_f64 v[34:35], -v[34:35], v[44:45], v[36:37]
	v_mul_f64 v[42:43], v[40:41], v[38:39]
	v_mul_f64 v[44:45], v[34:35], v[38:39]
                                        ; implicit-def: $vgpr48_vgpr49
                                        ; implicit-def: $vgpr34_vgpr35
.LBB73_54:                              ;   in Loop: Header=BB73_4 Depth=1
	s_andn2_saveexec_b64 s[12:13], s[12:13]
	s_cbranch_execz .LBB73_56
; %bb.55:                               ;   in Loop: Header=BB73_4 Depth=1
	v_div_scale_f64 v[38:39], s[34:35], v[48:49], v[48:49], v[34:35]
	v_rcp_f64_e32 v[40:41], v[38:39]
	v_div_scale_f64 v[80:81], s[34:35], v[46:47], v[46:47], v[36:37]
	v_div_scale_f64 v[42:43], vcc, v[34:35], v[48:49], v[34:35]
	v_fma_f64 v[44:45], -v[38:39], v[40:41], 1.0
	v_fmac_f64_e32 v[40:41], v[40:41], v[44:45]
	v_fma_f64 v[44:45], -v[38:39], v[40:41], 1.0
	v_fmac_f64_e32 v[40:41], v[40:41], v[44:45]
	v_rcp_f64_e32 v[82:83], v[80:81]
	v_mul_f64 v[44:45], v[42:43], v[40:41]
	v_fma_f64 v[38:39], -v[38:39], v[44:45], v[42:43]
	v_div_fmas_f64 v[38:39], v[38:39], v[40:41], v[44:45]
	v_div_fixup_f64 v[42:43], v[38:39], v[48:49], v[34:35]
	v_fma_f64 v[34:35], -v[80:81], v[82:83], 1.0
	v_fmac_f64_e32 v[82:83], v[82:83], v[34:35]
	v_fma_f64 v[34:35], -v[80:81], v[82:83], 1.0
	v_fmac_f64_e32 v[82:83], v[82:83], v[34:35]
	v_div_scale_f64 v[34:35], vcc, v[36:37], v[46:47], v[36:37]
	v_mul_f64 v[38:39], v[34:35], v[82:83]
	v_fma_f64 v[34:35], -v[80:81], v[38:39], v[34:35]
	s_nop 1
	v_div_fmas_f64 v[34:35], v[34:35], v[82:83], v[38:39]
	v_div_fixup_f64 v[44:45], v[34:35], v[46:47], v[36:37]
.LBB73_56:                              ;   in Loop: Header=BB73_4 Depth=1
	s_or_b64 exec, exec, s[12:13]
                                        ; implicit-def: $vgpr40_vgpr41
                                        ; implicit-def: $vgpr34_vgpr35
.LBB73_57:                              ;   in Loop: Header=BB73_4 Depth=1
	s_andn2_saveexec_b64 s[12:13], s[14:15]
	s_cbranch_execz .LBB73_59
; %bb.58:                               ;   in Loop: Header=BB73_4 Depth=1
	v_div_scale_f64 v[42:43], s[14:15], v[40:41], v[40:41], v[38:39]
	v_rcp_f64_e32 v[44:45], v[42:43]
	v_div_scale_f64 v[46:47], vcc, v[38:39], v[40:41], v[38:39]
	v_fma_f64 v[48:49], -v[42:43], v[44:45], 1.0
	v_fmac_f64_e32 v[44:45], v[44:45], v[48:49]
	v_fma_f64 v[48:49], -v[42:43], v[44:45], 1.0
	v_fmac_f64_e32 v[44:45], v[44:45], v[48:49]
	v_mul_f64 v[48:49], v[46:47], v[44:45]
	v_fma_f64 v[42:43], -v[42:43], v[48:49], v[46:47]
	v_div_fmas_f64 v[42:43], v[42:43], v[44:45], v[48:49]
	v_div_fixup_f64 v[44:45], v[42:43], v[40:41], v[38:39]
	v_fmac_f64_e32 v[40:41], v[38:39], v[44:45]
	v_div_scale_f64 v[38:39], s[14:15], v[40:41], v[40:41], 1.0
	v_rcp_f64_e32 v[42:43], v[38:39]
	v_fma_f64 v[46:47], -v[38:39], v[42:43], 1.0
	v_fmac_f64_e32 v[42:43], v[42:43], v[46:47]
	v_fma_f64 v[46:47], -v[38:39], v[42:43], 1.0
	v_fmac_f64_e32 v[42:43], v[42:43], v[46:47]
	v_div_scale_f64 v[46:47], vcc, 1.0, v[40:41], 1.0
	v_mul_f64 v[48:49], v[46:47], v[42:43]
	v_fma_f64 v[38:39], -v[38:39], v[48:49], v[46:47]
	s_nop 1
	v_div_fmas_f64 v[38:39], v[38:39], v[42:43], v[48:49]
	v_div_fixup_f64 v[38:39], v[38:39], v[40:41], 1.0
	v_fma_f64 v[40:41], v[34:35], v[44:45], v[36:37]
	v_fma_f64 v[34:35], v[36:37], v[44:45], -v[34:35]
	v_mul_f64 v[42:43], v[40:41], v[38:39]
	v_mul_f64 v[44:45], v[34:35], v[38:39]
.LBB73_59:                              ;   in Loop: Header=BB73_4 Depth=1
	s_or_b64 exec, exec, s[12:13]
.LBB73_60:                              ;   in Loop: Header=BB73_4 Depth=1
	v_xor_b32_e32 v1, 0x80000000, v31
	v_cmp_gt_f64_e32 vcc, 0, v[30:31]
	v_cndmask_b32_e32 v41, v31, v1, vcc
	v_cndmask_b32_e32 v40, v30, v30, vcc
	v_xor_b32_e32 v1, 0x80000000, v33
	v_cmp_gt_f64_e32 vcc, 0, v[32:33]
	v_cndmask_b32_e32 v39, v33, v1, vcc
	v_cndmask_b32_e32 v38, v32, v32, vcc
	s_and_b64 vcc, exec, s[10:11]
	v_cmp_ge_f64_e64 s[12:13], v[40:41], v[38:39]
	s_cbranch_vccnz .LBB73_70
; %bb.61:                               ;   in Loop: Header=BB73_4 Depth=1
                                        ; implicit-def: $vgpr36_vgpr37
                                        ; implicit-def: $vgpr46_vgpr47
	s_and_saveexec_b64 s[14:15], s[12:13]
	s_xor_b64 s[34:35], exec, s[14:15]
	s_cbranch_execz .LBB73_67
; %bb.62:                               ;   in Loop: Header=BB73_4 Depth=1
	v_cmp_neq_f64_e32 vcc, 0, v[30:31]
	v_cmp_neq_f64_e64 s[14:15], 0, v[32:33]
	s_or_b64 s[14:15], s[14:15], vcc
                                        ; implicit-def: $vgpr36_vgpr37
                                        ; implicit-def: $vgpr46_vgpr47
	s_and_saveexec_b64 s[50:51], s[14:15]
	s_xor_b64 s[14:15], exec, s[50:51]
	s_cbranch_execz .LBB73_64
; %bb.63:                               ;   in Loop: Header=BB73_4 Depth=1
	v_div_scale_f64 v[34:35], s[50:51], v[30:31], v[30:31], v[32:33]
	v_rcp_f64_e32 v[36:37], v[34:35]
	v_div_scale_f64 v[46:47], vcc, v[32:33], v[30:31], v[32:33]
	v_fma_f64 v[48:49], -v[34:35], v[36:37], 1.0
	v_fmac_f64_e32 v[36:37], v[36:37], v[48:49]
	v_fma_f64 v[48:49], -v[34:35], v[36:37], 1.0
	v_fmac_f64_e32 v[36:37], v[36:37], v[48:49]
	v_mul_f64 v[48:49], v[46:47], v[36:37]
	v_fma_f64 v[34:35], -v[34:35], v[48:49], v[46:47]
	v_div_fmas_f64 v[34:35], v[34:35], v[36:37], v[48:49]
	v_div_fixup_f64 v[34:35], v[34:35], v[30:31], v[32:33]
	v_fma_f64 v[36:37], v[32:33], v[34:35], v[30:31]
	v_div_scale_f64 v[46:47], s[50:51], v[36:37], v[36:37], 1.0
	v_rcp_f64_e32 v[48:49], v[46:47]
	v_fma_f64 v[80:81], -v[46:47], v[48:49], 1.0
	v_fmac_f64_e32 v[48:49], v[48:49], v[80:81]
	v_fma_f64 v[80:81], -v[46:47], v[48:49], 1.0
	v_fmac_f64_e32 v[48:49], v[48:49], v[80:81]
	v_div_scale_f64 v[80:81], vcc, 1.0, v[36:37], 1.0
	v_mul_f64 v[82:83], v[80:81], v[48:49]
	v_fma_f64 v[46:47], -v[46:47], v[82:83], v[80:81]
	s_nop 1
	v_div_fmas_f64 v[46:47], v[46:47], v[48:49], v[82:83]
	v_div_fixup_f64 v[36:37], v[46:47], v[36:37], 1.0
	v_fma_f64 v[46:47], v[28:29], v[34:35], v[26:27]
	v_fma_f64 v[34:35], -v[26:27], v[34:35], v[28:29]
	v_mul_f64 v[46:47], v[46:47], v[36:37]
	v_mul_f64 v[36:37], v[34:35], v[36:37]
.LBB73_64:                              ;   in Loop: Header=BB73_4 Depth=1
	s_andn2_saveexec_b64 s[14:15], s[14:15]
	s_cbranch_execz .LBB73_66
; %bb.65:                               ;   in Loop: Header=BB73_4 Depth=1
	v_div_scale_f64 v[34:35], s[50:51], v[40:41], v[40:41], v[26:27]
	v_rcp_f64_e32 v[36:37], v[34:35]
	v_div_scale_f64 v[80:81], s[50:51], v[38:39], v[38:39], v[28:29]
	v_div_scale_f64 v[46:47], vcc, v[26:27], v[40:41], v[26:27]
	v_fma_f64 v[48:49], -v[34:35], v[36:37], 1.0
	v_fmac_f64_e32 v[36:37], v[36:37], v[48:49]
	v_fma_f64 v[48:49], -v[34:35], v[36:37], 1.0
	v_fmac_f64_e32 v[36:37], v[36:37], v[48:49]
	v_rcp_f64_e32 v[82:83], v[80:81]
	v_mul_f64 v[48:49], v[46:47], v[36:37]
	v_fma_f64 v[34:35], -v[34:35], v[48:49], v[46:47]
	v_div_fmas_f64 v[34:35], v[34:35], v[36:37], v[48:49]
	v_div_fixup_f64 v[46:47], v[34:35], v[40:41], v[26:27]
	v_fma_f64 v[34:35], -v[80:81], v[82:83], 1.0
	v_fmac_f64_e32 v[82:83], v[82:83], v[34:35]
	v_fma_f64 v[34:35], -v[80:81], v[82:83], 1.0
	v_fmac_f64_e32 v[82:83], v[82:83], v[34:35]
	v_div_scale_f64 v[34:35], vcc, v[28:29], v[38:39], v[28:29]
	v_mul_f64 v[36:37], v[34:35], v[82:83]
	v_fma_f64 v[34:35], -v[80:81], v[36:37], v[34:35]
	s_nop 1
	v_div_fmas_f64 v[34:35], v[34:35], v[82:83], v[36:37]
	v_div_fixup_f64 v[36:37], v[34:35], v[38:39], v[28:29]
.LBB73_66:                              ;   in Loop: Header=BB73_4 Depth=1
	s_or_b64 exec, exec, s[14:15]
.LBB73_67:                              ;   in Loop: Header=BB73_4 Depth=1
	s_andn2_saveexec_b64 s[14:15], s[34:35]
	s_cbranch_execz .LBB73_69
; %bb.68:                               ;   in Loop: Header=BB73_4 Depth=1
	v_div_scale_f64 v[34:35], s[34:35], v[32:33], v[32:33], v[30:31]
	v_rcp_f64_e32 v[36:37], v[34:35]
	v_div_scale_f64 v[46:47], vcc, v[30:31], v[32:33], v[30:31]
	v_fma_f64 v[48:49], -v[34:35], v[36:37], 1.0
	v_fmac_f64_e32 v[36:37], v[36:37], v[48:49]
	v_fma_f64 v[48:49], -v[34:35], v[36:37], 1.0
	v_fmac_f64_e32 v[36:37], v[36:37], v[48:49]
	v_mul_f64 v[48:49], v[46:47], v[36:37]
	v_fma_f64 v[34:35], -v[34:35], v[48:49], v[46:47]
	v_div_fmas_f64 v[34:35], v[34:35], v[36:37], v[48:49]
	v_div_fixup_f64 v[34:35], v[34:35], v[32:33], v[30:31]
	v_fma_f64 v[36:37], v[30:31], v[34:35], v[32:33]
	v_div_scale_f64 v[46:47], s[34:35], v[36:37], v[36:37], 1.0
	v_rcp_f64_e32 v[48:49], v[46:47]
	v_fma_f64 v[80:81], -v[46:47], v[48:49], 1.0
	v_fmac_f64_e32 v[48:49], v[48:49], v[80:81]
	v_fma_f64 v[80:81], -v[46:47], v[48:49], 1.0
	v_fmac_f64_e32 v[48:49], v[48:49], v[80:81]
	v_div_scale_f64 v[80:81], vcc, 1.0, v[36:37], 1.0
	v_mul_f64 v[82:83], v[80:81], v[48:49]
	v_fma_f64 v[46:47], -v[46:47], v[82:83], v[80:81]
	s_nop 1
	v_div_fmas_f64 v[46:47], v[46:47], v[48:49], v[82:83]
	v_div_fixup_f64 v[36:37], v[46:47], v[36:37], 1.0
	v_fma_f64 v[46:47], v[26:27], v[34:35], v[28:29]
	v_fma_f64 v[34:35], v[28:29], v[34:35], -v[26:27]
	v_mul_f64 v[46:47], v[46:47], v[36:37]
	v_mul_f64 v[36:37], v[34:35], v[36:37]
.LBB73_69:                              ;   in Loop: Header=BB73_4 Depth=1
	s_or_b64 exec, exec, s[14:15]
	v_mul_f64 v[34:35], s[18:19], v[36:37]
	v_mul_f64 v[36:37], s[16:17], v[36:37]
	v_fma_f64 v[34:35], s[16:17], v[46:47], -v[34:35]
	v_fmac_f64_e32 v[36:37], s[18:19], v[46:47]
	s_branch .LBB73_80
.LBB73_70:                              ;   in Loop: Header=BB73_4 Depth=1
                                        ; implicit-def: $vgpr36_vgpr37
                                        ; implicit-def: $vgpr34_vgpr35
	s_cbranch_execz .LBB73_80
; %bb.71:                               ;   in Loop: Header=BB73_4 Depth=1
                                        ; implicit-def: $vgpr36_vgpr37
                                        ; implicit-def: $vgpr34_vgpr35
	s_and_saveexec_b64 s[14:15], s[12:13]
	s_xor_b64 s[14:15], exec, s[14:15]
	s_cbranch_execz .LBB73_77
; %bb.72:                               ;   in Loop: Header=BB73_4 Depth=1
	v_cmp_neq_f64_e32 vcc, 0, v[30:31]
	v_cmp_neq_f64_e64 s[12:13], 0, v[32:33]
	s_or_b64 s[12:13], s[12:13], vcc
                                        ; implicit-def: $vgpr36_vgpr37
                                        ; implicit-def: $vgpr34_vgpr35
	s_and_saveexec_b64 s[34:35], s[12:13]
	s_xor_b64 s[12:13], exec, s[34:35]
	s_cbranch_execz .LBB73_74
; %bb.73:                               ;   in Loop: Header=BB73_4 Depth=1
	v_div_scale_f64 v[34:35], s[34:35], v[30:31], v[30:31], v[32:33]
	v_rcp_f64_e32 v[36:37], v[34:35]
	v_div_scale_f64 v[38:39], vcc, v[32:33], v[30:31], v[32:33]
	v_fma_f64 v[40:41], -v[34:35], v[36:37], 1.0
	v_fmac_f64_e32 v[36:37], v[36:37], v[40:41]
	v_fma_f64 v[40:41], -v[34:35], v[36:37], 1.0
	v_fmac_f64_e32 v[36:37], v[36:37], v[40:41]
	v_mul_f64 v[40:41], v[38:39], v[36:37]
	v_fma_f64 v[34:35], -v[34:35], v[40:41], v[38:39]
	v_div_fmas_f64 v[34:35], v[34:35], v[36:37], v[40:41]
	v_div_fixup_f64 v[36:37], v[34:35], v[30:31], v[32:33]
	v_fmac_f64_e32 v[30:31], v[32:33], v[36:37]
	v_div_scale_f64 v[32:33], s[34:35], v[30:31], v[30:31], 1.0
	v_rcp_f64_e32 v[34:35], v[32:33]
	v_fma_f64 v[38:39], -v[32:33], v[34:35], 1.0
	v_fmac_f64_e32 v[34:35], v[34:35], v[38:39]
	v_fma_f64 v[38:39], -v[32:33], v[34:35], 1.0
	v_fmac_f64_e32 v[34:35], v[34:35], v[38:39]
	v_div_scale_f64 v[38:39], vcc, 1.0, v[30:31], 1.0
	v_mul_f64 v[40:41], v[38:39], v[34:35]
	v_fma_f64 v[32:33], -v[32:33], v[40:41], v[38:39]
                                        ; implicit-def: $vgpr38_vgpr39
	s_nop 1
	v_div_fmas_f64 v[32:33], v[32:33], v[34:35], v[40:41]
	v_div_fixup_f64 v[30:31], v[32:33], v[30:31], 1.0
	v_fma_f64 v[32:33], v[28:29], v[36:37], v[26:27]
	v_fma_f64 v[26:27], -v[26:27], v[36:37], v[28:29]
	v_mul_f64 v[34:35], v[32:33], v[30:31]
	v_mul_f64 v[36:37], v[26:27], v[30:31]
                                        ; implicit-def: $vgpr40_vgpr41
                                        ; implicit-def: $vgpr26_vgpr27
.LBB73_74:                              ;   in Loop: Header=BB73_4 Depth=1
	s_andn2_saveexec_b64 s[12:13], s[12:13]
	s_cbranch_execz .LBB73_76
; %bb.75:                               ;   in Loop: Header=BB73_4 Depth=1
	v_div_scale_f64 v[30:31], s[34:35], v[40:41], v[40:41], v[26:27]
	v_rcp_f64_e32 v[32:33], v[30:31]
	v_div_scale_f64 v[46:47], s[34:35], v[38:39], v[38:39], v[28:29]
	v_div_scale_f64 v[34:35], vcc, v[26:27], v[40:41], v[26:27]
	v_fma_f64 v[36:37], -v[30:31], v[32:33], 1.0
	v_fmac_f64_e32 v[32:33], v[32:33], v[36:37]
	v_fma_f64 v[36:37], -v[30:31], v[32:33], 1.0
	v_fmac_f64_e32 v[32:33], v[32:33], v[36:37]
	v_rcp_f64_e32 v[48:49], v[46:47]
	v_mul_f64 v[36:37], v[34:35], v[32:33]
	v_fma_f64 v[30:31], -v[30:31], v[36:37], v[34:35]
	v_div_fmas_f64 v[30:31], v[30:31], v[32:33], v[36:37]
	v_div_fixup_f64 v[34:35], v[30:31], v[40:41], v[26:27]
	v_fma_f64 v[26:27], -v[46:47], v[48:49], 1.0
	v_fmac_f64_e32 v[48:49], v[48:49], v[26:27]
	v_fma_f64 v[26:27], -v[46:47], v[48:49], 1.0
	v_fmac_f64_e32 v[48:49], v[48:49], v[26:27]
	v_div_scale_f64 v[26:27], vcc, v[28:29], v[38:39], v[28:29]
	v_mul_f64 v[30:31], v[26:27], v[48:49]
	v_fma_f64 v[26:27], -v[46:47], v[30:31], v[26:27]
	s_nop 1
	v_div_fmas_f64 v[26:27], v[26:27], v[48:49], v[30:31]
	v_div_fixup_f64 v[36:37], v[26:27], v[38:39], v[28:29]
.LBB73_76:                              ;   in Loop: Header=BB73_4 Depth=1
	s_or_b64 exec, exec, s[12:13]
                                        ; implicit-def: $vgpr32_vgpr33
                                        ; implicit-def: $vgpr26_vgpr27
.LBB73_77:                              ;   in Loop: Header=BB73_4 Depth=1
	s_andn2_saveexec_b64 s[12:13], s[14:15]
	s_cbranch_execz .LBB73_79
; %bb.78:                               ;   in Loop: Header=BB73_4 Depth=1
	v_div_scale_f64 v[34:35], s[14:15], v[32:33], v[32:33], v[30:31]
	v_rcp_f64_e32 v[36:37], v[34:35]
	v_div_scale_f64 v[38:39], vcc, v[30:31], v[32:33], v[30:31]
	v_fma_f64 v[40:41], -v[34:35], v[36:37], 1.0
	v_fmac_f64_e32 v[36:37], v[36:37], v[40:41]
	v_fma_f64 v[40:41], -v[34:35], v[36:37], 1.0
	v_fmac_f64_e32 v[36:37], v[36:37], v[40:41]
	v_mul_f64 v[40:41], v[38:39], v[36:37]
	v_fma_f64 v[34:35], -v[34:35], v[40:41], v[38:39]
	v_div_fmas_f64 v[34:35], v[34:35], v[36:37], v[40:41]
	v_div_fixup_f64 v[36:37], v[34:35], v[32:33], v[30:31]
	v_fmac_f64_e32 v[32:33], v[30:31], v[36:37]
	v_div_scale_f64 v[30:31], s[14:15], v[32:33], v[32:33], 1.0
	v_rcp_f64_e32 v[34:35], v[30:31]
	v_fma_f64 v[38:39], -v[30:31], v[34:35], 1.0
	v_fmac_f64_e32 v[34:35], v[34:35], v[38:39]
	v_fma_f64 v[38:39], -v[30:31], v[34:35], 1.0
	v_fmac_f64_e32 v[34:35], v[34:35], v[38:39]
	v_div_scale_f64 v[38:39], vcc, 1.0, v[32:33], 1.0
	v_mul_f64 v[40:41], v[38:39], v[34:35]
	v_fma_f64 v[30:31], -v[30:31], v[40:41], v[38:39]
	s_nop 1
	v_div_fmas_f64 v[30:31], v[30:31], v[34:35], v[40:41]
	v_div_fixup_f64 v[30:31], v[30:31], v[32:33], 1.0
	v_fma_f64 v[32:33], v[26:27], v[36:37], v[28:29]
	v_fma_f64 v[26:27], v[28:29], v[36:37], -v[26:27]
	v_mul_f64 v[34:35], v[32:33], v[30:31]
	v_mul_f64 v[36:37], v[26:27], v[30:31]
.LBB73_79:                              ;   in Loop: Header=BB73_4 Depth=1
	s_or_b64 exec, exec, s[12:13]
.LBB73_80:                              ;   in Loop: Header=BB73_4 Depth=1
	v_xor_b32_e32 v1, 0x80000000, v23
	v_cmp_gt_f64_e32 vcc, 0, v[22:23]
	v_cndmask_b32_e32 v29, v23, v1, vcc
	v_cndmask_b32_e32 v28, v22, v22, vcc
	v_xor_b32_e32 v1, 0x80000000, v25
	v_cmp_gt_f64_e32 vcc, 0, v[24:25]
	v_cndmask_b32_e32 v27, v25, v1, vcc
	v_cndmask_b32_e32 v26, v24, v24, vcc
	s_and_b64 vcc, exec, s[10:11]
	v_cmp_ge_f64_e64 s[10:11], v[28:29], v[26:27]
	s_cbranch_vccnz .LBB73_90
; %bb.81:                               ;   in Loop: Header=BB73_4 Depth=1
                                        ; implicit-def: $vgpr32_vgpr33
                                        ; implicit-def: $vgpr38_vgpr39
	s_and_saveexec_b64 s[12:13], s[10:11]
	s_xor_b64 s[14:15], exec, s[12:13]
	s_cbranch_execz .LBB73_87
; %bb.82:                               ;   in Loop: Header=BB73_4 Depth=1
	v_cmp_neq_f64_e32 vcc, 0, v[22:23]
	v_cmp_neq_f64_e64 s[12:13], 0, v[24:25]
	s_or_b64 s[12:13], s[12:13], vcc
                                        ; implicit-def: $vgpr32_vgpr33
                                        ; implicit-def: $vgpr38_vgpr39
	s_and_saveexec_b64 s[34:35], s[12:13]
	s_xor_b64 s[12:13], exec, s[34:35]
	s_cbranch_execz .LBB73_84
; %bb.83:                               ;   in Loop: Header=BB73_4 Depth=1
	v_div_scale_f64 v[30:31], s[34:35], v[22:23], v[22:23], v[24:25]
	v_rcp_f64_e32 v[32:33], v[30:31]
	v_div_scale_f64 v[38:39], vcc, v[24:25], v[22:23], v[24:25]
	v_fma_f64 v[40:41], -v[30:31], v[32:33], 1.0
	v_fmac_f64_e32 v[32:33], v[32:33], v[40:41]
	v_fma_f64 v[40:41], -v[30:31], v[32:33], 1.0
	v_fmac_f64_e32 v[32:33], v[32:33], v[40:41]
	v_mul_f64 v[40:41], v[38:39], v[32:33]
	v_fma_f64 v[30:31], -v[30:31], v[40:41], v[38:39]
	v_div_fmas_f64 v[30:31], v[30:31], v[32:33], v[40:41]
	v_div_fixup_f64 v[30:31], v[30:31], v[22:23], v[24:25]
	v_fma_f64 v[32:33], v[24:25], v[30:31], v[22:23]
	v_div_scale_f64 v[38:39], s[34:35], v[32:33], v[32:33], 1.0
	v_rcp_f64_e32 v[40:41], v[38:39]
	v_fma_f64 v[46:47], -v[38:39], v[40:41], 1.0
	v_fmac_f64_e32 v[40:41], v[40:41], v[46:47]
	v_fma_f64 v[46:47], -v[38:39], v[40:41], 1.0
	v_fmac_f64_e32 v[40:41], v[40:41], v[46:47]
	v_div_scale_f64 v[46:47], vcc, 1.0, v[32:33], 1.0
	v_mul_f64 v[48:49], v[46:47], v[40:41]
	v_fma_f64 v[38:39], -v[38:39], v[48:49], v[46:47]
	s_nop 1
	v_div_fmas_f64 v[38:39], v[38:39], v[40:41], v[48:49]
	v_div_fixup_f64 v[32:33], v[38:39], v[32:33], 1.0
	v_fma_f64 v[38:39], v[20:21], v[30:31], v[18:19]
	v_fma_f64 v[30:31], -v[18:19], v[30:31], v[20:21]
	v_mul_f64 v[38:39], v[38:39], v[32:33]
	v_mul_f64 v[32:33], v[30:31], v[32:33]
.LBB73_84:                              ;   in Loop: Header=BB73_4 Depth=1
	s_andn2_saveexec_b64 s[12:13], s[12:13]
	s_cbranch_execz .LBB73_86
; %bb.85:                               ;   in Loop: Header=BB73_4 Depth=1
	v_div_scale_f64 v[30:31], s[34:35], v[28:29], v[28:29], v[18:19]
	v_rcp_f64_e32 v[32:33], v[30:31]
	v_div_scale_f64 v[46:47], s[34:35], v[26:27], v[26:27], v[20:21]
	v_div_scale_f64 v[38:39], vcc, v[18:19], v[28:29], v[18:19]
	v_fma_f64 v[40:41], -v[30:31], v[32:33], 1.0
	v_fmac_f64_e32 v[32:33], v[32:33], v[40:41]
	v_fma_f64 v[40:41], -v[30:31], v[32:33], 1.0
	v_fmac_f64_e32 v[32:33], v[32:33], v[40:41]
	v_rcp_f64_e32 v[48:49], v[46:47]
	v_mul_f64 v[40:41], v[38:39], v[32:33]
	v_fma_f64 v[30:31], -v[30:31], v[40:41], v[38:39]
	v_div_fmas_f64 v[30:31], v[30:31], v[32:33], v[40:41]
	v_div_fixup_f64 v[38:39], v[30:31], v[28:29], v[18:19]
	v_fma_f64 v[30:31], -v[46:47], v[48:49], 1.0
	v_fmac_f64_e32 v[48:49], v[48:49], v[30:31]
	v_fma_f64 v[30:31], -v[46:47], v[48:49], 1.0
	v_fmac_f64_e32 v[48:49], v[48:49], v[30:31]
	v_div_scale_f64 v[30:31], vcc, v[20:21], v[26:27], v[20:21]
	v_mul_f64 v[32:33], v[30:31], v[48:49]
	v_fma_f64 v[30:31], -v[46:47], v[32:33], v[30:31]
	s_nop 1
	v_div_fmas_f64 v[30:31], v[30:31], v[48:49], v[32:33]
	v_div_fixup_f64 v[32:33], v[30:31], v[26:27], v[20:21]
.LBB73_86:                              ;   in Loop: Header=BB73_4 Depth=1
	s_or_b64 exec, exec, s[12:13]
.LBB73_87:                              ;   in Loop: Header=BB73_4 Depth=1
	s_andn2_saveexec_b64 s[12:13], s[14:15]
	s_cbranch_execz .LBB73_89
; %bb.88:                               ;   in Loop: Header=BB73_4 Depth=1
	v_div_scale_f64 v[30:31], s[14:15], v[24:25], v[24:25], v[22:23]
	v_rcp_f64_e32 v[32:33], v[30:31]
	v_div_scale_f64 v[38:39], vcc, v[22:23], v[24:25], v[22:23]
	v_fma_f64 v[40:41], -v[30:31], v[32:33], 1.0
	v_fmac_f64_e32 v[32:33], v[32:33], v[40:41]
	v_fma_f64 v[40:41], -v[30:31], v[32:33], 1.0
	v_fmac_f64_e32 v[32:33], v[32:33], v[40:41]
	v_mul_f64 v[40:41], v[38:39], v[32:33]
	v_fma_f64 v[30:31], -v[30:31], v[40:41], v[38:39]
	v_div_fmas_f64 v[30:31], v[30:31], v[32:33], v[40:41]
	v_div_fixup_f64 v[30:31], v[30:31], v[24:25], v[22:23]
	v_fma_f64 v[32:33], v[22:23], v[30:31], v[24:25]
	v_div_scale_f64 v[38:39], s[14:15], v[32:33], v[32:33], 1.0
	v_rcp_f64_e32 v[40:41], v[38:39]
	v_fma_f64 v[46:47], -v[38:39], v[40:41], 1.0
	v_fmac_f64_e32 v[40:41], v[40:41], v[46:47]
	v_fma_f64 v[46:47], -v[38:39], v[40:41], 1.0
	v_fmac_f64_e32 v[40:41], v[40:41], v[46:47]
	v_div_scale_f64 v[46:47], vcc, 1.0, v[32:33], 1.0
	v_mul_f64 v[48:49], v[46:47], v[40:41]
	v_fma_f64 v[38:39], -v[38:39], v[48:49], v[46:47]
	s_nop 1
	v_div_fmas_f64 v[38:39], v[38:39], v[40:41], v[48:49]
	v_div_fixup_f64 v[32:33], v[38:39], v[32:33], 1.0
	v_fma_f64 v[38:39], v[18:19], v[30:31], v[20:21]
	v_fma_f64 v[30:31], v[20:21], v[30:31], -v[18:19]
	v_mul_f64 v[38:39], v[38:39], v[32:33]
	v_mul_f64 v[32:33], v[30:31], v[32:33]
.LBB73_89:                              ;   in Loop: Header=BB73_4 Depth=1
	s_or_b64 exec, exec, s[12:13]
	v_mul_f64 v[30:31], s[18:19], v[32:33]
	v_mul_f64 v[32:33], s[16:17], v[32:33]
	v_fma_f64 v[30:31], s[16:17], v[38:39], -v[30:31]
	v_fmac_f64_e32 v[32:33], s[18:19], v[38:39]
	s_branch .LBB73_100
.LBB73_90:                              ;   in Loop: Header=BB73_4 Depth=1
                                        ; implicit-def: $vgpr32_vgpr33
                                        ; implicit-def: $vgpr30_vgpr31
	s_cbranch_execz .LBB73_100
; %bb.91:                               ;   in Loop: Header=BB73_4 Depth=1
                                        ; implicit-def: $vgpr32_vgpr33
                                        ; implicit-def: $vgpr30_vgpr31
	s_and_saveexec_b64 s[12:13], s[10:11]
	s_xor_b64 s[12:13], exec, s[12:13]
	s_cbranch_execz .LBB73_97
; %bb.92:                               ;   in Loop: Header=BB73_4 Depth=1
	v_cmp_neq_f64_e32 vcc, 0, v[22:23]
	v_cmp_neq_f64_e64 s[10:11], 0, v[24:25]
	s_or_b64 s[10:11], s[10:11], vcc
                                        ; implicit-def: $vgpr32_vgpr33
                                        ; implicit-def: $vgpr30_vgpr31
	s_and_saveexec_b64 s[14:15], s[10:11]
	s_xor_b64 s[10:11], exec, s[14:15]
	s_cbranch_execz .LBB73_94
; %bb.93:                               ;   in Loop: Header=BB73_4 Depth=1
	v_div_scale_f64 v[26:27], s[14:15], v[22:23], v[22:23], v[24:25]
	v_rcp_f64_e32 v[28:29], v[26:27]
	v_div_scale_f64 v[30:31], vcc, v[24:25], v[22:23], v[24:25]
	v_fma_f64 v[32:33], -v[26:27], v[28:29], 1.0
	v_fmac_f64_e32 v[28:29], v[28:29], v[32:33]
	v_fma_f64 v[32:33], -v[26:27], v[28:29], 1.0
	v_fmac_f64_e32 v[28:29], v[28:29], v[32:33]
	v_mul_f64 v[32:33], v[30:31], v[28:29]
	v_fma_f64 v[26:27], -v[26:27], v[32:33], v[30:31]
	v_div_fmas_f64 v[26:27], v[26:27], v[28:29], v[32:33]
	v_div_fixup_f64 v[26:27], v[26:27], v[22:23], v[24:25]
	v_fmac_f64_e32 v[22:23], v[24:25], v[26:27]
	v_div_scale_f64 v[24:25], s[14:15], v[22:23], v[22:23], 1.0
	v_rcp_f64_e32 v[28:29], v[24:25]
	v_fma_f64 v[30:31], -v[24:25], v[28:29], 1.0
	v_fmac_f64_e32 v[28:29], v[28:29], v[30:31]
	v_fma_f64 v[30:31], -v[24:25], v[28:29], 1.0
	v_fmac_f64_e32 v[28:29], v[28:29], v[30:31]
	v_div_scale_f64 v[30:31], vcc, 1.0, v[22:23], 1.0
	v_mul_f64 v[32:33], v[30:31], v[28:29]
	v_fma_f64 v[24:25], -v[24:25], v[32:33], v[30:31]
	s_nop 1
	v_div_fmas_f64 v[24:25], v[24:25], v[28:29], v[32:33]
	v_div_fixup_f64 v[22:23], v[24:25], v[22:23], 1.0
	v_fma_f64 v[24:25], v[20:21], v[26:27], v[18:19]
	v_fma_f64 v[18:19], -v[18:19], v[26:27], v[20:21]
	v_mul_f64 v[30:31], v[24:25], v[22:23]
	v_mul_f64 v[32:33], v[18:19], v[22:23]
                                        ; implicit-def: $vgpr28_vgpr29
                                        ; implicit-def: $vgpr18_vgpr19
                                        ; implicit-def: $vgpr26_vgpr27
.LBB73_94:                              ;   in Loop: Header=BB73_4 Depth=1
	s_andn2_saveexec_b64 s[10:11], s[10:11]
	s_cbranch_execz .LBB73_96
; %bb.95:                               ;   in Loop: Header=BB73_4 Depth=1
	v_div_scale_f64 v[22:23], s[14:15], v[28:29], v[28:29], v[18:19]
	v_rcp_f64_e32 v[24:25], v[22:23]
	v_div_scale_f64 v[38:39], s[14:15], v[26:27], v[26:27], v[20:21]
	v_div_scale_f64 v[30:31], vcc, v[18:19], v[28:29], v[18:19]
	v_fma_f64 v[32:33], -v[22:23], v[24:25], 1.0
	v_fmac_f64_e32 v[24:25], v[24:25], v[32:33]
	v_fma_f64 v[32:33], -v[22:23], v[24:25], 1.0
	v_fmac_f64_e32 v[24:25], v[24:25], v[32:33]
	v_rcp_f64_e32 v[40:41], v[38:39]
	v_mul_f64 v[32:33], v[30:31], v[24:25]
	v_fma_f64 v[22:23], -v[22:23], v[32:33], v[30:31]
	v_div_fmas_f64 v[22:23], v[22:23], v[24:25], v[32:33]
	v_div_fixup_f64 v[30:31], v[22:23], v[28:29], v[18:19]
	v_fma_f64 v[18:19], -v[38:39], v[40:41], 1.0
	v_fmac_f64_e32 v[40:41], v[40:41], v[18:19]
	v_fma_f64 v[18:19], -v[38:39], v[40:41], 1.0
	v_fmac_f64_e32 v[40:41], v[40:41], v[18:19]
	v_div_scale_f64 v[18:19], vcc, v[20:21], v[26:27], v[20:21]
	v_mul_f64 v[22:23], v[18:19], v[40:41]
	v_fma_f64 v[18:19], -v[38:39], v[22:23], v[18:19]
	s_nop 1
	v_div_fmas_f64 v[18:19], v[18:19], v[40:41], v[22:23]
	v_div_fixup_f64 v[32:33], v[18:19], v[26:27], v[20:21]
.LBB73_96:                              ;   in Loop: Header=BB73_4 Depth=1
	s_or_b64 exec, exec, s[10:11]
                                        ; implicit-def: $vgpr24_vgpr25
                                        ; implicit-def: $vgpr18_vgpr19
.LBB73_97:                              ;   in Loop: Header=BB73_4 Depth=1
	s_andn2_saveexec_b64 s[10:11], s[12:13]
	s_cbranch_execz .LBB73_99
; %bb.98:                               ;   in Loop: Header=BB73_4 Depth=1
	v_div_scale_f64 v[26:27], s[12:13], v[24:25], v[24:25], v[22:23]
	v_rcp_f64_e32 v[28:29], v[26:27]
	v_div_scale_f64 v[30:31], vcc, v[22:23], v[24:25], v[22:23]
	v_fma_f64 v[32:33], -v[26:27], v[28:29], 1.0
	v_fmac_f64_e32 v[28:29], v[28:29], v[32:33]
	v_fma_f64 v[32:33], -v[26:27], v[28:29], 1.0
	v_fmac_f64_e32 v[28:29], v[28:29], v[32:33]
	v_mul_f64 v[32:33], v[30:31], v[28:29]
	v_fma_f64 v[26:27], -v[26:27], v[32:33], v[30:31]
	v_div_fmas_f64 v[26:27], v[26:27], v[28:29], v[32:33]
	v_div_fixup_f64 v[26:27], v[26:27], v[24:25], v[22:23]
	v_fmac_f64_e32 v[24:25], v[22:23], v[26:27]
	v_div_scale_f64 v[22:23], s[12:13], v[24:25], v[24:25], 1.0
	v_rcp_f64_e32 v[28:29], v[22:23]
	v_fma_f64 v[30:31], -v[22:23], v[28:29], 1.0
	v_fmac_f64_e32 v[28:29], v[28:29], v[30:31]
	v_fma_f64 v[30:31], -v[22:23], v[28:29], 1.0
	v_fmac_f64_e32 v[28:29], v[28:29], v[30:31]
	v_div_scale_f64 v[30:31], vcc, 1.0, v[24:25], 1.0
	v_mul_f64 v[32:33], v[30:31], v[28:29]
	v_fma_f64 v[22:23], -v[22:23], v[32:33], v[30:31]
	s_nop 1
	v_div_fmas_f64 v[22:23], v[22:23], v[28:29], v[32:33]
	v_div_fixup_f64 v[22:23], v[22:23], v[24:25], 1.0
	v_fma_f64 v[24:25], v[18:19], v[26:27], v[20:21]
	v_fma_f64 v[18:19], v[20:21], v[26:27], -v[18:19]
	v_mul_f64 v[30:31], v[24:25], v[22:23]
	v_mul_f64 v[32:33], v[18:19], v[22:23]
.LBB73_99:                              ;   in Loop: Header=BB73_4 Depth=1
	s_or_b64 exec, exec, s[10:11]
.LBB73_100:                             ;   in Loop: Header=BB73_4 Depth=1
	s_and_saveexec_b64 s[10:11], s[0:1]
	s_xor_b64 s[0:1], exec, s[10:11]
	s_cbranch_execnz .LBB73_104
; %bb.101:                              ;   in Loop: Header=BB73_4 Depth=1
	s_or_b64 exec, exec, s[0:1]
	s_and_saveexec_b64 s[0:1], s[2:3]
	s_cbranch_execnz .LBB73_105
.LBB73_102:                             ;   in Loop: Header=BB73_4 Depth=1
	s_or_b64 exec, exec, s[0:1]
	s_and_saveexec_b64 s[0:1], s[6:7]
	s_cbranch_execnz .LBB73_106
.LBB73_103:                             ;   in Loop: Header=BB73_4 Depth=1
	s_or_b64 exec, exec, s[0:1]
	s_and_saveexec_b64 s[0:1], s[8:9]
	s_cbranch_execz .LBB73_3
	s_branch .LBB73_107
.LBB73_104:                             ;   in Loop: Header=BB73_4 Depth=1
	v_mov_b32_e32 v1, s23
	v_add_co_u32_e32 v18, vcc, s22, v52
	v_add_f64 v[4:5], v[4:5], v[78:79]
	v_add_f64 v[2:3], v[2:3], v[76:77]
	v_addc_co_u32_e32 v19, vcc, v53, v1, vcc
	global_store_dwordx4 v[18:19], v[2:5], off offset:-8
	s_or_b64 exec, exec, s[0:1]
	s_and_saveexec_b64 s[0:1], s[2:3]
	s_cbranch_execz .LBB73_102
.LBB73_105:                             ;   in Loop: Header=BB73_4 Depth=1
	v_add_f64 v[2:3], v[6:7], v[42:43]
	v_mov_b32_e32 v1, s23
	v_add_co_u32_e32 v6, vcc, s22, v58
	v_add_f64 v[4:5], v[8:9], v[44:45]
	v_addc_co_u32_e32 v7, vcc, v59, v1, vcc
	global_store_dwordx4 v[6:7], v[2:5], off
	s_or_b64 exec, exec, s[0:1]
	s_and_saveexec_b64 s[0:1], s[6:7]
	s_cbranch_execz .LBB73_103
.LBB73_106:                             ;   in Loop: Header=BB73_4 Depth=1
	v_mov_b32_e32 v1, s23
	v_add_co_u32_e32 v6, vcc, s22, v72
	v_add_f64 v[4:5], v[12:13], v[36:37]
	v_add_f64 v[2:3], v[10:11], v[34:35]
	v_addc_co_u32_e32 v7, vcc, v73, v1, vcc
	global_store_dwordx4 v[6:7], v[2:5], off offset:-8
	s_or_b64 exec, exec, s[0:1]
	s_and_saveexec_b64 s[0:1], s[8:9]
	s_cbranch_execz .LBB73_3
.LBB73_107:                             ;   in Loop: Header=BB73_4 Depth=1
	v_mov_b32_e32 v1, s23
	v_add_co_u32_e32 v6, vcc, s22, v64
	v_add_f64 v[4:5], v[16:17], v[32:33]
	v_add_f64 v[2:3], v[14:15], v[30:31]
	v_addc_co_u32_e32 v7, vcc, v65, v1, vcc
	global_store_dwordx4 v[6:7], v[2:5], off offset:-8
	s_branch .LBB73_3
.LBB73_108:
	s_mov_b64 s[8:9], 0
.LBB73_109:
	s_andn2_b64 vcc, exec, s[8:9]
	s_cbranch_vccnz .LBB73_193
; %bb.110:
	v_mov_b32_e32 v49, 0
	v_lshlrev_b32_e32 v48, 2, v0
	s_mov_b32 s14, 0
	v_cmp_gt_i64_e32 vcc, s[20:21], v[48:49]
	s_and_saveexec_b64 s[0:1], vcc
	s_cbranch_execz .LBB73_193
; %bb.111:
	s_load_dword s4, s[4:5], 0xc6c
	v_cmp_neq_f64_e64 s[0:1], s[16:17], 1.0
	v_cmp_neq_f64_e64 s[2:3], s[18:19], 0
	s_or_b64 s[8:9], s[0:1], s[2:3]
	s_mov_b64 s[6:7], 0
	s_waitcnt lgkmcnt(0)
	s_and_b32 s0, s4, 0xffff
	v_add_lshl_u32 v48, v0, s0, 2
	s_lshl_b32 s15, s0, 2
	v_lshlrev_b32_e32 v50, 6, v0
	s_lshl_b32 s22, s0, 6
	s_mov_b64 s[10:11], 0xffff
	s_branch .LBB73_114
.LBB73_112:                             ;   in Loop: Header=BB73_114 Depth=1
	s_or_b64 exec, exec, s[0:1]
.LBB73_113:                             ;   in Loop: Header=BB73_114 Depth=1
	v_cmp_le_i64_e32 vcc, s[20:21], v[48:49]
	v_cmp_lt_u64_e64 s[0:1], s[10:11], v[48:49]
	s_or_b64 s[0:1], vcc, s[0:1]
	s_add_u32 s33, s33, s22
	s_addc_u32 s36, s36, 0
	s_add_u32 s39, s39, s22
	s_addc_u32 s40, s40, 0
	s_add_u32 s37, s37, s22
	v_add_f64 v[6:7], v[6:7], v[56:57]
	v_add_f64 v[4:5], v[4:5], v[54:55]
	;; [unrolled: 1-line block ×3, first 2 shown]
	s_addc_u32 s38, s38, 0
	v_add_f64 v[14:15], v[14:15], v[34:35]
	v_add_f64 v[12:13], v[12:13], v[32:33]
	v_add_f64 v[10:11], v[10:11], v[42:43]
	v_add_f64 v[8:9], v[8:9], v[40:41]
	v_add_f64 v[2:3], v[2:3], v[30:31]
	global_store_dwordx4 v[52:53], v[4:7], off
	global_store_dwordx4 v[52:53], v[8:11], off offset:16
	global_store_dwordx4 v[52:53], v[12:15], off offset:32
	;; [unrolled: 1-line block ×3, first 2 shown]
	s_and_b64 s[0:1], exec, s[0:1]
	v_mov_b32_e32 v0, s14
	v_add_co_u32_e32 v48, vcc, s15, v48
	s_or_b64 s[6:7], s[0:1], s[6:7]
	v_addc_co_u32_e32 v49, vcc, v49, v0, vcc
	s_andn2_b64 exec, exec, s[6:7]
	s_cbranch_execz .LBB73_193
.LBB73_114:                             ; =>This Inner Loop Header: Depth=1
	v_mov_b32_e32 v0, s36
	v_add_co_u32_e32 v52, vcc, s33, v50
	v_addc_co_u32_e32 v53, vcc, 0, v0, vcc
	v_mov_b32_e32 v16, s40
	v_add_co_u32_e32 v54, vcc, s39, v50
	v_addc_co_u32_e32 v55, vcc, 0, v16, vcc
	;; [unrolled: 3-line block ×3, first 2 shown]
	global_load_dwordx4 v[0:3], v[52:53], off offset:48
	global_load_dwordx4 v[12:15], v[52:53], off offset:32
	;; [unrolled: 1-line block ×3, first 2 shown]
	global_load_dwordx4 v[4:7], v[52:53], off
	global_load_dwordx4 v[36:39], v[54:55], off offset:16
	global_load_dwordx4 v[44:47], v[54:55], off
	global_load_dwordx4 v[16:19], v[56:57], off offset:48
	global_load_dwordx4 v[24:27], v[56:57], off offset:32
	;; [unrolled: 1-line block ×3, first 2 shown]
	global_load_dwordx4 v[40:43], v[56:57], off
	global_load_dwordx4 v[20:23], v[54:55], off offset:48
	global_load_dwordx4 v[28:31], v[54:55], off offset:32
	s_and_b64 vcc, exec, s[8:9]
	s_waitcnt vmcnt(6)
	v_xor_b32_e32 v51, 0x80000000, v45
	v_cmp_gt_f64_e64 s[0:1], 0, v[44:45]
	v_xor_b32_e32 v54, 0x80000000, v47
	v_cndmask_b32_e64 v61, v45, v51, s[0:1]
	v_cmp_gt_f64_e64 s[0:1], 0, v[46:47]
	v_mov_b32_e32 v60, v44
	v_mov_b32_e32 v58, v46
	v_cndmask_b32_e64 v59, v47, v54, s[0:1]
	v_cmp_ge_f64_e64 s[0:1], v[60:61], v[58:59]
	s_cbranch_vccz .LBB73_124
; %bb.115:                              ;   in Loop: Header=BB73_114 Depth=1
                                        ; implicit-def: $vgpr56_vgpr57
                                        ; implicit-def: $vgpr62_vgpr63
	s_and_saveexec_b64 s[2:3], s[0:1]
	s_xor_b64 s[4:5], exec, s[2:3]
	s_cbranch_execz .LBB73_121
; %bb.116:                              ;   in Loop: Header=BB73_114 Depth=1
	v_cmp_neq_f64_e32 vcc, 0, v[44:45]
	v_cmp_neq_f64_e64 s[2:3], 0, v[46:47]
	s_or_b64 s[2:3], vcc, s[2:3]
                                        ; implicit-def: $vgpr56_vgpr57
                                        ; implicit-def: $vgpr62_vgpr63
	s_and_saveexec_b64 s[12:13], s[2:3]
	s_xor_b64 s[2:3], exec, s[12:13]
	s_cbranch_execz .LBB73_118
; %bb.117:                              ;   in Loop: Header=BB73_114 Depth=1
	v_div_scale_f64 v[54:55], s[12:13], v[44:45], v[44:45], v[46:47]
	v_rcp_f64_e32 v[56:57], v[54:55]
	v_div_scale_f64 v[62:63], vcc, v[46:47], v[44:45], v[46:47]
	v_fma_f64 v[64:65], -v[54:55], v[56:57], 1.0
	v_fmac_f64_e32 v[56:57], v[56:57], v[64:65]
	v_fma_f64 v[64:65], -v[54:55], v[56:57], 1.0
	v_fmac_f64_e32 v[56:57], v[56:57], v[64:65]
	v_mul_f64 v[64:65], v[62:63], v[56:57]
	v_fma_f64 v[54:55], -v[54:55], v[64:65], v[62:63]
	v_div_fmas_f64 v[54:55], v[54:55], v[56:57], v[64:65]
	v_div_fixup_f64 v[54:55], v[54:55], v[44:45], v[46:47]
	v_fma_f64 v[56:57], v[46:47], v[54:55], v[44:45]
	v_div_scale_f64 v[62:63], s[12:13], v[56:57], v[56:57], 1.0
	v_rcp_f64_e32 v[64:65], v[62:63]
	v_fma_f64 v[66:67], -v[62:63], v[64:65], 1.0
	v_fmac_f64_e32 v[64:65], v[64:65], v[66:67]
	v_fma_f64 v[66:67], -v[62:63], v[64:65], 1.0
	v_fmac_f64_e32 v[64:65], v[64:65], v[66:67]
	v_div_scale_f64 v[66:67], vcc, 1.0, v[56:57], 1.0
	v_mul_f64 v[68:69], v[66:67], v[64:65]
	v_fma_f64 v[62:63], -v[62:63], v[68:69], v[66:67]
	s_nop 1
	v_div_fmas_f64 v[62:63], v[62:63], v[64:65], v[68:69]
	v_div_fixup_f64 v[56:57], v[62:63], v[56:57], 1.0
	s_waitcnt vmcnt(2)
	v_fma_f64 v[62:63], v[42:43], v[54:55], v[40:41]
	v_fma_f64 v[54:55], -v[40:41], v[54:55], v[42:43]
	v_mul_f64 v[62:63], v[62:63], v[56:57]
	v_mul_f64 v[56:57], v[54:55], v[56:57]
.LBB73_118:                             ;   in Loop: Header=BB73_114 Depth=1
	s_andn2_saveexec_b64 s[2:3], s[2:3]
	s_cbranch_execz .LBB73_120
; %bb.119:                              ;   in Loop: Header=BB73_114 Depth=1
	s_waitcnt vmcnt(2)
	v_div_scale_f64 v[54:55], s[12:13], v[60:61], v[60:61], v[40:41]
	v_rcp_f64_e32 v[56:57], v[54:55]
	v_div_scale_f64 v[66:67], s[12:13], v[58:59], v[58:59], v[42:43]
	v_div_scale_f64 v[62:63], vcc, v[40:41], v[60:61], v[40:41]
	v_fma_f64 v[64:65], -v[54:55], v[56:57], 1.0
	v_fmac_f64_e32 v[56:57], v[56:57], v[64:65]
	v_fma_f64 v[64:65], -v[54:55], v[56:57], 1.0
	v_fmac_f64_e32 v[56:57], v[56:57], v[64:65]
	v_rcp_f64_e32 v[68:69], v[66:67]
	v_mul_f64 v[64:65], v[62:63], v[56:57]
	v_fma_f64 v[54:55], -v[54:55], v[64:65], v[62:63]
	v_div_fmas_f64 v[54:55], v[54:55], v[56:57], v[64:65]
	v_div_fixup_f64 v[62:63], v[54:55], v[60:61], v[40:41]
	v_fma_f64 v[54:55], -v[66:67], v[68:69], 1.0
	v_fmac_f64_e32 v[68:69], v[68:69], v[54:55]
	v_fma_f64 v[54:55], -v[66:67], v[68:69], 1.0
	v_fmac_f64_e32 v[68:69], v[68:69], v[54:55]
	v_div_scale_f64 v[54:55], vcc, v[42:43], v[58:59], v[42:43]
	v_mul_f64 v[56:57], v[54:55], v[68:69]
	v_fma_f64 v[54:55], -v[66:67], v[56:57], v[54:55]
	s_nop 1
	v_div_fmas_f64 v[54:55], v[54:55], v[68:69], v[56:57]
	v_div_fixup_f64 v[56:57], v[54:55], v[58:59], v[42:43]
.LBB73_120:                             ;   in Loop: Header=BB73_114 Depth=1
	s_or_b64 exec, exec, s[2:3]
.LBB73_121:                             ;   in Loop: Header=BB73_114 Depth=1
	s_andn2_saveexec_b64 s[2:3], s[4:5]
	s_cbranch_execz .LBB73_123
; %bb.122:                              ;   in Loop: Header=BB73_114 Depth=1
	v_div_scale_f64 v[54:55], s[4:5], v[46:47], v[46:47], v[44:45]
	v_rcp_f64_e32 v[56:57], v[54:55]
	v_div_scale_f64 v[62:63], vcc, v[44:45], v[46:47], v[44:45]
	v_fma_f64 v[64:65], -v[54:55], v[56:57], 1.0
	v_fmac_f64_e32 v[56:57], v[56:57], v[64:65]
	v_fma_f64 v[64:65], -v[54:55], v[56:57], 1.0
	v_fmac_f64_e32 v[56:57], v[56:57], v[64:65]
	v_mul_f64 v[64:65], v[62:63], v[56:57]
	v_fma_f64 v[54:55], -v[54:55], v[64:65], v[62:63]
	v_div_fmas_f64 v[54:55], v[54:55], v[56:57], v[64:65]
	v_div_fixup_f64 v[54:55], v[54:55], v[46:47], v[44:45]
	v_fma_f64 v[56:57], v[44:45], v[54:55], v[46:47]
	v_div_scale_f64 v[62:63], s[4:5], v[56:57], v[56:57], 1.0
	v_rcp_f64_e32 v[64:65], v[62:63]
	v_fma_f64 v[66:67], -v[62:63], v[64:65], 1.0
	v_fmac_f64_e32 v[64:65], v[64:65], v[66:67]
	v_fma_f64 v[66:67], -v[62:63], v[64:65], 1.0
	v_fmac_f64_e32 v[64:65], v[64:65], v[66:67]
	v_div_scale_f64 v[66:67], vcc, 1.0, v[56:57], 1.0
	v_mul_f64 v[68:69], v[66:67], v[64:65]
	v_fma_f64 v[62:63], -v[62:63], v[68:69], v[66:67]
	s_nop 1
	v_div_fmas_f64 v[62:63], v[62:63], v[64:65], v[68:69]
	v_div_fixup_f64 v[56:57], v[62:63], v[56:57], 1.0
	s_waitcnt vmcnt(2)
	v_fma_f64 v[62:63], v[40:41], v[54:55], v[42:43]
	v_fma_f64 v[54:55], v[42:43], v[54:55], -v[40:41]
	v_mul_f64 v[62:63], v[62:63], v[56:57]
	v_mul_f64 v[56:57], v[54:55], v[56:57]
.LBB73_123:                             ;   in Loop: Header=BB73_114 Depth=1
	s_or_b64 exec, exec, s[2:3]
	v_mul_f64 v[54:55], s[18:19], v[56:57]
	v_mul_f64 v[56:57], s[16:17], v[56:57]
	v_fma_f64 v[54:55], s[16:17], v[62:63], -v[54:55]
	v_fmac_f64_e32 v[56:57], s[18:19], v[62:63]
	s_branch .LBB73_134
.LBB73_124:                             ;   in Loop: Header=BB73_114 Depth=1
                                        ; implicit-def: $vgpr56_vgpr57
                                        ; implicit-def: $vgpr54_vgpr55
	s_cbranch_execz .LBB73_134
; %bb.125:                              ;   in Loop: Header=BB73_114 Depth=1
                                        ; implicit-def: $vgpr56_vgpr57
                                        ; implicit-def: $vgpr54_vgpr55
	s_and_saveexec_b64 s[2:3], s[0:1]
	s_xor_b64 s[2:3], exec, s[2:3]
	s_cbranch_execz .LBB73_131
; %bb.126:                              ;   in Loop: Header=BB73_114 Depth=1
	v_cmp_neq_f64_e32 vcc, 0, v[44:45]
	v_cmp_neq_f64_e64 s[0:1], 0, v[46:47]
	s_or_b64 s[0:1], vcc, s[0:1]
                                        ; implicit-def: $vgpr56_vgpr57
                                        ; implicit-def: $vgpr54_vgpr55
	s_and_saveexec_b64 s[4:5], s[0:1]
	s_xor_b64 s[0:1], exec, s[4:5]
	s_cbranch_execz .LBB73_128
; %bb.127:                              ;   in Loop: Header=BB73_114 Depth=1
	v_div_scale_f64 v[54:55], s[4:5], v[44:45], v[44:45], v[46:47]
	v_rcp_f64_e32 v[56:57], v[54:55]
	v_div_scale_f64 v[58:59], vcc, v[46:47], v[44:45], v[46:47]
	v_fma_f64 v[60:61], -v[54:55], v[56:57], 1.0
	v_fmac_f64_e32 v[56:57], v[56:57], v[60:61]
	v_fma_f64 v[60:61], -v[54:55], v[56:57], 1.0
	v_fmac_f64_e32 v[56:57], v[56:57], v[60:61]
	v_mul_f64 v[60:61], v[58:59], v[56:57]
	v_fma_f64 v[54:55], -v[54:55], v[60:61], v[58:59]
	v_div_fmas_f64 v[54:55], v[54:55], v[56:57], v[60:61]
	v_div_fixup_f64 v[56:57], v[54:55], v[44:45], v[46:47]
	v_fmac_f64_e32 v[44:45], v[46:47], v[56:57]
	v_div_scale_f64 v[46:47], s[4:5], v[44:45], v[44:45], 1.0
	v_rcp_f64_e32 v[54:55], v[46:47]
	v_fma_f64 v[58:59], -v[46:47], v[54:55], 1.0
	v_fmac_f64_e32 v[54:55], v[54:55], v[58:59]
	v_fma_f64 v[58:59], -v[46:47], v[54:55], 1.0
	v_fmac_f64_e32 v[54:55], v[54:55], v[58:59]
	v_div_scale_f64 v[58:59], vcc, 1.0, v[44:45], 1.0
	v_mul_f64 v[60:61], v[58:59], v[54:55]
	v_fma_f64 v[46:47], -v[46:47], v[60:61], v[58:59]
                                        ; implicit-def: $vgpr58_vgpr59
	s_nop 1
	v_div_fmas_f64 v[46:47], v[46:47], v[54:55], v[60:61]
	v_div_fixup_f64 v[44:45], v[46:47], v[44:45], 1.0
	s_waitcnt vmcnt(2)
	v_fma_f64 v[46:47], v[42:43], v[56:57], v[40:41]
	v_fma_f64 v[40:41], -v[40:41], v[56:57], v[42:43]
	v_mul_f64 v[54:55], v[46:47], v[44:45]
	v_mul_f64 v[56:57], v[40:41], v[44:45]
                                        ; implicit-def: $vgpr60_vgpr61
                                        ; implicit-def: $vgpr40_vgpr41
.LBB73_128:                             ;   in Loop: Header=BB73_114 Depth=1
	s_andn2_saveexec_b64 s[0:1], s[0:1]
	s_cbranch_execz .LBB73_130
; %bb.129:                              ;   in Loop: Header=BB73_114 Depth=1
	s_waitcnt vmcnt(2)
	v_div_scale_f64 v[44:45], s[4:5], v[60:61], v[60:61], v[40:41]
	v_rcp_f64_e32 v[46:47], v[44:45]
	v_div_scale_f64 v[62:63], s[4:5], v[58:59], v[58:59], v[42:43]
	v_div_scale_f64 v[54:55], vcc, v[40:41], v[60:61], v[40:41]
	v_fma_f64 v[56:57], -v[44:45], v[46:47], 1.0
	v_fmac_f64_e32 v[46:47], v[46:47], v[56:57]
	v_fma_f64 v[56:57], -v[44:45], v[46:47], 1.0
	v_fmac_f64_e32 v[46:47], v[46:47], v[56:57]
	v_rcp_f64_e32 v[64:65], v[62:63]
	v_mul_f64 v[56:57], v[54:55], v[46:47]
	v_fma_f64 v[44:45], -v[44:45], v[56:57], v[54:55]
	v_div_fmas_f64 v[44:45], v[44:45], v[46:47], v[56:57]
	v_div_fixup_f64 v[54:55], v[44:45], v[60:61], v[40:41]
	v_fma_f64 v[40:41], -v[62:63], v[64:65], 1.0
	v_fmac_f64_e32 v[64:65], v[64:65], v[40:41]
	v_fma_f64 v[40:41], -v[62:63], v[64:65], 1.0
	v_fmac_f64_e32 v[64:65], v[64:65], v[40:41]
	v_div_scale_f64 v[40:41], vcc, v[42:43], v[58:59], v[42:43]
	v_mul_f64 v[44:45], v[40:41], v[64:65]
	v_fma_f64 v[40:41], -v[62:63], v[44:45], v[40:41]
	s_nop 1
	v_div_fmas_f64 v[40:41], v[40:41], v[64:65], v[44:45]
	v_div_fixup_f64 v[56:57], v[40:41], v[58:59], v[42:43]
.LBB73_130:                             ;   in Loop: Header=BB73_114 Depth=1
	s_or_b64 exec, exec, s[0:1]
                                        ; implicit-def: $vgpr46_vgpr47
                                        ; implicit-def: $vgpr40_vgpr41
.LBB73_131:                             ;   in Loop: Header=BB73_114 Depth=1
	s_andn2_saveexec_b64 s[0:1], s[2:3]
	s_cbranch_execz .LBB73_133
; %bb.132:                              ;   in Loop: Header=BB73_114 Depth=1
	v_div_scale_f64 v[54:55], s[2:3], v[46:47], v[46:47], v[44:45]
	v_rcp_f64_e32 v[56:57], v[54:55]
	v_div_scale_f64 v[58:59], vcc, v[44:45], v[46:47], v[44:45]
	v_fma_f64 v[60:61], -v[54:55], v[56:57], 1.0
	v_fmac_f64_e32 v[56:57], v[56:57], v[60:61]
	v_fma_f64 v[60:61], -v[54:55], v[56:57], 1.0
	v_fmac_f64_e32 v[56:57], v[56:57], v[60:61]
	v_mul_f64 v[60:61], v[58:59], v[56:57]
	v_fma_f64 v[54:55], -v[54:55], v[60:61], v[58:59]
	v_div_fmas_f64 v[54:55], v[54:55], v[56:57], v[60:61]
	v_div_fixup_f64 v[56:57], v[54:55], v[46:47], v[44:45]
	v_fmac_f64_e32 v[46:47], v[44:45], v[56:57]
	v_div_scale_f64 v[44:45], s[2:3], v[46:47], v[46:47], 1.0
	v_rcp_f64_e32 v[54:55], v[44:45]
	v_fma_f64 v[58:59], -v[44:45], v[54:55], 1.0
	v_fmac_f64_e32 v[54:55], v[54:55], v[58:59]
	v_fma_f64 v[58:59], -v[44:45], v[54:55], 1.0
	v_fmac_f64_e32 v[54:55], v[54:55], v[58:59]
	v_div_scale_f64 v[58:59], vcc, 1.0, v[46:47], 1.0
	v_mul_f64 v[60:61], v[58:59], v[54:55]
	v_fma_f64 v[44:45], -v[44:45], v[60:61], v[58:59]
	s_nop 1
	v_div_fmas_f64 v[44:45], v[44:45], v[54:55], v[60:61]
	v_div_fixup_f64 v[44:45], v[44:45], v[46:47], 1.0
	s_waitcnt vmcnt(2)
	v_fma_f64 v[46:47], v[40:41], v[56:57], v[42:43]
	v_fma_f64 v[40:41], v[42:43], v[56:57], -v[40:41]
	v_mul_f64 v[54:55], v[46:47], v[44:45]
	v_mul_f64 v[56:57], v[40:41], v[44:45]
.LBB73_133:                             ;   in Loop: Header=BB73_114 Depth=1
	s_or_b64 exec, exec, s[0:1]
.LBB73_134:                             ;   in Loop: Header=BB73_114 Depth=1
	s_waitcnt vmcnt(2)
	v_xor_b32_e32 v40, 0x80000000, v37
	v_cmp_gt_f64_e32 vcc, 0, v[36:37]
	v_cndmask_b32_e32 v47, v37, v40, vcc
	v_xor_b32_e32 v40, 0x80000000, v39
	v_cmp_gt_f64_e32 vcc, 0, v[38:39]
	v_mov_b32_e32 v46, v36
	v_cndmask_b32_e32 v45, v39, v40, vcc
	v_mov_b32_e32 v44, v38
	v_cndmask_b32_e64 v40, 0, 1, s[8:9]
	v_cmp_ne_u32_e64 s[0:1], 1, v40
	s_andn2_b64 vcc, exec, s[8:9]
	v_cmp_ge_f64_e64 s[2:3], v[46:47], v[44:45]
	s_cbranch_vccnz .LBB73_144
; %bb.135:                              ;   in Loop: Header=BB73_114 Depth=1
                                        ; implicit-def: $vgpr42_vgpr43
                                        ; implicit-def: $vgpr58_vgpr59
	s_and_saveexec_b64 s[4:5], s[2:3]
	s_xor_b64 s[12:13], exec, s[4:5]
	s_cbranch_execz .LBB73_141
; %bb.136:                              ;   in Loop: Header=BB73_114 Depth=1
	v_cmp_neq_f64_e32 vcc, 0, v[36:37]
	v_cmp_neq_f64_e64 s[4:5], 0, v[38:39]
	s_or_b64 s[4:5], vcc, s[4:5]
                                        ; implicit-def: $vgpr42_vgpr43
                                        ; implicit-def: $vgpr58_vgpr59
	s_and_saveexec_b64 s[24:25], s[4:5]
	s_xor_b64 s[4:5], exec, s[24:25]
	s_cbranch_execz .LBB73_138
; %bb.137:                              ;   in Loop: Header=BB73_114 Depth=1
	v_div_scale_f64 v[40:41], s[24:25], v[36:37], v[36:37], v[38:39]
	v_rcp_f64_e32 v[42:43], v[40:41]
	v_div_scale_f64 v[58:59], vcc, v[38:39], v[36:37], v[38:39]
	v_fma_f64 v[60:61], -v[40:41], v[42:43], 1.0
	v_fmac_f64_e32 v[42:43], v[42:43], v[60:61]
	v_fma_f64 v[60:61], -v[40:41], v[42:43], 1.0
	v_fmac_f64_e32 v[42:43], v[42:43], v[60:61]
	v_mul_f64 v[60:61], v[58:59], v[42:43]
	v_fma_f64 v[40:41], -v[40:41], v[60:61], v[58:59]
	v_div_fmas_f64 v[40:41], v[40:41], v[42:43], v[60:61]
	v_div_fixup_f64 v[40:41], v[40:41], v[36:37], v[38:39]
	v_fma_f64 v[42:43], v[38:39], v[40:41], v[36:37]
	v_div_scale_f64 v[58:59], s[24:25], v[42:43], v[42:43], 1.0
	v_rcp_f64_e32 v[60:61], v[58:59]
	v_fma_f64 v[62:63], -v[58:59], v[60:61], 1.0
	v_fmac_f64_e32 v[60:61], v[60:61], v[62:63]
	v_fma_f64 v[62:63], -v[58:59], v[60:61], 1.0
	v_fmac_f64_e32 v[60:61], v[60:61], v[62:63]
	v_div_scale_f64 v[62:63], vcc, 1.0, v[42:43], 1.0
	v_mul_f64 v[64:65], v[62:63], v[60:61]
	v_fma_f64 v[58:59], -v[58:59], v[64:65], v[62:63]
	s_nop 1
	v_div_fmas_f64 v[58:59], v[58:59], v[60:61], v[64:65]
	v_div_fixup_f64 v[42:43], v[58:59], v[42:43], 1.0
	v_fma_f64 v[58:59], v[34:35], v[40:41], v[32:33]
	v_fma_f64 v[40:41], -v[32:33], v[40:41], v[34:35]
	v_mul_f64 v[58:59], v[58:59], v[42:43]
	v_mul_f64 v[42:43], v[40:41], v[42:43]
.LBB73_138:                             ;   in Loop: Header=BB73_114 Depth=1
	s_andn2_saveexec_b64 s[4:5], s[4:5]
	s_cbranch_execz .LBB73_140
; %bb.139:                              ;   in Loop: Header=BB73_114 Depth=1
	v_div_scale_f64 v[40:41], s[24:25], v[46:47], v[46:47], v[32:33]
	v_rcp_f64_e32 v[42:43], v[40:41]
	v_div_scale_f64 v[62:63], s[24:25], v[44:45], v[44:45], v[34:35]
	v_div_scale_f64 v[58:59], vcc, v[32:33], v[46:47], v[32:33]
	v_fma_f64 v[60:61], -v[40:41], v[42:43], 1.0
	v_fmac_f64_e32 v[42:43], v[42:43], v[60:61]
	v_fma_f64 v[60:61], -v[40:41], v[42:43], 1.0
	v_fmac_f64_e32 v[42:43], v[42:43], v[60:61]
	v_rcp_f64_e32 v[64:65], v[62:63]
	v_mul_f64 v[60:61], v[58:59], v[42:43]
	v_fma_f64 v[40:41], -v[40:41], v[60:61], v[58:59]
	v_div_fmas_f64 v[40:41], v[40:41], v[42:43], v[60:61]
	v_div_fixup_f64 v[58:59], v[40:41], v[46:47], v[32:33]
	v_fma_f64 v[40:41], -v[62:63], v[64:65], 1.0
	v_fmac_f64_e32 v[64:65], v[64:65], v[40:41]
	v_fma_f64 v[40:41], -v[62:63], v[64:65], 1.0
	v_fmac_f64_e32 v[64:65], v[64:65], v[40:41]
	v_div_scale_f64 v[40:41], vcc, v[34:35], v[44:45], v[34:35]
	v_mul_f64 v[42:43], v[40:41], v[64:65]
	v_fma_f64 v[40:41], -v[62:63], v[42:43], v[40:41]
	s_nop 1
	v_div_fmas_f64 v[40:41], v[40:41], v[64:65], v[42:43]
	v_div_fixup_f64 v[42:43], v[40:41], v[44:45], v[34:35]
.LBB73_140:                             ;   in Loop: Header=BB73_114 Depth=1
	s_or_b64 exec, exec, s[4:5]
.LBB73_141:                             ;   in Loop: Header=BB73_114 Depth=1
	s_andn2_saveexec_b64 s[4:5], s[12:13]
	s_cbranch_execz .LBB73_143
; %bb.142:                              ;   in Loop: Header=BB73_114 Depth=1
	v_div_scale_f64 v[40:41], s[12:13], v[38:39], v[38:39], v[36:37]
	v_rcp_f64_e32 v[42:43], v[40:41]
	v_div_scale_f64 v[58:59], vcc, v[36:37], v[38:39], v[36:37]
	v_fma_f64 v[60:61], -v[40:41], v[42:43], 1.0
	v_fmac_f64_e32 v[42:43], v[42:43], v[60:61]
	v_fma_f64 v[60:61], -v[40:41], v[42:43], 1.0
	v_fmac_f64_e32 v[42:43], v[42:43], v[60:61]
	v_mul_f64 v[60:61], v[58:59], v[42:43]
	v_fma_f64 v[40:41], -v[40:41], v[60:61], v[58:59]
	v_div_fmas_f64 v[40:41], v[40:41], v[42:43], v[60:61]
	v_div_fixup_f64 v[40:41], v[40:41], v[38:39], v[36:37]
	v_fma_f64 v[42:43], v[36:37], v[40:41], v[38:39]
	v_div_scale_f64 v[58:59], s[12:13], v[42:43], v[42:43], 1.0
	v_rcp_f64_e32 v[60:61], v[58:59]
	v_fma_f64 v[62:63], -v[58:59], v[60:61], 1.0
	v_fmac_f64_e32 v[60:61], v[60:61], v[62:63]
	v_fma_f64 v[62:63], -v[58:59], v[60:61], 1.0
	v_fmac_f64_e32 v[60:61], v[60:61], v[62:63]
	v_div_scale_f64 v[62:63], vcc, 1.0, v[42:43], 1.0
	v_mul_f64 v[64:65], v[62:63], v[60:61]
	v_fma_f64 v[58:59], -v[58:59], v[64:65], v[62:63]
	s_nop 1
	v_div_fmas_f64 v[58:59], v[58:59], v[60:61], v[64:65]
	v_div_fixup_f64 v[42:43], v[58:59], v[42:43], 1.0
	v_fma_f64 v[58:59], v[32:33], v[40:41], v[34:35]
	v_fma_f64 v[40:41], v[34:35], v[40:41], -v[32:33]
	v_mul_f64 v[58:59], v[58:59], v[42:43]
	v_mul_f64 v[42:43], v[40:41], v[42:43]
.LBB73_143:                             ;   in Loop: Header=BB73_114 Depth=1
	s_or_b64 exec, exec, s[4:5]
	v_mul_f64 v[40:41], s[18:19], v[42:43]
	v_mul_f64 v[42:43], s[16:17], v[42:43]
	v_fma_f64 v[40:41], s[16:17], v[58:59], -v[40:41]
	v_fmac_f64_e32 v[42:43], s[18:19], v[58:59]
	s_branch .LBB73_154
.LBB73_144:                             ;   in Loop: Header=BB73_114 Depth=1
                                        ; implicit-def: $vgpr42_vgpr43
                                        ; implicit-def: $vgpr40_vgpr41
	s_cbranch_execz .LBB73_154
; %bb.145:                              ;   in Loop: Header=BB73_114 Depth=1
                                        ; implicit-def: $vgpr42_vgpr43
                                        ; implicit-def: $vgpr40_vgpr41
	s_and_saveexec_b64 s[4:5], s[2:3]
	s_xor_b64 s[4:5], exec, s[4:5]
	s_cbranch_execz .LBB73_151
; %bb.146:                              ;   in Loop: Header=BB73_114 Depth=1
	v_cmp_neq_f64_e32 vcc, 0, v[36:37]
	v_cmp_neq_f64_e64 s[2:3], 0, v[38:39]
	s_or_b64 s[2:3], vcc, s[2:3]
                                        ; implicit-def: $vgpr42_vgpr43
                                        ; implicit-def: $vgpr40_vgpr41
	s_and_saveexec_b64 s[12:13], s[2:3]
	s_xor_b64 s[2:3], exec, s[12:13]
	s_cbranch_execz .LBB73_148
; %bb.147:                              ;   in Loop: Header=BB73_114 Depth=1
	v_div_scale_f64 v[40:41], s[12:13], v[36:37], v[36:37], v[38:39]
	v_rcp_f64_e32 v[42:43], v[40:41]
	v_div_scale_f64 v[44:45], vcc, v[38:39], v[36:37], v[38:39]
	v_fma_f64 v[46:47], -v[40:41], v[42:43], 1.0
	v_fmac_f64_e32 v[42:43], v[42:43], v[46:47]
	v_fma_f64 v[46:47], -v[40:41], v[42:43], 1.0
	v_fmac_f64_e32 v[42:43], v[42:43], v[46:47]
	v_mul_f64 v[46:47], v[44:45], v[42:43]
	v_fma_f64 v[40:41], -v[40:41], v[46:47], v[44:45]
	v_div_fmas_f64 v[40:41], v[40:41], v[42:43], v[46:47]
	v_div_fixup_f64 v[42:43], v[40:41], v[36:37], v[38:39]
	v_fmac_f64_e32 v[36:37], v[38:39], v[42:43]
	v_div_scale_f64 v[38:39], s[12:13], v[36:37], v[36:37], 1.0
	v_rcp_f64_e32 v[40:41], v[38:39]
	v_fma_f64 v[44:45], -v[38:39], v[40:41], 1.0
	v_fmac_f64_e32 v[40:41], v[40:41], v[44:45]
	v_fma_f64 v[44:45], -v[38:39], v[40:41], 1.0
	v_fmac_f64_e32 v[40:41], v[40:41], v[44:45]
	v_div_scale_f64 v[44:45], vcc, 1.0, v[36:37], 1.0
	v_mul_f64 v[46:47], v[44:45], v[40:41]
	v_fma_f64 v[38:39], -v[38:39], v[46:47], v[44:45]
                                        ; implicit-def: $vgpr44_vgpr45
	s_nop 1
	v_div_fmas_f64 v[38:39], v[38:39], v[40:41], v[46:47]
	v_div_fixup_f64 v[36:37], v[38:39], v[36:37], 1.0
	v_fma_f64 v[38:39], v[34:35], v[42:43], v[32:33]
	v_fma_f64 v[32:33], -v[32:33], v[42:43], v[34:35]
	v_mul_f64 v[40:41], v[38:39], v[36:37]
	v_mul_f64 v[42:43], v[32:33], v[36:37]
                                        ; implicit-def: $vgpr46_vgpr47
                                        ; implicit-def: $vgpr32_vgpr33
.LBB73_148:                             ;   in Loop: Header=BB73_114 Depth=1
	s_andn2_saveexec_b64 s[2:3], s[2:3]
	s_cbranch_execz .LBB73_150
; %bb.149:                              ;   in Loop: Header=BB73_114 Depth=1
	v_div_scale_f64 v[36:37], s[12:13], v[46:47], v[46:47], v[32:33]
	v_rcp_f64_e32 v[38:39], v[36:37]
	v_div_scale_f64 v[58:59], s[12:13], v[44:45], v[44:45], v[34:35]
	v_div_scale_f64 v[40:41], vcc, v[32:33], v[46:47], v[32:33]
	v_fma_f64 v[42:43], -v[36:37], v[38:39], 1.0
	v_fmac_f64_e32 v[38:39], v[38:39], v[42:43]
	v_fma_f64 v[42:43], -v[36:37], v[38:39], 1.0
	v_fmac_f64_e32 v[38:39], v[38:39], v[42:43]
	v_rcp_f64_e32 v[60:61], v[58:59]
	v_mul_f64 v[42:43], v[40:41], v[38:39]
	v_fma_f64 v[36:37], -v[36:37], v[42:43], v[40:41]
	v_div_fmas_f64 v[36:37], v[36:37], v[38:39], v[42:43]
	v_div_fixup_f64 v[40:41], v[36:37], v[46:47], v[32:33]
	v_fma_f64 v[32:33], -v[58:59], v[60:61], 1.0
	v_fmac_f64_e32 v[60:61], v[60:61], v[32:33]
	v_fma_f64 v[32:33], -v[58:59], v[60:61], 1.0
	v_fmac_f64_e32 v[60:61], v[60:61], v[32:33]
	v_div_scale_f64 v[32:33], vcc, v[34:35], v[44:45], v[34:35]
	v_mul_f64 v[36:37], v[32:33], v[60:61]
	v_fma_f64 v[32:33], -v[58:59], v[36:37], v[32:33]
	s_nop 1
	v_div_fmas_f64 v[32:33], v[32:33], v[60:61], v[36:37]
	v_div_fixup_f64 v[42:43], v[32:33], v[44:45], v[34:35]
.LBB73_150:                             ;   in Loop: Header=BB73_114 Depth=1
	s_or_b64 exec, exec, s[2:3]
                                        ; implicit-def: $vgpr38_vgpr39
                                        ; implicit-def: $vgpr32_vgpr33
.LBB73_151:                             ;   in Loop: Header=BB73_114 Depth=1
	s_andn2_saveexec_b64 s[2:3], s[4:5]
	s_cbranch_execz .LBB73_153
; %bb.152:                              ;   in Loop: Header=BB73_114 Depth=1
	v_div_scale_f64 v[40:41], s[4:5], v[38:39], v[38:39], v[36:37]
	v_rcp_f64_e32 v[42:43], v[40:41]
	v_div_scale_f64 v[44:45], vcc, v[36:37], v[38:39], v[36:37]
	v_fma_f64 v[46:47], -v[40:41], v[42:43], 1.0
	v_fmac_f64_e32 v[42:43], v[42:43], v[46:47]
	v_fma_f64 v[46:47], -v[40:41], v[42:43], 1.0
	v_fmac_f64_e32 v[42:43], v[42:43], v[46:47]
	v_mul_f64 v[46:47], v[44:45], v[42:43]
	v_fma_f64 v[40:41], -v[40:41], v[46:47], v[44:45]
	v_div_fmas_f64 v[40:41], v[40:41], v[42:43], v[46:47]
	v_div_fixup_f64 v[42:43], v[40:41], v[38:39], v[36:37]
	v_fmac_f64_e32 v[38:39], v[36:37], v[42:43]
	v_div_scale_f64 v[36:37], s[4:5], v[38:39], v[38:39], 1.0
	v_rcp_f64_e32 v[40:41], v[36:37]
	v_fma_f64 v[44:45], -v[36:37], v[40:41], 1.0
	v_fmac_f64_e32 v[40:41], v[40:41], v[44:45]
	v_fma_f64 v[44:45], -v[36:37], v[40:41], 1.0
	v_fmac_f64_e32 v[40:41], v[40:41], v[44:45]
	v_div_scale_f64 v[44:45], vcc, 1.0, v[38:39], 1.0
	v_mul_f64 v[46:47], v[44:45], v[40:41]
	v_fma_f64 v[36:37], -v[36:37], v[46:47], v[44:45]
	s_nop 1
	v_div_fmas_f64 v[36:37], v[36:37], v[40:41], v[46:47]
	v_div_fixup_f64 v[36:37], v[36:37], v[38:39], 1.0
	v_fma_f64 v[38:39], v[32:33], v[42:43], v[34:35]
	v_fma_f64 v[32:33], v[34:35], v[42:43], -v[32:33]
	v_mul_f64 v[40:41], v[38:39], v[36:37]
	v_mul_f64 v[42:43], v[32:33], v[36:37]
.LBB73_153:                             ;   in Loop: Header=BB73_114 Depth=1
	s_or_b64 exec, exec, s[2:3]
.LBB73_154:                             ;   in Loop: Header=BB73_114 Depth=1
	s_waitcnt vmcnt(0)
	v_xor_b32_e32 v32, 0x80000000, v29
	v_cmp_gt_f64_e32 vcc, 0, v[28:29]
	v_cndmask_b32_e32 v39, v29, v32, vcc
	v_xor_b32_e32 v32, 0x80000000, v31
	v_cmp_gt_f64_e32 vcc, 0, v[30:31]
	v_mov_b32_e32 v38, v28
	v_cndmask_b32_e32 v37, v31, v32, vcc
	v_mov_b32_e32 v36, v30
	s_and_b64 vcc, exec, s[0:1]
	v_cmp_ge_f64_e64 s[2:3], v[38:39], v[36:37]
	s_cbranch_vccnz .LBB73_164
; %bb.155:                              ;   in Loop: Header=BB73_114 Depth=1
                                        ; implicit-def: $vgpr34_vgpr35
                                        ; implicit-def: $vgpr44_vgpr45
	s_and_saveexec_b64 s[4:5], s[2:3]
	s_xor_b64 s[12:13], exec, s[4:5]
	s_cbranch_execz .LBB73_161
; %bb.156:                              ;   in Loop: Header=BB73_114 Depth=1
	v_cmp_neq_f64_e32 vcc, 0, v[28:29]
	v_cmp_neq_f64_e64 s[4:5], 0, v[30:31]
	s_or_b64 s[4:5], vcc, s[4:5]
                                        ; implicit-def: $vgpr34_vgpr35
                                        ; implicit-def: $vgpr44_vgpr45
	s_and_saveexec_b64 s[24:25], s[4:5]
	s_xor_b64 s[4:5], exec, s[24:25]
	s_cbranch_execz .LBB73_158
; %bb.157:                              ;   in Loop: Header=BB73_114 Depth=1
	v_div_scale_f64 v[32:33], s[24:25], v[28:29], v[28:29], v[30:31]
	v_rcp_f64_e32 v[34:35], v[32:33]
	v_div_scale_f64 v[44:45], vcc, v[30:31], v[28:29], v[30:31]
	v_fma_f64 v[46:47], -v[32:33], v[34:35], 1.0
	v_fmac_f64_e32 v[34:35], v[34:35], v[46:47]
	v_fma_f64 v[46:47], -v[32:33], v[34:35], 1.0
	v_fmac_f64_e32 v[34:35], v[34:35], v[46:47]
	v_mul_f64 v[46:47], v[44:45], v[34:35]
	v_fma_f64 v[32:33], -v[32:33], v[46:47], v[44:45]
	v_div_fmas_f64 v[32:33], v[32:33], v[34:35], v[46:47]
	v_div_fixup_f64 v[32:33], v[32:33], v[28:29], v[30:31]
	v_fma_f64 v[34:35], v[30:31], v[32:33], v[28:29]
	v_div_scale_f64 v[44:45], s[24:25], v[34:35], v[34:35], 1.0
	v_rcp_f64_e32 v[46:47], v[44:45]
	v_fma_f64 v[58:59], -v[44:45], v[46:47], 1.0
	v_fmac_f64_e32 v[46:47], v[46:47], v[58:59]
	v_fma_f64 v[58:59], -v[44:45], v[46:47], 1.0
	v_fmac_f64_e32 v[46:47], v[46:47], v[58:59]
	v_div_scale_f64 v[58:59], vcc, 1.0, v[34:35], 1.0
	v_mul_f64 v[60:61], v[58:59], v[46:47]
	v_fma_f64 v[44:45], -v[44:45], v[60:61], v[58:59]
	s_nop 1
	v_div_fmas_f64 v[44:45], v[44:45], v[46:47], v[60:61]
	v_div_fixup_f64 v[34:35], v[44:45], v[34:35], 1.0
	v_fma_f64 v[44:45], v[26:27], v[32:33], v[24:25]
	v_fma_f64 v[32:33], -v[24:25], v[32:33], v[26:27]
	v_mul_f64 v[44:45], v[44:45], v[34:35]
	v_mul_f64 v[34:35], v[32:33], v[34:35]
.LBB73_158:                             ;   in Loop: Header=BB73_114 Depth=1
	s_andn2_saveexec_b64 s[4:5], s[4:5]
	s_cbranch_execz .LBB73_160
; %bb.159:                              ;   in Loop: Header=BB73_114 Depth=1
	v_div_scale_f64 v[32:33], s[24:25], v[38:39], v[38:39], v[24:25]
	v_rcp_f64_e32 v[34:35], v[32:33]
	v_div_scale_f64 v[58:59], s[24:25], v[36:37], v[36:37], v[26:27]
	v_div_scale_f64 v[44:45], vcc, v[24:25], v[38:39], v[24:25]
	v_fma_f64 v[46:47], -v[32:33], v[34:35], 1.0
	v_fmac_f64_e32 v[34:35], v[34:35], v[46:47]
	v_fma_f64 v[46:47], -v[32:33], v[34:35], 1.0
	v_fmac_f64_e32 v[34:35], v[34:35], v[46:47]
	v_rcp_f64_e32 v[60:61], v[58:59]
	v_mul_f64 v[46:47], v[44:45], v[34:35]
	v_fma_f64 v[32:33], -v[32:33], v[46:47], v[44:45]
	v_div_fmas_f64 v[32:33], v[32:33], v[34:35], v[46:47]
	v_div_fixup_f64 v[44:45], v[32:33], v[38:39], v[24:25]
	v_fma_f64 v[32:33], -v[58:59], v[60:61], 1.0
	v_fmac_f64_e32 v[60:61], v[60:61], v[32:33]
	v_fma_f64 v[32:33], -v[58:59], v[60:61], 1.0
	v_fmac_f64_e32 v[60:61], v[60:61], v[32:33]
	v_div_scale_f64 v[32:33], vcc, v[26:27], v[36:37], v[26:27]
	v_mul_f64 v[34:35], v[32:33], v[60:61]
	v_fma_f64 v[32:33], -v[58:59], v[34:35], v[32:33]
	s_nop 1
	v_div_fmas_f64 v[32:33], v[32:33], v[60:61], v[34:35]
	v_div_fixup_f64 v[34:35], v[32:33], v[36:37], v[26:27]
.LBB73_160:                             ;   in Loop: Header=BB73_114 Depth=1
	s_or_b64 exec, exec, s[4:5]
.LBB73_161:                             ;   in Loop: Header=BB73_114 Depth=1
	s_andn2_saveexec_b64 s[4:5], s[12:13]
	s_cbranch_execz .LBB73_163
; %bb.162:                              ;   in Loop: Header=BB73_114 Depth=1
	v_div_scale_f64 v[32:33], s[12:13], v[30:31], v[30:31], v[28:29]
	v_rcp_f64_e32 v[34:35], v[32:33]
	v_div_scale_f64 v[44:45], vcc, v[28:29], v[30:31], v[28:29]
	v_fma_f64 v[46:47], -v[32:33], v[34:35], 1.0
	v_fmac_f64_e32 v[34:35], v[34:35], v[46:47]
	v_fma_f64 v[46:47], -v[32:33], v[34:35], 1.0
	v_fmac_f64_e32 v[34:35], v[34:35], v[46:47]
	v_mul_f64 v[46:47], v[44:45], v[34:35]
	v_fma_f64 v[32:33], -v[32:33], v[46:47], v[44:45]
	v_div_fmas_f64 v[32:33], v[32:33], v[34:35], v[46:47]
	v_div_fixup_f64 v[32:33], v[32:33], v[30:31], v[28:29]
	v_fma_f64 v[34:35], v[28:29], v[32:33], v[30:31]
	v_div_scale_f64 v[44:45], s[12:13], v[34:35], v[34:35], 1.0
	v_rcp_f64_e32 v[46:47], v[44:45]
	v_fma_f64 v[58:59], -v[44:45], v[46:47], 1.0
	v_fmac_f64_e32 v[46:47], v[46:47], v[58:59]
	v_fma_f64 v[58:59], -v[44:45], v[46:47], 1.0
	v_fmac_f64_e32 v[46:47], v[46:47], v[58:59]
	v_div_scale_f64 v[58:59], vcc, 1.0, v[34:35], 1.0
	v_mul_f64 v[60:61], v[58:59], v[46:47]
	v_fma_f64 v[44:45], -v[44:45], v[60:61], v[58:59]
	s_nop 1
	v_div_fmas_f64 v[44:45], v[44:45], v[46:47], v[60:61]
	v_div_fixup_f64 v[34:35], v[44:45], v[34:35], 1.0
	v_fma_f64 v[44:45], v[24:25], v[32:33], v[26:27]
	v_fma_f64 v[32:33], v[26:27], v[32:33], -v[24:25]
	v_mul_f64 v[44:45], v[44:45], v[34:35]
	v_mul_f64 v[34:35], v[32:33], v[34:35]
.LBB73_163:                             ;   in Loop: Header=BB73_114 Depth=1
	s_or_b64 exec, exec, s[4:5]
	v_mul_f64 v[32:33], s[18:19], v[34:35]
	v_mul_f64 v[34:35], s[16:17], v[34:35]
	v_fma_f64 v[32:33], s[16:17], v[44:45], -v[32:33]
	v_fmac_f64_e32 v[34:35], s[18:19], v[44:45]
	s_branch .LBB73_174
.LBB73_164:                             ;   in Loop: Header=BB73_114 Depth=1
                                        ; implicit-def: $vgpr34_vgpr35
                                        ; implicit-def: $vgpr32_vgpr33
	s_cbranch_execz .LBB73_174
; %bb.165:                              ;   in Loop: Header=BB73_114 Depth=1
                                        ; implicit-def: $vgpr34_vgpr35
                                        ; implicit-def: $vgpr32_vgpr33
	s_and_saveexec_b64 s[4:5], s[2:3]
	s_xor_b64 s[4:5], exec, s[4:5]
	s_cbranch_execz .LBB73_171
; %bb.166:                              ;   in Loop: Header=BB73_114 Depth=1
	v_cmp_neq_f64_e32 vcc, 0, v[28:29]
	v_cmp_neq_f64_e64 s[2:3], 0, v[30:31]
	s_or_b64 s[2:3], vcc, s[2:3]
                                        ; implicit-def: $vgpr34_vgpr35
                                        ; implicit-def: $vgpr32_vgpr33
	s_and_saveexec_b64 s[12:13], s[2:3]
	s_xor_b64 s[2:3], exec, s[12:13]
	s_cbranch_execz .LBB73_168
; %bb.167:                              ;   in Loop: Header=BB73_114 Depth=1
	v_div_scale_f64 v[32:33], s[12:13], v[28:29], v[28:29], v[30:31]
	v_rcp_f64_e32 v[34:35], v[32:33]
	v_div_scale_f64 v[36:37], vcc, v[30:31], v[28:29], v[30:31]
	v_fma_f64 v[38:39], -v[32:33], v[34:35], 1.0
	v_fmac_f64_e32 v[34:35], v[34:35], v[38:39]
	v_fma_f64 v[38:39], -v[32:33], v[34:35], 1.0
	v_fmac_f64_e32 v[34:35], v[34:35], v[38:39]
	v_mul_f64 v[38:39], v[36:37], v[34:35]
	v_fma_f64 v[32:33], -v[32:33], v[38:39], v[36:37]
	v_div_fmas_f64 v[32:33], v[32:33], v[34:35], v[38:39]
	v_div_fixup_f64 v[34:35], v[32:33], v[28:29], v[30:31]
	v_fmac_f64_e32 v[28:29], v[30:31], v[34:35]
	v_div_scale_f64 v[30:31], s[12:13], v[28:29], v[28:29], 1.0
	v_rcp_f64_e32 v[32:33], v[30:31]
	v_fma_f64 v[36:37], -v[30:31], v[32:33], 1.0
	v_fmac_f64_e32 v[32:33], v[32:33], v[36:37]
	v_fma_f64 v[36:37], -v[30:31], v[32:33], 1.0
	v_fmac_f64_e32 v[32:33], v[32:33], v[36:37]
	v_div_scale_f64 v[36:37], vcc, 1.0, v[28:29], 1.0
	v_mul_f64 v[38:39], v[36:37], v[32:33]
	v_fma_f64 v[30:31], -v[30:31], v[38:39], v[36:37]
                                        ; implicit-def: $vgpr36_vgpr37
	s_nop 1
	v_div_fmas_f64 v[30:31], v[30:31], v[32:33], v[38:39]
	v_div_fixup_f64 v[28:29], v[30:31], v[28:29], 1.0
	v_fma_f64 v[30:31], v[26:27], v[34:35], v[24:25]
	v_fma_f64 v[24:25], -v[24:25], v[34:35], v[26:27]
	v_mul_f64 v[32:33], v[30:31], v[28:29]
	v_mul_f64 v[34:35], v[24:25], v[28:29]
                                        ; implicit-def: $vgpr38_vgpr39
                                        ; implicit-def: $vgpr24_vgpr25
.LBB73_168:                             ;   in Loop: Header=BB73_114 Depth=1
	s_andn2_saveexec_b64 s[2:3], s[2:3]
	s_cbranch_execz .LBB73_170
; %bb.169:                              ;   in Loop: Header=BB73_114 Depth=1
	v_div_scale_f64 v[28:29], s[12:13], v[38:39], v[38:39], v[24:25]
	v_rcp_f64_e32 v[30:31], v[28:29]
	v_div_scale_f64 v[44:45], s[12:13], v[36:37], v[36:37], v[26:27]
	v_div_scale_f64 v[32:33], vcc, v[24:25], v[38:39], v[24:25]
	v_fma_f64 v[34:35], -v[28:29], v[30:31], 1.0
	v_fmac_f64_e32 v[30:31], v[30:31], v[34:35]
	v_fma_f64 v[34:35], -v[28:29], v[30:31], 1.0
	v_fmac_f64_e32 v[30:31], v[30:31], v[34:35]
	v_rcp_f64_e32 v[46:47], v[44:45]
	v_mul_f64 v[34:35], v[32:33], v[30:31]
	v_fma_f64 v[28:29], -v[28:29], v[34:35], v[32:33]
	v_div_fmas_f64 v[28:29], v[28:29], v[30:31], v[34:35]
	v_div_fixup_f64 v[32:33], v[28:29], v[38:39], v[24:25]
	v_fma_f64 v[24:25], -v[44:45], v[46:47], 1.0
	v_fmac_f64_e32 v[46:47], v[46:47], v[24:25]
	v_fma_f64 v[24:25], -v[44:45], v[46:47], 1.0
	v_fmac_f64_e32 v[46:47], v[46:47], v[24:25]
	v_div_scale_f64 v[24:25], vcc, v[26:27], v[36:37], v[26:27]
	v_mul_f64 v[28:29], v[24:25], v[46:47]
	v_fma_f64 v[24:25], -v[44:45], v[28:29], v[24:25]
	s_nop 1
	v_div_fmas_f64 v[24:25], v[24:25], v[46:47], v[28:29]
	v_div_fixup_f64 v[34:35], v[24:25], v[36:37], v[26:27]
.LBB73_170:                             ;   in Loop: Header=BB73_114 Depth=1
	s_or_b64 exec, exec, s[2:3]
                                        ; implicit-def: $vgpr30_vgpr31
                                        ; implicit-def: $vgpr24_vgpr25
.LBB73_171:                             ;   in Loop: Header=BB73_114 Depth=1
	s_andn2_saveexec_b64 s[2:3], s[4:5]
	s_cbranch_execz .LBB73_173
; %bb.172:                              ;   in Loop: Header=BB73_114 Depth=1
	v_div_scale_f64 v[32:33], s[4:5], v[30:31], v[30:31], v[28:29]
	v_rcp_f64_e32 v[34:35], v[32:33]
	v_div_scale_f64 v[36:37], vcc, v[28:29], v[30:31], v[28:29]
	v_fma_f64 v[38:39], -v[32:33], v[34:35], 1.0
	v_fmac_f64_e32 v[34:35], v[34:35], v[38:39]
	v_fma_f64 v[38:39], -v[32:33], v[34:35], 1.0
	v_fmac_f64_e32 v[34:35], v[34:35], v[38:39]
	v_mul_f64 v[38:39], v[36:37], v[34:35]
	v_fma_f64 v[32:33], -v[32:33], v[38:39], v[36:37]
	v_div_fmas_f64 v[32:33], v[32:33], v[34:35], v[38:39]
	v_div_fixup_f64 v[34:35], v[32:33], v[30:31], v[28:29]
	v_fmac_f64_e32 v[30:31], v[28:29], v[34:35]
	v_div_scale_f64 v[28:29], s[4:5], v[30:31], v[30:31], 1.0
	v_rcp_f64_e32 v[32:33], v[28:29]
	v_fma_f64 v[36:37], -v[28:29], v[32:33], 1.0
	v_fmac_f64_e32 v[32:33], v[32:33], v[36:37]
	v_fma_f64 v[36:37], -v[28:29], v[32:33], 1.0
	v_fmac_f64_e32 v[32:33], v[32:33], v[36:37]
	v_div_scale_f64 v[36:37], vcc, 1.0, v[30:31], 1.0
	v_mul_f64 v[38:39], v[36:37], v[32:33]
	v_fma_f64 v[28:29], -v[28:29], v[38:39], v[36:37]
	s_nop 1
	v_div_fmas_f64 v[28:29], v[28:29], v[32:33], v[38:39]
	v_div_fixup_f64 v[28:29], v[28:29], v[30:31], 1.0
	v_fma_f64 v[30:31], v[24:25], v[34:35], v[26:27]
	v_fma_f64 v[24:25], v[26:27], v[34:35], -v[24:25]
	v_mul_f64 v[32:33], v[30:31], v[28:29]
	v_mul_f64 v[34:35], v[24:25], v[28:29]
.LBB73_173:                             ;   in Loop: Header=BB73_114 Depth=1
	s_or_b64 exec, exec, s[2:3]
.LBB73_174:                             ;   in Loop: Header=BB73_114 Depth=1
	v_xor_b32_e32 v24, 0x80000000, v21
	v_cmp_gt_f64_e32 vcc, 0, v[20:21]
	v_cndmask_b32_e32 v27, v21, v24, vcc
	v_xor_b32_e32 v24, 0x80000000, v23
	v_cmp_gt_f64_e32 vcc, 0, v[22:23]
	v_mov_b32_e32 v26, v20
	v_cndmask_b32_e32 v25, v23, v24, vcc
	v_mov_b32_e32 v24, v22
	s_and_b64 vcc, exec, s[0:1]
	v_cmp_ge_f64_e64 s[0:1], v[26:27], v[24:25]
	s_cbranch_vccnz .LBB73_184
; %bb.175:                              ;   in Loop: Header=BB73_114 Depth=1
                                        ; implicit-def: $vgpr30_vgpr31
                                        ; implicit-def: $vgpr36_vgpr37
	s_and_saveexec_b64 s[2:3], s[0:1]
	s_xor_b64 s[4:5], exec, s[2:3]
	s_cbranch_execz .LBB73_181
; %bb.176:                              ;   in Loop: Header=BB73_114 Depth=1
	v_cmp_neq_f64_e32 vcc, 0, v[20:21]
	v_cmp_neq_f64_e64 s[2:3], 0, v[22:23]
	s_or_b64 s[2:3], vcc, s[2:3]
                                        ; implicit-def: $vgpr30_vgpr31
                                        ; implicit-def: $vgpr36_vgpr37
	s_and_saveexec_b64 s[12:13], s[2:3]
	s_xor_b64 s[2:3], exec, s[12:13]
	s_cbranch_execz .LBB73_178
; %bb.177:                              ;   in Loop: Header=BB73_114 Depth=1
	v_div_scale_f64 v[28:29], s[12:13], v[20:21], v[20:21], v[22:23]
	v_rcp_f64_e32 v[30:31], v[28:29]
	v_div_scale_f64 v[36:37], vcc, v[22:23], v[20:21], v[22:23]
	v_fma_f64 v[38:39], -v[28:29], v[30:31], 1.0
	v_fmac_f64_e32 v[30:31], v[30:31], v[38:39]
	v_fma_f64 v[38:39], -v[28:29], v[30:31], 1.0
	v_fmac_f64_e32 v[30:31], v[30:31], v[38:39]
	v_mul_f64 v[38:39], v[36:37], v[30:31]
	v_fma_f64 v[28:29], -v[28:29], v[38:39], v[36:37]
	v_div_fmas_f64 v[28:29], v[28:29], v[30:31], v[38:39]
	v_div_fixup_f64 v[28:29], v[28:29], v[20:21], v[22:23]
	v_fma_f64 v[30:31], v[22:23], v[28:29], v[20:21]
	v_div_scale_f64 v[36:37], s[12:13], v[30:31], v[30:31], 1.0
	v_rcp_f64_e32 v[38:39], v[36:37]
	v_fma_f64 v[44:45], -v[36:37], v[38:39], 1.0
	v_fmac_f64_e32 v[38:39], v[38:39], v[44:45]
	v_fma_f64 v[44:45], -v[36:37], v[38:39], 1.0
	v_fmac_f64_e32 v[38:39], v[38:39], v[44:45]
	v_div_scale_f64 v[44:45], vcc, 1.0, v[30:31], 1.0
	v_mul_f64 v[46:47], v[44:45], v[38:39]
	v_fma_f64 v[36:37], -v[36:37], v[46:47], v[44:45]
	s_nop 1
	v_div_fmas_f64 v[36:37], v[36:37], v[38:39], v[46:47]
	v_div_fixup_f64 v[30:31], v[36:37], v[30:31], 1.0
	v_fma_f64 v[36:37], v[18:19], v[28:29], v[16:17]
	v_fma_f64 v[28:29], -v[16:17], v[28:29], v[18:19]
	v_mul_f64 v[36:37], v[36:37], v[30:31]
	v_mul_f64 v[30:31], v[28:29], v[30:31]
.LBB73_178:                             ;   in Loop: Header=BB73_114 Depth=1
	s_andn2_saveexec_b64 s[2:3], s[2:3]
	s_cbranch_execz .LBB73_180
; %bb.179:                              ;   in Loop: Header=BB73_114 Depth=1
	v_div_scale_f64 v[28:29], s[12:13], v[26:27], v[26:27], v[16:17]
	v_rcp_f64_e32 v[30:31], v[28:29]
	v_div_scale_f64 v[44:45], s[12:13], v[24:25], v[24:25], v[18:19]
	v_div_scale_f64 v[36:37], vcc, v[16:17], v[26:27], v[16:17]
	v_fma_f64 v[38:39], -v[28:29], v[30:31], 1.0
	v_fmac_f64_e32 v[30:31], v[30:31], v[38:39]
	v_fma_f64 v[38:39], -v[28:29], v[30:31], 1.0
	v_fmac_f64_e32 v[30:31], v[30:31], v[38:39]
	v_rcp_f64_e32 v[46:47], v[44:45]
	v_mul_f64 v[38:39], v[36:37], v[30:31]
	v_fma_f64 v[28:29], -v[28:29], v[38:39], v[36:37]
	v_div_fmas_f64 v[28:29], v[28:29], v[30:31], v[38:39]
	v_div_fixup_f64 v[36:37], v[28:29], v[26:27], v[16:17]
	v_fma_f64 v[28:29], -v[44:45], v[46:47], 1.0
	v_fmac_f64_e32 v[46:47], v[46:47], v[28:29]
	v_fma_f64 v[28:29], -v[44:45], v[46:47], 1.0
	v_fmac_f64_e32 v[46:47], v[46:47], v[28:29]
	v_div_scale_f64 v[28:29], vcc, v[18:19], v[24:25], v[18:19]
	v_mul_f64 v[30:31], v[28:29], v[46:47]
	v_fma_f64 v[28:29], -v[44:45], v[30:31], v[28:29]
	s_nop 1
	v_div_fmas_f64 v[28:29], v[28:29], v[46:47], v[30:31]
	v_div_fixup_f64 v[30:31], v[28:29], v[24:25], v[18:19]
.LBB73_180:                             ;   in Loop: Header=BB73_114 Depth=1
	s_or_b64 exec, exec, s[2:3]
.LBB73_181:                             ;   in Loop: Header=BB73_114 Depth=1
	s_andn2_saveexec_b64 s[2:3], s[4:5]
	s_cbranch_execz .LBB73_183
; %bb.182:                              ;   in Loop: Header=BB73_114 Depth=1
	v_div_scale_f64 v[28:29], s[4:5], v[22:23], v[22:23], v[20:21]
	v_rcp_f64_e32 v[30:31], v[28:29]
	v_div_scale_f64 v[36:37], vcc, v[20:21], v[22:23], v[20:21]
	v_fma_f64 v[38:39], -v[28:29], v[30:31], 1.0
	v_fmac_f64_e32 v[30:31], v[30:31], v[38:39]
	v_fma_f64 v[38:39], -v[28:29], v[30:31], 1.0
	v_fmac_f64_e32 v[30:31], v[30:31], v[38:39]
	v_mul_f64 v[38:39], v[36:37], v[30:31]
	v_fma_f64 v[28:29], -v[28:29], v[38:39], v[36:37]
	v_div_fmas_f64 v[28:29], v[28:29], v[30:31], v[38:39]
	v_div_fixup_f64 v[28:29], v[28:29], v[22:23], v[20:21]
	v_fma_f64 v[30:31], v[20:21], v[28:29], v[22:23]
	v_div_scale_f64 v[36:37], s[4:5], v[30:31], v[30:31], 1.0
	v_rcp_f64_e32 v[38:39], v[36:37]
	v_fma_f64 v[44:45], -v[36:37], v[38:39], 1.0
	v_fmac_f64_e32 v[38:39], v[38:39], v[44:45]
	v_fma_f64 v[44:45], -v[36:37], v[38:39], 1.0
	v_fmac_f64_e32 v[38:39], v[38:39], v[44:45]
	v_div_scale_f64 v[44:45], vcc, 1.0, v[30:31], 1.0
	v_mul_f64 v[46:47], v[44:45], v[38:39]
	v_fma_f64 v[36:37], -v[36:37], v[46:47], v[44:45]
	s_nop 1
	v_div_fmas_f64 v[36:37], v[36:37], v[38:39], v[46:47]
	v_div_fixup_f64 v[30:31], v[36:37], v[30:31], 1.0
	v_fma_f64 v[36:37], v[16:17], v[28:29], v[18:19]
	v_fma_f64 v[28:29], v[18:19], v[28:29], -v[16:17]
	v_mul_f64 v[36:37], v[36:37], v[30:31]
	v_mul_f64 v[30:31], v[28:29], v[30:31]
.LBB73_183:                             ;   in Loop: Header=BB73_114 Depth=1
	s_or_b64 exec, exec, s[2:3]
	v_mul_f64 v[28:29], s[18:19], v[30:31]
	v_mul_f64 v[30:31], s[16:17], v[30:31]
	v_fma_f64 v[28:29], s[16:17], v[36:37], -v[28:29]
	v_fmac_f64_e32 v[30:31], s[18:19], v[36:37]
	s_branch .LBB73_113
.LBB73_184:                             ;   in Loop: Header=BB73_114 Depth=1
                                        ; implicit-def: $vgpr30_vgpr31
                                        ; implicit-def: $vgpr28_vgpr29
	s_cbranch_execz .LBB73_113
; %bb.185:                              ;   in Loop: Header=BB73_114 Depth=1
                                        ; implicit-def: $vgpr30_vgpr31
                                        ; implicit-def: $vgpr28_vgpr29
	s_and_saveexec_b64 s[2:3], s[0:1]
	s_xor_b64 s[2:3], exec, s[2:3]
	s_cbranch_execz .LBB73_191
; %bb.186:                              ;   in Loop: Header=BB73_114 Depth=1
	v_cmp_neq_f64_e32 vcc, 0, v[20:21]
	v_cmp_neq_f64_e64 s[0:1], 0, v[22:23]
	s_or_b64 s[0:1], vcc, s[0:1]
                                        ; implicit-def: $vgpr30_vgpr31
                                        ; implicit-def: $vgpr28_vgpr29
	s_and_saveexec_b64 s[4:5], s[0:1]
	s_xor_b64 s[0:1], exec, s[4:5]
	s_cbranch_execz .LBB73_188
; %bb.187:                              ;   in Loop: Header=BB73_114 Depth=1
	v_div_scale_f64 v[24:25], s[4:5], v[20:21], v[20:21], v[22:23]
	v_rcp_f64_e32 v[26:27], v[24:25]
	v_div_scale_f64 v[28:29], vcc, v[22:23], v[20:21], v[22:23]
	v_fma_f64 v[30:31], -v[24:25], v[26:27], 1.0
	v_fmac_f64_e32 v[26:27], v[26:27], v[30:31]
	v_fma_f64 v[30:31], -v[24:25], v[26:27], 1.0
	v_fmac_f64_e32 v[26:27], v[26:27], v[30:31]
	v_mul_f64 v[30:31], v[28:29], v[26:27]
	v_fma_f64 v[24:25], -v[24:25], v[30:31], v[28:29]
	v_div_fmas_f64 v[24:25], v[24:25], v[26:27], v[30:31]
	v_div_fixup_f64 v[24:25], v[24:25], v[20:21], v[22:23]
	v_fmac_f64_e32 v[20:21], v[22:23], v[24:25]
	v_div_scale_f64 v[22:23], s[4:5], v[20:21], v[20:21], 1.0
	v_rcp_f64_e32 v[26:27], v[22:23]
	v_fma_f64 v[28:29], -v[22:23], v[26:27], 1.0
	v_fmac_f64_e32 v[26:27], v[26:27], v[28:29]
	v_fma_f64 v[28:29], -v[22:23], v[26:27], 1.0
	v_fmac_f64_e32 v[26:27], v[26:27], v[28:29]
	v_div_scale_f64 v[28:29], vcc, 1.0, v[20:21], 1.0
	v_mul_f64 v[30:31], v[28:29], v[26:27]
	v_fma_f64 v[22:23], -v[22:23], v[30:31], v[28:29]
	s_nop 1
	v_div_fmas_f64 v[22:23], v[22:23], v[26:27], v[30:31]
	v_div_fixup_f64 v[20:21], v[22:23], v[20:21], 1.0
	v_fma_f64 v[22:23], v[18:19], v[24:25], v[16:17]
	v_fma_f64 v[16:17], -v[16:17], v[24:25], v[18:19]
	v_mul_f64 v[28:29], v[22:23], v[20:21]
	v_mul_f64 v[30:31], v[16:17], v[20:21]
                                        ; implicit-def: $vgpr26_vgpr27
                                        ; implicit-def: $vgpr16_vgpr17
                                        ; implicit-def: $vgpr24_vgpr25
.LBB73_188:                             ;   in Loop: Header=BB73_114 Depth=1
	s_andn2_saveexec_b64 s[0:1], s[0:1]
	s_cbranch_execz .LBB73_190
; %bb.189:                              ;   in Loop: Header=BB73_114 Depth=1
	v_div_scale_f64 v[20:21], s[4:5], v[26:27], v[26:27], v[16:17]
	v_rcp_f64_e32 v[22:23], v[20:21]
	v_div_scale_f64 v[36:37], s[4:5], v[24:25], v[24:25], v[18:19]
	v_div_scale_f64 v[28:29], vcc, v[16:17], v[26:27], v[16:17]
	v_fma_f64 v[30:31], -v[20:21], v[22:23], 1.0
	v_fmac_f64_e32 v[22:23], v[22:23], v[30:31]
	v_fma_f64 v[30:31], -v[20:21], v[22:23], 1.0
	v_fmac_f64_e32 v[22:23], v[22:23], v[30:31]
	v_rcp_f64_e32 v[38:39], v[36:37]
	v_mul_f64 v[30:31], v[28:29], v[22:23]
	v_fma_f64 v[20:21], -v[20:21], v[30:31], v[28:29]
	v_div_fmas_f64 v[20:21], v[20:21], v[22:23], v[30:31]
	v_div_fixup_f64 v[28:29], v[20:21], v[26:27], v[16:17]
	v_fma_f64 v[16:17], -v[36:37], v[38:39], 1.0
	v_fmac_f64_e32 v[38:39], v[38:39], v[16:17]
	v_fma_f64 v[16:17], -v[36:37], v[38:39], 1.0
	v_fmac_f64_e32 v[38:39], v[38:39], v[16:17]
	v_div_scale_f64 v[16:17], vcc, v[18:19], v[24:25], v[18:19]
	v_mul_f64 v[20:21], v[16:17], v[38:39]
	v_fma_f64 v[16:17], -v[36:37], v[20:21], v[16:17]
	s_nop 1
	v_div_fmas_f64 v[16:17], v[16:17], v[38:39], v[20:21]
	v_div_fixup_f64 v[30:31], v[16:17], v[24:25], v[18:19]
.LBB73_190:                             ;   in Loop: Header=BB73_114 Depth=1
	s_or_b64 exec, exec, s[0:1]
                                        ; implicit-def: $vgpr22_vgpr23
                                        ; implicit-def: $vgpr16_vgpr17
.LBB73_191:                             ;   in Loop: Header=BB73_114 Depth=1
	s_andn2_saveexec_b64 s[0:1], s[2:3]
	s_cbranch_execz .LBB73_112
; %bb.192:                              ;   in Loop: Header=BB73_114 Depth=1
	v_div_scale_f64 v[24:25], s[2:3], v[22:23], v[22:23], v[20:21]
	v_rcp_f64_e32 v[26:27], v[24:25]
	v_div_scale_f64 v[28:29], vcc, v[20:21], v[22:23], v[20:21]
	v_fma_f64 v[30:31], -v[24:25], v[26:27], 1.0
	v_fmac_f64_e32 v[26:27], v[26:27], v[30:31]
	v_fma_f64 v[30:31], -v[24:25], v[26:27], 1.0
	v_fmac_f64_e32 v[26:27], v[26:27], v[30:31]
	v_mul_f64 v[30:31], v[28:29], v[26:27]
	v_fma_f64 v[24:25], -v[24:25], v[30:31], v[28:29]
	v_div_fmas_f64 v[24:25], v[24:25], v[26:27], v[30:31]
	v_div_fixup_f64 v[24:25], v[24:25], v[22:23], v[20:21]
	v_fmac_f64_e32 v[22:23], v[20:21], v[24:25]
	v_div_scale_f64 v[20:21], s[2:3], v[22:23], v[22:23], 1.0
	v_rcp_f64_e32 v[26:27], v[20:21]
	v_fma_f64 v[28:29], -v[20:21], v[26:27], 1.0
	v_fmac_f64_e32 v[26:27], v[26:27], v[28:29]
	v_fma_f64 v[28:29], -v[20:21], v[26:27], 1.0
	v_fmac_f64_e32 v[26:27], v[26:27], v[28:29]
	v_div_scale_f64 v[28:29], vcc, 1.0, v[22:23], 1.0
	v_mul_f64 v[30:31], v[28:29], v[26:27]
	v_fma_f64 v[20:21], -v[20:21], v[30:31], v[28:29]
	s_nop 1
	v_div_fmas_f64 v[20:21], v[20:21], v[26:27], v[30:31]
	v_div_fixup_f64 v[20:21], v[20:21], v[22:23], 1.0
	v_fma_f64 v[22:23], v[16:17], v[24:25], v[18:19]
	v_fma_f64 v[16:17], v[18:19], v[24:25], -v[16:17]
	v_mul_f64 v[28:29], v[22:23], v[20:21]
	v_mul_f64 v[30:31], v[16:17], v[20:21]
	s_branch .LBB73_112
.LBB73_193:
	s_endpgm
	.section	.rodata,"a",@progbits
	.p2align	6, 0x0
	.amdhsa_kernel _ZN2at6native12_GLOBAL__N_125multi_tensor_apply_kernelINS1_18TensorListMetadataILi3EEENS1_24PointwiseOpScalarFunctorIN3c107complexIdEELi3ELi3ELi0EEEJSt7dividesIS8_ES8_EEEvT_T0_DpT1_
		.amdhsa_group_segment_fixed_size 0
		.amdhsa_private_segment_fixed_size 0
		.amdhsa_kernarg_size 3424
		.amdhsa_user_sgpr_count 6
		.amdhsa_user_sgpr_private_segment_buffer 1
		.amdhsa_user_sgpr_dispatch_ptr 0
		.amdhsa_user_sgpr_queue_ptr 0
		.amdhsa_user_sgpr_kernarg_segment_ptr 1
		.amdhsa_user_sgpr_dispatch_id 0
		.amdhsa_user_sgpr_flat_scratch_init 0
		.amdhsa_user_sgpr_kernarg_preload_length 0
		.amdhsa_user_sgpr_kernarg_preload_offset 0
		.amdhsa_user_sgpr_private_segment_size 0
		.amdhsa_uses_dynamic_stack 0
		.amdhsa_system_sgpr_private_segment_wavefront_offset 0
		.amdhsa_system_sgpr_workgroup_id_x 1
		.amdhsa_system_sgpr_workgroup_id_y 0
		.amdhsa_system_sgpr_workgroup_id_z 0
		.amdhsa_system_sgpr_workgroup_info 0
		.amdhsa_system_vgpr_workitem_id 0
		.amdhsa_next_free_vgpr 92
		.amdhsa_next_free_sgpr 52
		.amdhsa_accum_offset 92
		.amdhsa_reserve_vcc 1
		.amdhsa_reserve_flat_scratch 0
		.amdhsa_float_round_mode_32 0
		.amdhsa_float_round_mode_16_64 0
		.amdhsa_float_denorm_mode_32 3
		.amdhsa_float_denorm_mode_16_64 3
		.amdhsa_dx10_clamp 1
		.amdhsa_ieee_mode 1
		.amdhsa_fp16_overflow 0
		.amdhsa_tg_split 0
		.amdhsa_exception_fp_ieee_invalid_op 0
		.amdhsa_exception_fp_denorm_src 0
		.amdhsa_exception_fp_ieee_div_zero 0
		.amdhsa_exception_fp_ieee_overflow 0
		.amdhsa_exception_fp_ieee_underflow 0
		.amdhsa_exception_fp_ieee_inexact 0
		.amdhsa_exception_int_div_zero 0
	.end_amdhsa_kernel
	.section	.text._ZN2at6native12_GLOBAL__N_125multi_tensor_apply_kernelINS1_18TensorListMetadataILi3EEENS1_24PointwiseOpScalarFunctorIN3c107complexIdEELi3ELi3ELi0EEEJSt7dividesIS8_ES8_EEEvT_T0_DpT1_,"axG",@progbits,_ZN2at6native12_GLOBAL__N_125multi_tensor_apply_kernelINS1_18TensorListMetadataILi3EEENS1_24PointwiseOpScalarFunctorIN3c107complexIdEELi3ELi3ELi0EEEJSt7dividesIS8_ES8_EEEvT_T0_DpT1_,comdat
.Lfunc_end73:
	.size	_ZN2at6native12_GLOBAL__N_125multi_tensor_apply_kernelINS1_18TensorListMetadataILi3EEENS1_24PointwiseOpScalarFunctorIN3c107complexIdEELi3ELi3ELi0EEEJSt7dividesIS8_ES8_EEEvT_T0_DpT1_, .Lfunc_end73-_ZN2at6native12_GLOBAL__N_125multi_tensor_apply_kernelINS1_18TensorListMetadataILi3EEENS1_24PointwiseOpScalarFunctorIN3c107complexIdEELi3ELi3ELi0EEEJSt7dividesIS8_ES8_EEEvT_T0_DpT1_
                                        ; -- End function
	.section	.AMDGPU.csdata,"",@progbits
; Kernel info:
; codeLenInByte = 12460
; NumSgprs: 56
; NumVgprs: 92
; NumAgprs: 0
; TotalNumVgprs: 92
; ScratchSize: 0
; MemoryBound: 1
; FloatMode: 240
; IeeeMode: 1
; LDSByteSize: 0 bytes/workgroup (compile time only)
; SGPRBlocks: 6
; VGPRBlocks: 11
; NumSGPRsForWavesPerEU: 56
; NumVGPRsForWavesPerEU: 92
; AccumOffset: 92
; Occupancy: 5
; WaveLimiterHint : 0
; COMPUTE_PGM_RSRC2:SCRATCH_EN: 0
; COMPUTE_PGM_RSRC2:USER_SGPR: 6
; COMPUTE_PGM_RSRC2:TRAP_HANDLER: 0
; COMPUTE_PGM_RSRC2:TGID_X_EN: 1
; COMPUTE_PGM_RSRC2:TGID_Y_EN: 0
; COMPUTE_PGM_RSRC2:TGID_Z_EN: 0
; COMPUTE_PGM_RSRC2:TIDIG_COMP_CNT: 0
; COMPUTE_PGM_RSRC3_GFX90A:ACCUM_OFFSET: 22
; COMPUTE_PGM_RSRC3_GFX90A:TG_SPLIT: 0
	.section	.text._ZN2at6native12_GLOBAL__N_125multi_tensor_apply_kernelINS1_18TensorListMetadataILi3EEENS1_24PointwiseOpScalarFunctorIN3c107complexIfEELi3ELi3ELi0EEEJSt7dividesIS8_ES8_EEEvT_T0_DpT1_,"axG",@progbits,_ZN2at6native12_GLOBAL__N_125multi_tensor_apply_kernelINS1_18TensorListMetadataILi3EEENS1_24PointwiseOpScalarFunctorIN3c107complexIfEELi3ELi3ELi0EEEJSt7dividesIS8_ES8_EEEvT_T0_DpT1_,comdat
	.globl	_ZN2at6native12_GLOBAL__N_125multi_tensor_apply_kernelINS1_18TensorListMetadataILi3EEENS1_24PointwiseOpScalarFunctorIN3c107complexIfEELi3ELi3ELi0EEEJSt7dividesIS8_ES8_EEEvT_T0_DpT1_ ; -- Begin function _ZN2at6native12_GLOBAL__N_125multi_tensor_apply_kernelINS1_18TensorListMetadataILi3EEENS1_24PointwiseOpScalarFunctorIN3c107complexIfEELi3ELi3ELi0EEEJSt7dividesIS8_ES8_EEEvT_T0_DpT1_
	.p2align	8
	.type	_ZN2at6native12_GLOBAL__N_125multi_tensor_apply_kernelINS1_18TensorListMetadataILi3EEENS1_24PointwiseOpScalarFunctorIN3c107complexIfEELi3ELi3ELi0EEEJSt7dividesIS8_ES8_EEEvT_T0_DpT1_,@function
_ZN2at6native12_GLOBAL__N_125multi_tensor_apply_kernelINS1_18TensorListMetadataILi3EEENS1_24PointwiseOpScalarFunctorIN3c107complexIfEELi3ELi3ELi0EEEJSt7dividesIS8_ES8_EEEvT_T0_DpT1_: ; @_ZN2at6native12_GLOBAL__N_125multi_tensor_apply_kernelINS1_18TensorListMetadataILi3EEENS1_24PointwiseOpScalarFunctorIN3c107complexIfEELi3ELi3ELi0EEEJSt7dividesIS8_ES8_EEEvT_T0_DpT1_
; %bb.0:
	v_mov_b32_e32 v1, s6
	global_load_ubyte v1, v1, s[4:5] offset:1536
	s_add_u32 s0, s4, s6
	s_mul_hi_u32 s1, s6, 3
	s_mul_i32 s6, s6, 3
	s_addc_u32 s2, s5, 0
	s_add_u32 s0, s0, s6
	s_addc_u32 s1, s2, s1
	s_load_dword s8, s[0:1], 0x740
	s_load_dwordx2 s[16:17], s[4:5], 0xc50
	s_mov_b32 s11, 0
	s_mov_b32 s13, s11
	s_waitcnt lgkmcnt(0)
	s_ashr_i32 s9, s8, 31
	s_lshl_b64 s[20:21], s[8:9], 19
	s_waitcnt vmcnt(0)
	v_readfirstlane_b32 s0, v1
	s_lshl_b32 s10, s0, 3
	s_load_dwordx2 s[6:7], s[4:5], s10 offset:0x0
	s_load_dwordx2 s[2:3], s[4:5], s10 offset:0x180
	;; [unrolled: 1-line block ×4, first 2 shown]
	s_waitcnt lgkmcnt(0)
	s_add_u32 s33, s6, s20
	s_addc_u32 s34, s7, s21
	s_add_u32 s35, s2, s20
	s_addc_u32 s36, s3, s21
	;; [unrolled: 2-line block ×3, first 2 shown]
	s_or_b32 s12, s37, s35
	s_and_b32 s10, s33, 31
	s_and_b32 s12, s12, 31
	s_cmp_eq_u32 s12, 0
	s_cselect_b64 s[22:23], -1, 0
	s_lshl_b64 s[8:9], s[8:9], 16
	s_sub_u32 s18, s14, s8
	s_subb_u32 s19, s15, s9
	s_and_b32 s12, s14, 3
	s_or_b64 s[8:9], s[10:11], s[12:13]
	s_cmp_eq_u64 s[8:9], 0
	s_cselect_b64 s[8:9], -1, 0
	s_and_b64 s[10:11], s[22:23], s[8:9]
	s_mov_b64 s[8:9], -1
	s_and_b64 vcc, exec, s[10:11]
	s_cbranch_vccnz .LBB74_109
; %bb.1:
	v_cmp_lt_i64_e64 s[8:9], s[18:19], 1
	s_and_b64 vcc, exec, s[8:9]
	s_cbranch_vccnz .LBB74_108
; %bb.2:
	s_load_dword s8, s[4:5], 0xc64
	v_mov_b32_e32 v2, 0x10000
	v_mov_b32_e32 v3, 0
	v_cmp_lt_u64_e32 vcc, s[18:19], v[2:3]
	v_lshlrev_b32_e32 v14, 3, v0
	s_waitcnt lgkmcnt(0)
	s_and_b32 s12, s8, 0xffff
	s_and_b64 s[8:9], vcc, exec
	v_mov_b32_e32 v19, s7
	v_add_co_u32_e32 v2, vcc, s6, v14
	v_addc_co_u32_e32 v1, vcc, 0, v19, vcc
	s_cselect_b32 s23, s19, 0
	s_cselect_b32 s22, s18, 0x10000
	s_lshl_b32 s13, s12, 1
	s_and_b32 s8, s17, 0x7fffffff
	v_mov_b32_e32 v21, s3
	v_add_co_u32_e32 v4, vcc, s2, v14
	s_cmp_lg_u32 s8, 0
	v_addc_co_u32_e32 v3, vcc, 0, v21, vcc
	v_mov_b32_e32 v15, 0
	s_cselect_b64 s[8:9], -1, 0
	v_cmp_neq_f32_e64 s[10:11], s16, 1.0
	v_mov_b32_e32 v23, s1
	v_add_co_u32_e32 v6, vcc, s0, v14
	s_or_b64 s[24:25], s[10:11], s[8:9]
	v_addc_co_u32_e32 v5, vcc, 0, v23, vcc
	v_mad_u64_u32 v[12:13], s[8:9], s12, 24, v[14:15]
	v_add_co_u32_e32 v8, vcc, s6, v12
	v_addc_co_u32_e32 v7, vcc, v19, v13, vcc
	v_add_co_u32_e32 v10, vcc, s2, v12
	v_addc_co_u32_e32 v9, vcc, v21, v13, vcc
	v_add_co_u32_e32 v12, vcc, s0, v12
	s_mul_i32 s14, s12, 3
	v_addc_co_u32_e32 v11, vcc, v23, v13, vcc
	v_add_co_u32_e32 v25, vcc, s14, v0
	s_lshl_b32 s1, s12, 4
	v_addc_co_u32_e64 v53, s[8:9], 0, 0, vcc
	v_add_co_u32_e32 v17, vcc, s1, v14
	v_addc_co_u32_e64 v20, s[8:9], 0, 0, vcc
	v_add_co_u32_e32 v14, vcc, s6, v17
	v_addc_co_u32_e32 v13, vcc, v19, v20, vcc
	v_add_co_u32_e32 v16, vcc, s2, v17
	v_addc_co_u32_e32 v15, vcc, v21, v20, vcc
	;; [unrolled: 2-line block ×3, first 2 shown]
	v_add_co_u32_e32 v54, vcc, s13, v0
	v_addc_co_u32_e64 v55, s[8:9], 0, 0, vcc
	v_add_co_u32_e32 v56, vcc, s12, v0
	v_lshlrev_b32_e32 v24, 3, v56
	v_addc_co_u32_e64 v57, s[8:9], 0, 0, vcc
	v_add_co_u32_e32 v20, vcc, s6, v24
	v_addc_co_u32_e32 v19, vcc, 0, v19, vcc
	v_add_co_u32_e32 v22, vcc, s2, v24
	v_addc_co_u32_e32 v21, vcc, 0, v21, vcc
	v_add_co_u32_e32 v24, vcc, s0, v24
	s_mov_b32 s39, 0
	s_lshl_b32 s40, s12, 2
	s_mov_b32 s26, s17
	s_mov_b32 s27, s16
	s_lshl_b32 s41, s12, 5
	v_addc_co_u32_e32 v23, vcc, 0, v23, vcc
	s_mov_b64 s[28:29], 0
	s_branch .LBB74_4
.LBB74_3:                               ;   in Loop: Header=BB74_4 Depth=1
	s_or_b64 exec, exec, s[0:1]
	s_add_u32 s28, s28, s40
	s_addc_u32 s29, s29, 0
	v_pk_mov_b32 v[26:27], s[18:19], s[18:19] op_sel:[0,1]
	v_cmp_ge_i64_e32 vcc, s[28:29], v[26:27]
	v_mov_b32_e32 v26, 0xffff
	v_mov_b32_e32 v27, 0
	v_cmp_gt_u64_e64 s[0:1], s[28:29], v[26:27]
	s_or_b64 s[0:1], vcc, s[0:1]
	v_mov_b32_e32 v26, s39
	v_add_co_u32_e32 v2, vcc, s41, v2
	v_addc_co_u32_e32 v1, vcc, v1, v26, vcc
	v_add_co_u32_e32 v4, vcc, s41, v4
	v_addc_co_u32_e32 v3, vcc, v3, v26, vcc
	v_add_co_u32_e32 v6, vcc, s41, v6
	v_addc_co_u32_e32 v5, vcc, v5, v26, vcc
	v_add_co_u32_e32 v8, vcc, s41, v8
	v_addc_co_u32_e32 v7, vcc, v7, v26, vcc
	v_add_co_u32_e32 v10, vcc, s41, v10
	v_addc_co_u32_e32 v9, vcc, v9, v26, vcc
	v_add_co_u32_e32 v12, vcc, s41, v12
	v_addc_co_u32_e32 v11, vcc, v11, v26, vcc
	v_add_co_u32_e32 v14, vcc, s41, v14
	v_addc_co_u32_e32 v13, vcc, v13, v26, vcc
	v_add_co_u32_e32 v16, vcc, s41, v16
	v_addc_co_u32_e32 v15, vcc, v15, v26, vcc
	v_add_co_u32_e32 v18, vcc, s41, v18
	v_addc_co_u32_e32 v17, vcc, v17, v26, vcc
	v_add_co_u32_e32 v20, vcc, s41, v20
	v_addc_co_u32_e32 v19, vcc, v19, v26, vcc
	v_add_co_u32_e32 v22, vcc, s41, v22
	v_addc_co_u32_e32 v21, vcc, v21, v26, vcc
	v_add_co_u32_e32 v24, vcc, s41, v24
	v_addc_co_u32_e32 v23, vcc, v23, v26, vcc
	s_and_b64 vcc, exec, s[0:1]
	s_cbranch_vccnz .LBB74_108
.LBB74_4:                               ; =>This Inner Loop Header: Depth=1
	v_mov_b32_e32 v27, s29
	v_add_co_u32_e32 v26, vcc, s28, v0
	v_addc_co_u32_e32 v27, vcc, 0, v27, vcc
	v_cmp_gt_u64_e64 s[0:1], s[22:23], v[26:27]
	v_mov_b32_e32 v27, 0
	v_mov_b32_e32 v26, 0
	;; [unrolled: 1-line block ×4, first 2 shown]
	s_and_saveexec_b64 s[2:3], s[0:1]
	s_cbranch_execz .LBB74_6
; %bb.5:                                ;   in Loop: Header=BB74_4 Depth=1
	v_mov_b32_e32 v30, s21
	v_add_co_u32_e32 v26, vcc, s20, v4
	v_addc_co_u32_e32 v27, vcc, v3, v30, vcc
	global_load_dwordx2 v[28:29], v[26:27], off
	v_add_co_u32_e32 v26, vcc, s20, v2
	v_addc_co_u32_e32 v27, vcc, v1, v30, vcc
	global_load_dwordx2 v[26:27], v[26:27], off
	s_waitcnt vmcnt(1)
	v_mov_b32_e32 v44, v29
	v_mov_b32_e32 v45, v28
.LBB74_6:                               ;   in Loop: Header=BB74_4 Depth=1
	s_or_b64 exec, exec, s[2:3]
	v_mov_b32_e32 v29, 0
	v_mov_b32_e32 v51, 0
	;; [unrolled: 1-line block ×3, first 2 shown]
	s_and_saveexec_b64 s[2:3], s[0:1]
	s_cbranch_execz .LBB74_8
; %bb.7:                                ;   in Loop: Header=BB74_4 Depth=1
	v_mov_b32_e32 v28, s21
	v_add_co_u32_e32 v30, vcc, s20, v6
	v_addc_co_u32_e32 v31, vcc, v5, v28, vcc
	global_load_dwordx2 v[50:51], v[30:31], off
.LBB74_8:                               ;   in Loop: Header=BB74_4 Depth=1
	s_or_b64 exec, exec, s[2:3]
	v_mov_b32_e32 v28, s29
	v_add_co_u32_e32 v30, vcc, s28, v56
	v_addc_co_u32_e32 v31, vcc, v57, v28, vcc
	v_cmp_gt_u64_e64 s[2:3], s[22:23], v[30:31]
	v_mov_b32_e32 v28, 0
	v_mov_b32_e32 v46, 0
	;; [unrolled: 1-line block ×3, first 2 shown]
	s_and_saveexec_b64 s[6:7], s[2:3]
	s_cbranch_execz .LBB74_10
; %bb.9:                                ;   in Loop: Header=BB74_4 Depth=1
	v_mov_b32_e32 v32, s21
	v_add_co_u32_e32 v28, vcc, s20, v22
	v_addc_co_u32_e32 v29, vcc, v21, v32, vcc
	global_load_dwordx2 v[30:31], v[28:29], off
	v_add_co_u32_e32 v28, vcc, s20, v20
	v_addc_co_u32_e32 v29, vcc, v19, v32, vcc
	global_load_dwordx2 v[28:29], v[28:29], off
	s_waitcnt vmcnt(1)
	v_mov_b32_e32 v46, v31
	v_mov_b32_e32 v47, v30
.LBB74_10:                              ;   in Loop: Header=BB74_4 Depth=1
	s_or_b64 exec, exec, s[6:7]
	v_mov_b32_e32 v31, 0
	v_mov_b32_e32 v49, 0
	;; [unrolled: 1-line block ×3, first 2 shown]
	s_and_saveexec_b64 s[6:7], s[2:3]
	s_cbranch_execz .LBB74_12
; %bb.11:                               ;   in Loop: Header=BB74_4 Depth=1
	v_mov_b32_e32 v30, s21
	v_add_co_u32_e32 v32, vcc, s20, v24
	v_addc_co_u32_e32 v33, vcc, v23, v30, vcc
	global_load_dwordx2 v[48:49], v[32:33], off
.LBB74_12:                              ;   in Loop: Header=BB74_4 Depth=1
	s_or_b64 exec, exec, s[6:7]
	v_mov_b32_e32 v30, s29
	v_add_co_u32_e32 v32, vcc, s28, v54
	v_addc_co_u32_e32 v33, vcc, v55, v30, vcc
	v_cmp_gt_u64_e64 s[6:7], s[22:23], v[32:33]
	v_mov_b32_e32 v30, 0
	v_mov_b32_e32 v40, 0
	;; [unrolled: 1-line block ×3, first 2 shown]
	s_and_saveexec_b64 s[8:9], s[6:7]
	s_cbranch_execz .LBB74_14
; %bb.13:                               ;   in Loop: Header=BB74_4 Depth=1
	v_mov_b32_e32 v34, s21
	v_add_co_u32_e32 v30, vcc, s20, v16
	v_addc_co_u32_e32 v31, vcc, v15, v34, vcc
	global_load_dwordx2 v[32:33], v[30:31], off
	v_add_co_u32_e32 v30, vcc, s20, v14
	v_addc_co_u32_e32 v31, vcc, v13, v34, vcc
	global_load_dwordx2 v[30:31], v[30:31], off
	s_waitcnt vmcnt(1)
	v_mov_b32_e32 v40, v33
	v_mov_b32_e32 v41, v32
.LBB74_14:                              ;   in Loop: Header=BB74_4 Depth=1
	s_or_b64 exec, exec, s[8:9]
	v_mov_b32_e32 v33, 0
	v_mov_b32_e32 v43, 0
	;; [unrolled: 1-line block ×3, first 2 shown]
	s_and_saveexec_b64 s[8:9], s[6:7]
	s_cbranch_execz .LBB74_16
; %bb.15:                               ;   in Loop: Header=BB74_4 Depth=1
	v_mov_b32_e32 v32, s21
	v_add_co_u32_e32 v34, vcc, s20, v18
	v_addc_co_u32_e32 v35, vcc, v17, v32, vcc
	global_load_dwordx2 v[42:43], v[34:35], off
.LBB74_16:                              ;   in Loop: Header=BB74_4 Depth=1
	s_or_b64 exec, exec, s[8:9]
	v_mov_b32_e32 v32, s29
	v_add_co_u32_e32 v34, vcc, s28, v25
	v_addc_co_u32_e32 v35, vcc, v53, v32, vcc
	v_cmp_gt_u64_e64 s[8:9], s[22:23], v[34:35]
	v_mov_b32_e32 v32, 0
	v_mov_b32_e32 v34, 0
	;; [unrolled: 1-line block ×3, first 2 shown]
	s_and_saveexec_b64 s[10:11], s[8:9]
	s_cbranch_execz .LBB74_18
; %bb.17:                               ;   in Loop: Header=BB74_4 Depth=1
	v_mov_b32_e32 v34, s21
	v_add_co_u32_e32 v32, vcc, s20, v10
	v_addc_co_u32_e32 v33, vcc, v9, v34, vcc
	global_load_dwordx2 v[36:37], v[32:33], off
	v_add_co_u32_e32 v32, vcc, s20, v8
	v_addc_co_u32_e32 v33, vcc, v7, v34, vcc
	global_load_dwordx2 v[32:33], v[32:33], off
	s_waitcnt vmcnt(1)
	v_mov_b32_e32 v34, v37
	v_mov_b32_e32 v35, v36
.LBB74_18:                              ;   in Loop: Header=BB74_4 Depth=1
	s_or_b64 exec, exec, s[10:11]
	v_mov_b32_e32 v37, 0
	v_mov_b32_e32 v36, 0
	s_and_saveexec_b64 s[10:11], s[8:9]
	s_cbranch_execz .LBB74_20
; %bb.19:                               ;   in Loop: Header=BB74_4 Depth=1
	v_mov_b32_e32 v37, s21
	v_add_co_u32_e32 v36, vcc, s20, v12
	v_addc_co_u32_e32 v37, vcc, v11, v37, vcc
	global_load_dwordx2 v[36:37], v[36:37], off
.LBB74_20:                              ;   in Loop: Header=BB74_4 Depth=1
	s_or_b64 exec, exec, s[10:11]
	s_waitcnt vmcnt(0)
	v_cmp_gt_f32_e32 vcc, 0, v50
	v_cndmask_b32_e64 v58, v50, -v50, vcc
	v_cmp_gt_f32_e32 vcc, 0, v51
	v_cndmask_b32_e64 v59, v51, -v51, vcc
	v_cmp_ge_f32_e64 s[10:11], v58, v59
	s_and_b64 vcc, exec, s[24:25]
	s_cbranch_vccz .LBB74_30
; %bb.21:                               ;   in Loop: Header=BB74_4 Depth=1
                                        ; implicit-def: $vgpr52
                                        ; implicit-def: $vgpr38
	s_and_saveexec_b64 s[12:13], s[10:11]
	s_xor_b64 s[14:15], exec, s[12:13]
	s_cbranch_execz .LBB74_27
; %bb.22:                               ;   in Loop: Header=BB74_4 Depth=1
	v_cmp_neq_f32_e32 vcc, 0, v50
	v_cmp_neq_f32_e64 s[12:13], 0, v51
	s_or_b64 s[12:13], s[12:13], vcc
                                        ; implicit-def: $vgpr52
                                        ; implicit-def: $vgpr38
	s_and_saveexec_b64 s[30:31], s[12:13]
	s_xor_b64 s[12:13], exec, s[30:31]
	s_cbranch_execz .LBB74_24
; %bb.23:                               ;   in Loop: Header=BB74_4 Depth=1
	v_div_scale_f32 v38, s[30:31], v50, v50, v51
	v_rcp_f32_e32 v39, v38
	v_div_scale_f32 v52, vcc, v51, v50, v51
	v_fma_f32 v60, -v38, v39, 1.0
	v_fmac_f32_e32 v39, v60, v39
	v_mul_f32_e32 v60, v52, v39
	v_fma_f32 v61, -v38, v60, v52
	v_fmac_f32_e32 v60, v61, v39
	v_fma_f32 v38, -v38, v60, v52
	v_div_fmas_f32 v38, v38, v39, v60
	v_div_fixup_f32 v39, v38, v50, v51
	v_fma_f32 v38, v51, v39, v50
	v_div_scale_f32 v52, s[30:31], v38, v38, 1.0
	v_rcp_f32_e32 v60, v52
	v_fma_f32 v61, -v52, v60, 1.0
	v_fmac_f32_e32 v60, v61, v60
	v_div_scale_f32 v61, vcc, 1.0, v38, 1.0
	v_mul_f32_e32 v62, v61, v60
	v_fma_f32 v63, -v52, v62, v61
	v_fmac_f32_e32 v62, v63, v60
	v_fma_f32 v52, -v52, v62, v61
	v_div_fmas_f32 v52, v52, v60, v62
	v_div_fixup_f32 v52, v52, v38, 1.0
	v_fma_f32 v38, v44, v39, v45
	v_fma_f32 v39, -v45, v39, v44
	v_mul_f32_e32 v38, v38, v52
	v_mul_f32_e32 v52, v39, v52
.LBB74_24:                              ;   in Loop: Header=BB74_4 Depth=1
	s_andn2_saveexec_b64 s[12:13], s[12:13]
	s_cbranch_execz .LBB74_26
; %bb.25:                               ;   in Loop: Header=BB74_4 Depth=1
	v_div_scale_f32 v38, s[30:31], v58, v58, v45
	v_rcp_f32_e32 v39, v38
	v_div_scale_f32 v52, vcc, v45, v58, v45
	v_fma_f32 v60, -v38, v39, 1.0
	v_fmac_f32_e32 v39, v60, v39
	v_mul_f32_e32 v60, v52, v39
	v_fma_f32 v61, -v38, v60, v52
	v_fmac_f32_e32 v60, v61, v39
	v_fma_f32 v38, -v38, v60, v52
	v_div_scale_f32 v52, s[30:31], v59, v59, v44
	v_rcp_f32_e32 v61, v52
	v_div_fmas_f32 v38, v38, v39, v60
	v_div_fixup_f32 v38, v38, v58, v45
	v_fma_f32 v39, -v52, v61, 1.0
	v_fmac_f32_e32 v61, v39, v61
	v_div_scale_f32 v39, vcc, v44, v59, v44
	v_mul_f32_e32 v60, v39, v61
	v_fma_f32 v62, -v52, v60, v39
	v_fmac_f32_e32 v60, v62, v61
	v_fma_f32 v39, -v52, v60, v39
	v_div_fmas_f32 v39, v39, v61, v60
	v_div_fixup_f32 v52, v39, v59, v44
.LBB74_26:                              ;   in Loop: Header=BB74_4 Depth=1
	s_or_b64 exec, exec, s[12:13]
.LBB74_27:                              ;   in Loop: Header=BB74_4 Depth=1
	s_andn2_saveexec_b64 s[12:13], s[14:15]
	s_cbranch_execz .LBB74_29
; %bb.28:                               ;   in Loop: Header=BB74_4 Depth=1
	v_div_scale_f32 v38, s[14:15], v51, v51, v50
	v_rcp_f32_e32 v39, v38
	v_div_scale_f32 v52, vcc, v50, v51, v50
	v_fma_f32 v60, -v38, v39, 1.0
	v_fmac_f32_e32 v39, v60, v39
	v_mul_f32_e32 v60, v52, v39
	v_fma_f32 v61, -v38, v60, v52
	v_fmac_f32_e32 v60, v61, v39
	v_fma_f32 v38, -v38, v60, v52
	v_div_fmas_f32 v38, v38, v39, v60
	v_div_fixup_f32 v39, v38, v51, v50
	v_fma_f32 v38, v50, v39, v51
	v_div_scale_f32 v52, s[14:15], v38, v38, 1.0
	v_rcp_f32_e32 v60, v52
	v_fma_f32 v61, -v52, v60, 1.0
	v_fmac_f32_e32 v60, v61, v60
	v_div_scale_f32 v61, vcc, 1.0, v38, 1.0
	v_mul_f32_e32 v62, v61, v60
	v_fma_f32 v63, -v52, v62, v61
	v_fmac_f32_e32 v62, v63, v60
	v_fma_f32 v52, -v52, v62, v61
	v_div_fmas_f32 v52, v52, v60, v62
	v_div_fixup_f32 v52, v52, v38, 1.0
	v_fma_f32 v38, v45, v39, v44
	v_fma_f32 v39, v44, v39, -v45
	v_mul_f32_e32 v38, v38, v52
	v_mul_f32_e32 v52, v39, v52
.LBB74_29:                              ;   in Loop: Header=BB74_4 Depth=1
	s_or_b64 exec, exec, s[12:13]
	v_pk_mul_f32 v[62:63], v[38:39], s[16:17] op_sel_hi:[0,1]
	v_pk_mul_f32 v[60:61], v[52:53], s[16:17] op_sel_hi:[0,1]
	v_pk_fma_f32 v[38:39], v[52:53], s[16:17], v[62:63] op_sel:[0,0,1] op_sel_hi:[0,1,0] neg_lo:[1,0,0] neg_hi:[1,0,0]
	v_add_f32_e32 v38, v63, v60
	s_branch .LBB74_40
.LBB74_30:                              ;   in Loop: Header=BB74_4 Depth=1
                                        ; implicit-def: $vgpr39
	s_cbranch_execz .LBB74_40
; %bb.31:                               ;   in Loop: Header=BB74_4 Depth=1
                                        ; implicit-def: $vgpr39
	s_and_saveexec_b64 s[12:13], s[10:11]
	s_xor_b64 s[12:13], exec, s[12:13]
	s_cbranch_execz .LBB74_37
; %bb.32:                               ;   in Loop: Header=BB74_4 Depth=1
	v_cmp_neq_f32_e32 vcc, 0, v50
	v_cmp_neq_f32_e64 s[10:11], 0, v51
	s_or_b64 s[10:11], s[10:11], vcc
                                        ; implicit-def: $vgpr39
	s_and_saveexec_b64 s[14:15], s[10:11]
	s_xor_b64 s[10:11], exec, s[14:15]
	s_cbranch_execz .LBB74_34
; %bb.33:                               ;   in Loop: Header=BB74_4 Depth=1
	v_div_scale_f32 v38, s[14:15], v50, v50, v51
	v_rcp_f32_e32 v39, v38
	v_div_scale_f32 v52, vcc, v51, v50, v51
	v_fma_f32 v58, -v38, v39, 1.0
	v_fmac_f32_e32 v39, v58, v39
	v_mul_f32_e32 v58, v52, v39
	v_fma_f32 v59, -v38, v58, v52
	v_fmac_f32_e32 v58, v59, v39
	v_fma_f32 v38, -v38, v58, v52
	v_div_fmas_f32 v38, v38, v39, v58
	v_div_fixup_f32 v38, v38, v50, v51
	v_fmac_f32_e32 v50, v51, v38
	v_div_scale_f32 v39, s[14:15], v50, v50, 1.0
	v_rcp_f32_e32 v51, v39
	v_fma_f32 v52, -v39, v51, 1.0
	v_fmac_f32_e32 v51, v52, v51
	v_div_scale_f32 v52, vcc, 1.0, v50, 1.0
	v_mul_f32_e32 v58, v52, v51
	v_fma_f32 v59, -v39, v58, v52
	v_fmac_f32_e32 v58, v59, v51
	v_fma_f32 v39, -v39, v58, v52
	v_div_fmas_f32 v39, v39, v51, v58
	v_div_fixup_f32 v50, v39, v50, 1.0
	v_pk_mul_f32 v[38:39], v[44:45], v[38:39] op_sel_hi:[1,0]
	v_pk_add_f32 v[58:59], v[44:45], v[38:39] op_sel:[0,1] op_sel_hi:[1,0] neg_lo:[0,1] neg_hi:[0,1]
	v_pk_add_f32 v[38:39], v[44:45], v[38:39] op_sel:[0,1] op_sel_hi:[1,0]
	v_mov_b32_e32 v59, v39
	v_pk_mul_f32 v[38:39], v[58:59], v[50:51] op_sel_hi:[1,0]
                                        ; implicit-def: $vgpr59
                                        ; implicit-def: $vgpr44_vgpr45
                                        ; implicit-def: $vgpr58
.LBB74_34:                              ;   in Loop: Header=BB74_4 Depth=1
	s_andn2_saveexec_b64 s[10:11], s[10:11]
	s_cbranch_execz .LBB74_36
; %bb.35:                               ;   in Loop: Header=BB74_4 Depth=1
	v_div_scale_f32 v38, s[14:15], v59, v59, v44
	v_rcp_f32_e32 v39, v38
	v_div_scale_f32 v50, vcc, v44, v59, v44
	v_fma_f32 v51, -v38, v39, 1.0
	v_fmac_f32_e32 v39, v51, v39
	v_mul_f32_e32 v51, v50, v39
	v_fma_f32 v52, -v38, v51, v50
	v_fmac_f32_e32 v51, v52, v39
	v_fma_f32 v38, -v38, v51, v50
	v_div_scale_f32 v50, s[14:15], v58, v58, v45
	v_rcp_f32_e32 v52, v50
	v_div_fmas_f32 v38, v38, v39, v51
	v_div_fixup_f32 v38, v38, v59, v44
	v_fma_f32 v39, -v50, v52, 1.0
	v_fmac_f32_e32 v52, v39, v52
	v_div_scale_f32 v39, vcc, v45, v58, v45
	v_mul_f32_e32 v44, v39, v52
	v_fma_f32 v51, -v50, v44, v39
	v_fmac_f32_e32 v44, v51, v52
	v_fma_f32 v39, -v50, v44, v39
	v_div_fmas_f32 v39, v39, v52, v44
	v_div_fixup_f32 v39, v39, v58, v45
.LBB74_36:                              ;   in Loop: Header=BB74_4 Depth=1
	s_or_b64 exec, exec, s[10:11]
                                        ; implicit-def: $vgpr51
                                        ; implicit-def: $vgpr44_vgpr45
.LBB74_37:                              ;   in Loop: Header=BB74_4 Depth=1
	s_andn2_saveexec_b64 s[10:11], s[12:13]
	s_cbranch_execz .LBB74_39
; %bb.38:                               ;   in Loop: Header=BB74_4 Depth=1
	v_div_scale_f32 v38, s[12:13], v51, v51, v50
	v_rcp_f32_e32 v39, v38
	v_div_scale_f32 v52, vcc, v50, v51, v50
	v_fma_f32 v58, -v38, v39, 1.0
	v_fmac_f32_e32 v39, v58, v39
	v_mul_f32_e32 v58, v52, v39
	v_fma_f32 v59, -v38, v58, v52
	v_fmac_f32_e32 v58, v59, v39
	v_fma_f32 v38, -v38, v58, v52
	v_div_fmas_f32 v38, v38, v39, v58
	v_div_fixup_f32 v38, v38, v51, v50
	v_fmac_f32_e32 v51, v50, v38
	v_div_scale_f32 v39, s[12:13], v51, v51, 1.0
	v_rcp_f32_e32 v50, v39
	v_fma_f32 v52, -v39, v50, 1.0
	v_fmac_f32_e32 v50, v52, v50
	v_div_scale_f32 v52, vcc, 1.0, v51, 1.0
	v_mul_f32_e32 v58, v52, v50
	v_fma_f32 v59, -v39, v58, v52
	v_fmac_f32_e32 v58, v59, v50
	v_fma_f32 v39, -v39, v58, v52
	v_div_fmas_f32 v39, v39, v50, v58
	v_div_fixup_f32 v50, v39, v51, 1.0
	v_pk_fma_f32 v[58:59], v[44:45], v[38:39], v[44:45] op_sel:[0,0,1] op_sel_hi:[1,1,0] neg_lo:[0,0,1] neg_hi:[0,0,1]
	v_pk_fma_f32 v[38:39], v[44:45], v[38:39], v[44:45] op_sel:[0,0,1] op_sel_hi:[1,0,0]
	v_mov_b32_e32 v59, v39
	v_pk_mul_f32 v[38:39], v[58:59], v[50:51] op_sel_hi:[1,0]
.LBB74_39:                              ;   in Loop: Header=BB74_4 Depth=1
	s_or_b64 exec, exec, s[10:11]
.LBB74_40:                              ;   in Loop: Header=BB74_4 Depth=1
	v_cmp_gt_f32_e32 vcc, 0, v48
	v_cndmask_b32_e64 v51, v48, -v48, vcc
	v_cmp_gt_f32_e32 vcc, 0, v49
	v_cndmask_b32_e64 v52, v49, -v49, vcc
	v_cndmask_b32_e64 v44, 0, 1, s[24:25]
	v_cmp_ne_u32_e64 s[10:11], 1, v44
	s_andn2_b64 vcc, exec, s[24:25]
	v_cmp_ge_f32_e64 s[12:13], v51, v52
	s_cbranch_vccnz .LBB74_50
; %bb.41:                               ;   in Loop: Header=BB74_4 Depth=1
                                        ; implicit-def: $vgpr50
                                        ; implicit-def: $vgpr44
	s_and_saveexec_b64 s[14:15], s[12:13]
	s_xor_b64 s[30:31], exec, s[14:15]
	s_cbranch_execz .LBB74_47
; %bb.42:                               ;   in Loop: Header=BB74_4 Depth=1
	v_cmp_neq_f32_e32 vcc, 0, v48
	v_cmp_neq_f32_e64 s[14:15], 0, v49
	s_or_b64 s[14:15], s[14:15], vcc
                                        ; implicit-def: $vgpr50
                                        ; implicit-def: $vgpr44
	s_and_saveexec_b64 s[42:43], s[14:15]
	s_xor_b64 s[14:15], exec, s[42:43]
	s_cbranch_execz .LBB74_44
; %bb.43:                               ;   in Loop: Header=BB74_4 Depth=1
	v_div_scale_f32 v44, s[42:43], v48, v48, v49
	v_rcp_f32_e32 v45, v44
	v_div_scale_f32 v50, vcc, v49, v48, v49
	v_fma_f32 v58, -v44, v45, 1.0
	v_fmac_f32_e32 v45, v58, v45
	v_mul_f32_e32 v58, v50, v45
	v_fma_f32 v59, -v44, v58, v50
	v_fmac_f32_e32 v58, v59, v45
	v_fma_f32 v44, -v44, v58, v50
	v_div_fmas_f32 v44, v44, v45, v58
	v_div_fixup_f32 v45, v44, v48, v49
	v_fma_f32 v44, v49, v45, v48
	v_div_scale_f32 v50, s[42:43], v44, v44, 1.0
	v_rcp_f32_e32 v58, v50
	v_fma_f32 v59, -v50, v58, 1.0
	v_fmac_f32_e32 v58, v59, v58
	v_div_scale_f32 v59, vcc, 1.0, v44, 1.0
	v_mul_f32_e32 v60, v59, v58
	v_fma_f32 v61, -v50, v60, v59
	v_fmac_f32_e32 v60, v61, v58
	v_fma_f32 v50, -v50, v60, v59
	v_div_fmas_f32 v50, v50, v58, v60
	v_div_fixup_f32 v50, v50, v44, 1.0
	v_fma_f32 v44, v46, v45, v47
	v_fma_f32 v45, -v47, v45, v46
	v_mul_f32_e32 v44, v44, v50
	v_mul_f32_e32 v50, v45, v50
.LBB74_44:                              ;   in Loop: Header=BB74_4 Depth=1
	s_andn2_saveexec_b64 s[14:15], s[14:15]
	s_cbranch_execz .LBB74_46
; %bb.45:                               ;   in Loop: Header=BB74_4 Depth=1
	v_div_scale_f32 v44, s[42:43], v51, v51, v47
	v_rcp_f32_e32 v45, v44
	v_div_scale_f32 v50, vcc, v47, v51, v47
	v_fma_f32 v58, -v44, v45, 1.0
	v_fmac_f32_e32 v45, v58, v45
	v_mul_f32_e32 v58, v50, v45
	v_fma_f32 v59, -v44, v58, v50
	v_fmac_f32_e32 v58, v59, v45
	v_fma_f32 v44, -v44, v58, v50
	v_div_scale_f32 v50, s[42:43], v52, v52, v46
	v_rcp_f32_e32 v59, v50
	v_div_fmas_f32 v44, v44, v45, v58
	v_div_fixup_f32 v44, v44, v51, v47
	v_fma_f32 v45, -v50, v59, 1.0
	v_fmac_f32_e32 v59, v45, v59
	v_div_scale_f32 v45, vcc, v46, v52, v46
	v_mul_f32_e32 v58, v45, v59
	v_fma_f32 v60, -v50, v58, v45
	v_fmac_f32_e32 v58, v60, v59
	v_fma_f32 v45, -v50, v58, v45
	v_div_fmas_f32 v45, v45, v59, v58
	v_div_fixup_f32 v50, v45, v52, v46
.LBB74_46:                              ;   in Loop: Header=BB74_4 Depth=1
	s_or_b64 exec, exec, s[14:15]
.LBB74_47:                              ;   in Loop: Header=BB74_4 Depth=1
	s_andn2_saveexec_b64 s[14:15], s[30:31]
	s_cbranch_execz .LBB74_49
; %bb.48:                               ;   in Loop: Header=BB74_4 Depth=1
	v_div_scale_f32 v44, s[30:31], v49, v49, v48
	v_rcp_f32_e32 v45, v44
	v_div_scale_f32 v50, vcc, v48, v49, v48
	v_fma_f32 v58, -v44, v45, 1.0
	v_fmac_f32_e32 v45, v58, v45
	v_mul_f32_e32 v58, v50, v45
	v_fma_f32 v59, -v44, v58, v50
	v_fmac_f32_e32 v58, v59, v45
	v_fma_f32 v44, -v44, v58, v50
	v_div_fmas_f32 v44, v44, v45, v58
	v_div_fixup_f32 v45, v44, v49, v48
	v_fma_f32 v44, v48, v45, v49
	v_div_scale_f32 v50, s[30:31], v44, v44, 1.0
	v_rcp_f32_e32 v58, v50
	v_fma_f32 v59, -v50, v58, 1.0
	v_fmac_f32_e32 v58, v59, v58
	v_div_scale_f32 v59, vcc, 1.0, v44, 1.0
	v_mul_f32_e32 v60, v59, v58
	v_fma_f32 v61, -v50, v60, v59
	v_fmac_f32_e32 v60, v61, v58
	v_fma_f32 v50, -v50, v60, v59
	v_div_fmas_f32 v50, v50, v58, v60
	v_div_fixup_f32 v50, v50, v44, 1.0
	v_fma_f32 v44, v47, v45, v46
	v_fma_f32 v45, v46, v45, -v47
	v_mul_f32_e32 v44, v44, v50
	v_mul_f32_e32 v50, v45, v50
.LBB74_49:                              ;   in Loop: Header=BB74_4 Depth=1
	s_or_b64 exec, exec, s[14:15]
	v_pk_mul_f32 v[60:61], v[44:45], s[16:17] op_sel_hi:[0,1]
	v_pk_mul_f32 v[58:59], v[50:51], s[16:17] op_sel_hi:[0,1]
	v_pk_fma_f32 v[44:45], v[50:51], s[16:17], v[60:61] op_sel:[0,0,1] op_sel_hi:[0,1,0] neg_lo:[1,0,0] neg_hi:[1,0,0]
	v_add_f32_e32 v44, v61, v58
	s_branch .LBB74_60
.LBB74_50:                              ;   in Loop: Header=BB74_4 Depth=1
                                        ; implicit-def: $vgpr45
	s_cbranch_execz .LBB74_60
; %bb.51:                               ;   in Loop: Header=BB74_4 Depth=1
                                        ; implicit-def: $vgpr45
	s_and_saveexec_b64 s[14:15], s[12:13]
	s_xor_b64 s[14:15], exec, s[14:15]
	s_cbranch_execz .LBB74_57
; %bb.52:                               ;   in Loop: Header=BB74_4 Depth=1
	v_cmp_neq_f32_e32 vcc, 0, v48
	v_cmp_neq_f32_e64 s[12:13], 0, v49
	s_or_b64 s[12:13], s[12:13], vcc
                                        ; implicit-def: $vgpr45
	s_and_saveexec_b64 s[30:31], s[12:13]
	s_xor_b64 s[12:13], exec, s[30:31]
	s_cbranch_execz .LBB74_54
; %bb.53:                               ;   in Loop: Header=BB74_4 Depth=1
	v_div_scale_f32 v44, s[30:31], v48, v48, v49
	v_rcp_f32_e32 v45, v44
	v_div_scale_f32 v50, vcc, v49, v48, v49
	v_fma_f32 v51, -v44, v45, 1.0
	v_fmac_f32_e32 v45, v51, v45
	v_mul_f32_e32 v51, v50, v45
	v_fma_f32 v52, -v44, v51, v50
	v_fmac_f32_e32 v51, v52, v45
	v_fma_f32 v44, -v44, v51, v50
	v_div_fmas_f32 v44, v44, v45, v51
	v_div_fixup_f32 v44, v44, v48, v49
	v_fmac_f32_e32 v48, v49, v44
	v_div_scale_f32 v45, s[30:31], v48, v48, 1.0
	v_rcp_f32_e32 v49, v45
	v_fma_f32 v50, -v45, v49, 1.0
	v_fmac_f32_e32 v49, v50, v49
	v_div_scale_f32 v50, vcc, 1.0, v48, 1.0
	v_mul_f32_e32 v51, v50, v49
	v_fma_f32 v52, -v45, v51, v50
	v_fmac_f32_e32 v51, v52, v49
	v_fma_f32 v45, -v45, v51, v50
	v_div_fmas_f32 v45, v45, v49, v51
	v_div_fixup_f32 v48, v45, v48, 1.0
	v_pk_mul_f32 v[44:45], v[46:47], v[44:45] op_sel_hi:[1,0]
	v_pk_add_f32 v[50:51], v[46:47], v[44:45] op_sel:[0,1] op_sel_hi:[1,0] neg_lo:[0,1] neg_hi:[0,1]
	v_pk_add_f32 v[44:45], v[46:47], v[44:45] op_sel:[0,1] op_sel_hi:[1,0]
	v_mov_b32_e32 v51, v45
	v_pk_mul_f32 v[44:45], v[50:51], v[48:49] op_sel_hi:[1,0]
                                        ; implicit-def: $vgpr52
                                        ; implicit-def: $vgpr46_vgpr47
                                        ; implicit-def: $vgpr51
.LBB74_54:                              ;   in Loop: Header=BB74_4 Depth=1
	s_andn2_saveexec_b64 s[12:13], s[12:13]
	s_cbranch_execz .LBB74_56
; %bb.55:                               ;   in Loop: Header=BB74_4 Depth=1
	v_div_scale_f32 v44, s[30:31], v52, v52, v46
	v_rcp_f32_e32 v45, v44
	v_div_scale_f32 v48, vcc, v46, v52, v46
	v_fma_f32 v49, -v44, v45, 1.0
	v_fmac_f32_e32 v45, v49, v45
	v_mul_f32_e32 v49, v48, v45
	v_fma_f32 v50, -v44, v49, v48
	v_fmac_f32_e32 v49, v50, v45
	v_fma_f32 v44, -v44, v49, v48
	v_div_scale_f32 v48, s[30:31], v51, v51, v47
	v_rcp_f32_e32 v50, v48
	v_div_fmas_f32 v44, v44, v45, v49
	v_div_fixup_f32 v44, v44, v52, v46
	v_fma_f32 v45, -v48, v50, 1.0
	v_fmac_f32_e32 v50, v45, v50
	v_div_scale_f32 v45, vcc, v47, v51, v47
	v_mul_f32_e32 v46, v45, v50
	v_fma_f32 v49, -v48, v46, v45
	v_fmac_f32_e32 v46, v49, v50
	v_fma_f32 v45, -v48, v46, v45
	v_div_fmas_f32 v45, v45, v50, v46
	v_div_fixup_f32 v45, v45, v51, v47
.LBB74_56:                              ;   in Loop: Header=BB74_4 Depth=1
	s_or_b64 exec, exec, s[12:13]
                                        ; implicit-def: $vgpr49
                                        ; implicit-def: $vgpr46_vgpr47
.LBB74_57:                              ;   in Loop: Header=BB74_4 Depth=1
	s_andn2_saveexec_b64 s[12:13], s[14:15]
	s_cbranch_execz .LBB74_59
; %bb.58:                               ;   in Loop: Header=BB74_4 Depth=1
	v_div_scale_f32 v44, s[14:15], v49, v49, v48
	v_rcp_f32_e32 v45, v44
	v_div_scale_f32 v50, vcc, v48, v49, v48
	v_fma_f32 v51, -v44, v45, 1.0
	v_fmac_f32_e32 v45, v51, v45
	v_mul_f32_e32 v51, v50, v45
	v_fma_f32 v52, -v44, v51, v50
	v_fmac_f32_e32 v51, v52, v45
	v_fma_f32 v44, -v44, v51, v50
	v_div_fmas_f32 v44, v44, v45, v51
	v_div_fixup_f32 v44, v44, v49, v48
	v_fmac_f32_e32 v49, v48, v44
	v_div_scale_f32 v45, s[14:15], v49, v49, 1.0
	v_rcp_f32_e32 v48, v45
	v_fma_f32 v50, -v45, v48, 1.0
	v_fmac_f32_e32 v48, v50, v48
	v_div_scale_f32 v50, vcc, 1.0, v49, 1.0
	v_mul_f32_e32 v51, v50, v48
	v_fma_f32 v52, -v45, v51, v50
	v_fmac_f32_e32 v51, v52, v48
	v_fma_f32 v45, -v45, v51, v50
	v_div_fmas_f32 v45, v45, v48, v51
	v_div_fixup_f32 v48, v45, v49, 1.0
	v_pk_fma_f32 v[50:51], v[46:47], v[44:45], v[46:47] op_sel:[0,0,1] op_sel_hi:[1,1,0] neg_lo:[0,0,1] neg_hi:[0,0,1]
	v_pk_fma_f32 v[44:45], v[46:47], v[44:45], v[46:47] op_sel:[0,0,1] op_sel_hi:[1,0,0]
	v_mov_b32_e32 v51, v45
	v_pk_mul_f32 v[44:45], v[50:51], v[48:49] op_sel_hi:[1,0]
.LBB74_59:                              ;   in Loop: Header=BB74_4 Depth=1
	s_or_b64 exec, exec, s[12:13]
.LBB74_60:                              ;   in Loop: Header=BB74_4 Depth=1
	v_cmp_gt_f32_e32 vcc, 0, v42
	v_cndmask_b32_e64 v49, v42, -v42, vcc
	v_cmp_gt_f32_e32 vcc, 0, v43
	v_cndmask_b32_e64 v50, v43, -v43, vcc
	s_and_b64 vcc, exec, s[10:11]
	v_cmp_ge_f32_e64 s[12:13], v49, v50
	s_cbranch_vccnz .LBB74_70
; %bb.61:                               ;   in Loop: Header=BB74_4 Depth=1
                                        ; implicit-def: $vgpr48
                                        ; implicit-def: $vgpr46
	s_and_saveexec_b64 s[14:15], s[12:13]
	s_xor_b64 s[30:31], exec, s[14:15]
	s_cbranch_execz .LBB74_67
; %bb.62:                               ;   in Loop: Header=BB74_4 Depth=1
	v_cmp_neq_f32_e32 vcc, 0, v42
	v_cmp_neq_f32_e64 s[14:15], 0, v43
	s_or_b64 s[14:15], s[14:15], vcc
                                        ; implicit-def: $vgpr48
                                        ; implicit-def: $vgpr46
	s_and_saveexec_b64 s[42:43], s[14:15]
	s_xor_b64 s[14:15], exec, s[42:43]
	s_cbranch_execz .LBB74_64
; %bb.63:                               ;   in Loop: Header=BB74_4 Depth=1
	v_div_scale_f32 v46, s[42:43], v42, v42, v43
	v_rcp_f32_e32 v47, v46
	v_div_scale_f32 v48, vcc, v43, v42, v43
	v_fma_f32 v51, -v46, v47, 1.0
	v_fmac_f32_e32 v47, v51, v47
	v_mul_f32_e32 v51, v48, v47
	v_fma_f32 v52, -v46, v51, v48
	v_fmac_f32_e32 v51, v52, v47
	v_fma_f32 v46, -v46, v51, v48
	v_div_fmas_f32 v46, v46, v47, v51
	v_div_fixup_f32 v47, v46, v42, v43
	v_fma_f32 v46, v43, v47, v42
	v_div_scale_f32 v48, s[42:43], v46, v46, 1.0
	v_rcp_f32_e32 v51, v48
	v_fma_f32 v52, -v48, v51, 1.0
	v_fmac_f32_e32 v51, v52, v51
	v_div_scale_f32 v52, vcc, 1.0, v46, 1.0
	v_mul_f32_e32 v58, v52, v51
	v_fma_f32 v59, -v48, v58, v52
	v_fmac_f32_e32 v58, v59, v51
	v_fma_f32 v48, -v48, v58, v52
	v_div_fmas_f32 v48, v48, v51, v58
	v_div_fixup_f32 v48, v48, v46, 1.0
	v_fma_f32 v46, v40, v47, v41
	v_fma_f32 v47, -v41, v47, v40
	v_mul_f32_e32 v46, v46, v48
	v_mul_f32_e32 v48, v47, v48
.LBB74_64:                              ;   in Loop: Header=BB74_4 Depth=1
	s_andn2_saveexec_b64 s[14:15], s[14:15]
	s_cbranch_execz .LBB74_66
; %bb.65:                               ;   in Loop: Header=BB74_4 Depth=1
	v_div_scale_f32 v46, s[42:43], v49, v49, v41
	v_rcp_f32_e32 v47, v46
	v_div_scale_f32 v48, vcc, v41, v49, v41
	v_fma_f32 v51, -v46, v47, 1.0
	v_fmac_f32_e32 v47, v51, v47
	v_mul_f32_e32 v51, v48, v47
	v_fma_f32 v52, -v46, v51, v48
	v_fmac_f32_e32 v51, v52, v47
	v_fma_f32 v46, -v46, v51, v48
	v_div_scale_f32 v48, s[42:43], v50, v50, v40
	v_rcp_f32_e32 v52, v48
	v_div_fmas_f32 v46, v46, v47, v51
	v_div_fixup_f32 v46, v46, v49, v41
	v_fma_f32 v47, -v48, v52, 1.0
	v_fmac_f32_e32 v52, v47, v52
	v_div_scale_f32 v47, vcc, v40, v50, v40
	v_mul_f32_e32 v51, v47, v52
	v_fma_f32 v58, -v48, v51, v47
	v_fmac_f32_e32 v51, v58, v52
	v_fma_f32 v47, -v48, v51, v47
	v_div_fmas_f32 v47, v47, v52, v51
	v_div_fixup_f32 v48, v47, v50, v40
.LBB74_66:                              ;   in Loop: Header=BB74_4 Depth=1
	s_or_b64 exec, exec, s[14:15]
.LBB74_67:                              ;   in Loop: Header=BB74_4 Depth=1
	s_andn2_saveexec_b64 s[14:15], s[30:31]
	s_cbranch_execz .LBB74_69
; %bb.68:                               ;   in Loop: Header=BB74_4 Depth=1
	v_div_scale_f32 v46, s[30:31], v43, v43, v42
	v_rcp_f32_e32 v47, v46
	v_div_scale_f32 v48, vcc, v42, v43, v42
	v_fma_f32 v51, -v46, v47, 1.0
	v_fmac_f32_e32 v47, v51, v47
	v_mul_f32_e32 v51, v48, v47
	v_fma_f32 v52, -v46, v51, v48
	v_fmac_f32_e32 v51, v52, v47
	v_fma_f32 v46, -v46, v51, v48
	v_div_fmas_f32 v46, v46, v47, v51
	v_div_fixup_f32 v47, v46, v43, v42
	v_fma_f32 v46, v42, v47, v43
	v_div_scale_f32 v48, s[30:31], v46, v46, 1.0
	v_rcp_f32_e32 v51, v48
	v_fma_f32 v52, -v48, v51, 1.0
	v_fmac_f32_e32 v51, v52, v51
	v_div_scale_f32 v52, vcc, 1.0, v46, 1.0
	v_mul_f32_e32 v58, v52, v51
	v_fma_f32 v59, -v48, v58, v52
	v_fmac_f32_e32 v58, v59, v51
	v_fma_f32 v48, -v48, v58, v52
	v_div_fmas_f32 v48, v48, v51, v58
	v_div_fixup_f32 v48, v48, v46, 1.0
	v_fma_f32 v46, v41, v47, v40
	v_fma_f32 v47, v40, v47, -v41
	v_mul_f32_e32 v46, v46, v48
	v_mul_f32_e32 v48, v47, v48
.LBB74_69:                              ;   in Loop: Header=BB74_4 Depth=1
	s_or_b64 exec, exec, s[14:15]
	v_pk_mul_f32 v[60:61], v[46:47], s[16:17] op_sel_hi:[0,1]
	v_pk_mul_f32 v[58:59], v[48:49], s[16:17] op_sel_hi:[0,1]
	v_pk_fma_f32 v[46:47], v[48:49], s[16:17], v[60:61] op_sel:[0,0,1] op_sel_hi:[0,1,0] neg_lo:[1,0,0] neg_hi:[1,0,0]
	v_add_f32_e32 v46, v61, v58
	s_branch .LBB74_80
.LBB74_70:                              ;   in Loop: Header=BB74_4 Depth=1
                                        ; implicit-def: $vgpr47
	s_cbranch_execz .LBB74_80
; %bb.71:                               ;   in Loop: Header=BB74_4 Depth=1
                                        ; implicit-def: $vgpr47
	s_and_saveexec_b64 s[14:15], s[12:13]
	s_xor_b64 s[14:15], exec, s[14:15]
	s_cbranch_execz .LBB74_77
; %bb.72:                               ;   in Loop: Header=BB74_4 Depth=1
	v_cmp_neq_f32_e32 vcc, 0, v42
	v_cmp_neq_f32_e64 s[12:13], 0, v43
	s_or_b64 s[12:13], s[12:13], vcc
                                        ; implicit-def: $vgpr47
	s_and_saveexec_b64 s[30:31], s[12:13]
	s_xor_b64 s[12:13], exec, s[30:31]
	s_cbranch_execz .LBB74_74
; %bb.73:                               ;   in Loop: Header=BB74_4 Depth=1
	v_div_scale_f32 v46, s[30:31], v42, v42, v43
	v_rcp_f32_e32 v47, v46
	v_div_scale_f32 v48, vcc, v43, v42, v43
	v_fma_f32 v49, -v46, v47, 1.0
	v_fmac_f32_e32 v47, v49, v47
	v_mul_f32_e32 v49, v48, v47
	v_fma_f32 v50, -v46, v49, v48
	v_fmac_f32_e32 v49, v50, v47
	v_fma_f32 v46, -v46, v49, v48
	v_div_fmas_f32 v46, v46, v47, v49
	v_div_fixup_f32 v46, v46, v42, v43
	v_fmac_f32_e32 v42, v43, v46
	v_div_scale_f32 v43, s[30:31], v42, v42, 1.0
	v_rcp_f32_e32 v47, v43
	v_fma_f32 v48, -v43, v47, 1.0
	v_fmac_f32_e32 v47, v48, v47
	v_div_scale_f32 v48, vcc, 1.0, v42, 1.0
	v_mul_f32_e32 v49, v48, v47
	v_fma_f32 v50, -v43, v49, v48
	v_fmac_f32_e32 v49, v50, v47
	v_fma_f32 v43, -v43, v49, v48
	v_div_fmas_f32 v43, v43, v47, v49
	v_pk_mul_f32 v[46:47], v[40:41], v[46:47] op_sel_hi:[1,0]
	v_pk_add_f32 v[48:49], v[40:41], v[46:47] op_sel:[0,1] op_sel_hi:[1,0] neg_lo:[0,1] neg_hi:[0,1]
	v_pk_add_f32 v[40:41], v[40:41], v[46:47] op_sel:[0,1] op_sel_hi:[1,0]
	v_div_fixup_f32 v42, v43, v42, 1.0
	v_mov_b32_e32 v49, v41
	v_pk_mul_f32 v[46:47], v[48:49], v[42:43] op_sel_hi:[1,0]
                                        ; implicit-def: $vgpr50
                                        ; implicit-def: $vgpr40_vgpr41
                                        ; implicit-def: $vgpr49
.LBB74_74:                              ;   in Loop: Header=BB74_4 Depth=1
	s_andn2_saveexec_b64 s[12:13], s[12:13]
	s_cbranch_execz .LBB74_76
; %bb.75:                               ;   in Loop: Header=BB74_4 Depth=1
	v_div_scale_f32 v42, s[30:31], v50, v50, v40
	v_rcp_f32_e32 v43, v42
	v_div_scale_f32 v46, vcc, v40, v50, v40
	v_fma_f32 v47, -v42, v43, 1.0
	v_fmac_f32_e32 v43, v47, v43
	v_mul_f32_e32 v47, v46, v43
	v_fma_f32 v48, -v42, v47, v46
	v_fmac_f32_e32 v47, v48, v43
	v_div_scale_f32 v48, s[30:31], v49, v49, v41
	v_rcp_f32_e32 v51, v48
	v_fma_f32 v42, -v42, v47, v46
	v_div_fmas_f32 v42, v42, v43, v47
	v_div_fixup_f32 v46, v42, v50, v40
	v_fma_f32 v40, -v48, v51, 1.0
	v_fmac_f32_e32 v51, v40, v51
	v_div_scale_f32 v40, vcc, v41, v49, v41
	v_mul_f32_e32 v42, v40, v51
	v_fma_f32 v43, -v48, v42, v40
	v_fmac_f32_e32 v42, v43, v51
	v_fma_f32 v40, -v48, v42, v40
	v_div_fmas_f32 v40, v40, v51, v42
	v_div_fixup_f32 v47, v40, v49, v41
.LBB74_76:                              ;   in Loop: Header=BB74_4 Depth=1
	s_or_b64 exec, exec, s[12:13]
                                        ; implicit-def: $vgpr43
                                        ; implicit-def: $vgpr40_vgpr41
.LBB74_77:                              ;   in Loop: Header=BB74_4 Depth=1
	s_andn2_saveexec_b64 s[12:13], s[14:15]
	s_cbranch_execz .LBB74_79
; %bb.78:                               ;   in Loop: Header=BB74_4 Depth=1
	v_div_scale_f32 v46, s[14:15], v43, v43, v42
	v_rcp_f32_e32 v47, v46
	v_div_scale_f32 v48, vcc, v42, v43, v42
	v_fma_f32 v49, -v46, v47, 1.0
	v_fmac_f32_e32 v47, v49, v47
	v_mul_f32_e32 v49, v48, v47
	v_fma_f32 v50, -v46, v49, v48
	v_fmac_f32_e32 v49, v50, v47
	v_fma_f32 v46, -v46, v49, v48
	v_div_fmas_f32 v46, v46, v47, v49
	v_div_fixup_f32 v46, v46, v43, v42
	v_fmac_f32_e32 v43, v42, v46
	v_div_scale_f32 v42, s[14:15], v43, v43, 1.0
	v_rcp_f32_e32 v47, v42
	v_fma_f32 v48, -v42, v47, 1.0
	v_fmac_f32_e32 v47, v48, v47
	v_div_scale_f32 v48, vcc, 1.0, v43, 1.0
	v_mul_f32_e32 v49, v48, v47
	v_fma_f32 v50, -v42, v49, v48
	v_fmac_f32_e32 v49, v50, v47
	v_fma_f32 v42, -v42, v49, v48
	v_div_fmas_f32 v42, v42, v47, v49
	v_pk_fma_f32 v[48:49], v[40:41], v[46:47], v[40:41] op_sel:[0,0,1] op_sel_hi:[1,1,0] neg_lo:[0,0,1] neg_hi:[0,0,1]
	v_pk_fma_f32 v[40:41], v[40:41], v[46:47], v[40:41] op_sel:[0,0,1] op_sel_hi:[1,0,0]
	v_div_fixup_f32 v42, v42, v43, 1.0
	v_mov_b32_e32 v49, v41
	v_pk_mul_f32 v[46:47], v[48:49], v[42:43] op_sel_hi:[1,0]
.LBB74_79:                              ;   in Loop: Header=BB74_4 Depth=1
	s_or_b64 exec, exec, s[12:13]
.LBB74_80:                              ;   in Loop: Header=BB74_4 Depth=1
	v_cmp_gt_f32_e32 vcc, 0, v36
	v_cndmask_b32_e64 v41, v36, -v36, vcc
	v_cmp_gt_f32_e32 vcc, 0, v37
	v_cndmask_b32_e64 v48, v37, -v37, vcc
	s_and_b64 vcc, exec, s[10:11]
	v_cmp_ge_f32_e64 s[10:11], v41, v48
	s_cbranch_vccnz .LBB74_90
; %bb.81:                               ;   in Loop: Header=BB74_4 Depth=1
                                        ; implicit-def: $vgpr42
                                        ; implicit-def: $vgpr40
	s_and_saveexec_b64 s[12:13], s[10:11]
	s_xor_b64 s[14:15], exec, s[12:13]
	s_cbranch_execz .LBB74_87
; %bb.82:                               ;   in Loop: Header=BB74_4 Depth=1
	v_cmp_neq_f32_e32 vcc, 0, v36
	v_cmp_neq_f32_e64 s[12:13], 0, v37
	s_or_b64 s[12:13], s[12:13], vcc
                                        ; implicit-def: $vgpr42
                                        ; implicit-def: $vgpr40
	s_and_saveexec_b64 s[30:31], s[12:13]
	s_xor_b64 s[12:13], exec, s[30:31]
	s_cbranch_execz .LBB74_84
; %bb.83:                               ;   in Loop: Header=BB74_4 Depth=1
	v_div_scale_f32 v40, s[30:31], v36, v36, v37
	v_rcp_f32_e32 v42, v40
	v_div_scale_f32 v43, vcc, v37, v36, v37
	v_fma_f32 v49, -v40, v42, 1.0
	v_fmac_f32_e32 v42, v49, v42
	v_mul_f32_e32 v49, v43, v42
	v_fma_f32 v50, -v40, v49, v43
	v_fmac_f32_e32 v49, v50, v42
	v_fma_f32 v40, -v40, v49, v43
	v_div_fmas_f32 v40, v40, v42, v49
	v_div_fixup_f32 v42, v40, v36, v37
	v_fma_f32 v40, v37, v42, v36
	v_div_scale_f32 v43, s[30:31], v40, v40, 1.0
	v_rcp_f32_e32 v49, v43
	v_fma_f32 v50, -v43, v49, 1.0
	v_fmac_f32_e32 v49, v50, v49
	v_div_scale_f32 v50, vcc, 1.0, v40, 1.0
	v_mul_f32_e32 v51, v50, v49
	v_fma_f32 v52, -v43, v51, v50
	v_fmac_f32_e32 v51, v52, v49
	v_fma_f32 v43, -v43, v51, v50
	v_div_fmas_f32 v43, v43, v49, v51
	v_div_fixup_f32 v43, v43, v40, 1.0
	v_fma_f32 v40, v34, v42, v35
	v_fma_f32 v42, -v35, v42, v34
	v_mul_f32_e32 v40, v40, v43
	v_mul_f32_e32 v42, v42, v43
.LBB74_84:                              ;   in Loop: Header=BB74_4 Depth=1
	s_andn2_saveexec_b64 s[12:13], s[12:13]
	s_cbranch_execz .LBB74_86
; %bb.85:                               ;   in Loop: Header=BB74_4 Depth=1
	v_div_scale_f32 v40, s[30:31], v41, v41, v35
	v_rcp_f32_e32 v42, v40
	v_div_scale_f32 v43, vcc, v35, v41, v35
	v_fma_f32 v49, -v40, v42, 1.0
	v_fmac_f32_e32 v42, v49, v42
	v_mul_f32_e32 v49, v43, v42
	v_fma_f32 v50, -v40, v49, v43
	v_fmac_f32_e32 v49, v50, v42
	v_fma_f32 v40, -v40, v49, v43
	v_div_scale_f32 v43, s[30:31], v48, v48, v34
	v_rcp_f32_e32 v50, v43
	v_div_fmas_f32 v40, v40, v42, v49
	v_div_fixup_f32 v40, v40, v41, v35
	v_fma_f32 v42, -v43, v50, 1.0
	v_fmac_f32_e32 v50, v42, v50
	v_div_scale_f32 v42, vcc, v34, v48, v34
	v_mul_f32_e32 v49, v42, v50
	v_fma_f32 v51, -v43, v49, v42
	v_fmac_f32_e32 v49, v51, v50
	v_fma_f32 v42, -v43, v49, v42
	v_div_fmas_f32 v42, v42, v50, v49
	v_div_fixup_f32 v42, v42, v48, v34
.LBB74_86:                              ;   in Loop: Header=BB74_4 Depth=1
	s_or_b64 exec, exec, s[12:13]
.LBB74_87:                              ;   in Loop: Header=BB74_4 Depth=1
	s_andn2_saveexec_b64 s[12:13], s[14:15]
	s_cbranch_execz .LBB74_89
; %bb.88:                               ;   in Loop: Header=BB74_4 Depth=1
	v_div_scale_f32 v40, s[14:15], v37, v37, v36
	v_rcp_f32_e32 v42, v40
	v_div_scale_f32 v43, vcc, v36, v37, v36
	v_fma_f32 v49, -v40, v42, 1.0
	v_fmac_f32_e32 v42, v49, v42
	v_mul_f32_e32 v49, v43, v42
	v_fma_f32 v50, -v40, v49, v43
	v_fmac_f32_e32 v49, v50, v42
	v_fma_f32 v40, -v40, v49, v43
	v_div_fmas_f32 v40, v40, v42, v49
	v_div_fixup_f32 v42, v40, v37, v36
	v_fma_f32 v40, v36, v42, v37
	v_div_scale_f32 v43, s[14:15], v40, v40, 1.0
	v_rcp_f32_e32 v49, v43
	v_fma_f32 v50, -v43, v49, 1.0
	v_fmac_f32_e32 v49, v50, v49
	v_div_scale_f32 v50, vcc, 1.0, v40, 1.0
	v_mul_f32_e32 v51, v50, v49
	v_fma_f32 v52, -v43, v51, v50
	v_fmac_f32_e32 v51, v52, v49
	v_fma_f32 v43, -v43, v51, v50
	v_div_fmas_f32 v43, v43, v49, v51
	v_div_fixup_f32 v43, v43, v40, 1.0
	v_fma_f32 v40, v35, v42, v34
	v_fma_f32 v42, v34, v42, -v35
	v_mul_f32_e32 v40, v40, v43
	v_mul_f32_e32 v42, v42, v43
.LBB74_89:                              ;   in Loop: Header=BB74_4 Depth=1
	s_or_b64 exec, exec, s[12:13]
	v_pk_mul_f32 v[50:51], v[40:41], s[16:17] op_sel_hi:[0,1]
	v_pk_mul_f32 v[58:59], v[42:43], s[26:27] op_sel_hi:[0,1]
	v_pk_fma_f32 v[42:43], v[40:41], s[16:17], v[58:59] op_sel_hi:[0,1,1] neg_lo:[0,0,1] neg_hi:[0,0,1]
	v_add_f32_e32 v40, v51, v59
	s_branch .LBB74_100
.LBB74_90:                              ;   in Loop: Header=BB74_4 Depth=1
                                        ; implicit-def: $vgpr42
                                        ; implicit-def: $vgpr40
	s_cbranch_execz .LBB74_100
; %bb.91:                               ;   in Loop: Header=BB74_4 Depth=1
                                        ; implicit-def: $vgpr42
                                        ; implicit-def: $vgpr40
	s_and_saveexec_b64 s[12:13], s[10:11]
	s_xor_b64 s[12:13], exec, s[12:13]
	s_cbranch_execz .LBB74_97
; %bb.92:                               ;   in Loop: Header=BB74_4 Depth=1
	v_cmp_neq_f32_e32 vcc, 0, v36
	v_cmp_neq_f32_e64 s[10:11], 0, v37
	s_or_b64 s[10:11], s[10:11], vcc
                                        ; implicit-def: $vgpr42
                                        ; implicit-def: $vgpr40
	s_and_saveexec_b64 s[14:15], s[10:11]
	s_xor_b64 s[10:11], exec, s[14:15]
	s_cbranch_execz .LBB74_94
; %bb.93:                               ;   in Loop: Header=BB74_4 Depth=1
	v_div_scale_f32 v40, s[14:15], v36, v36, v37
	v_rcp_f32_e32 v41, v40
	v_div_scale_f32 v42, vcc, v37, v36, v37
	v_fma_f32 v43, -v40, v41, 1.0
	v_fmac_f32_e32 v41, v43, v41
	v_mul_f32_e32 v43, v42, v41
	v_fma_f32 v48, -v40, v43, v42
	v_fmac_f32_e32 v43, v48, v41
	v_fma_f32 v40, -v40, v43, v42
	v_div_fmas_f32 v40, v40, v41, v43
	v_div_fixup_f32 v40, v40, v36, v37
	v_fmac_f32_e32 v36, v37, v40
	v_div_scale_f32 v37, s[14:15], v36, v36, 1.0
	v_rcp_f32_e32 v41, v37
	v_fma_f32 v42, -v37, v41, 1.0
	v_fmac_f32_e32 v41, v42, v41
	v_div_scale_f32 v42, vcc, 1.0, v36, 1.0
	v_mul_f32_e32 v43, v42, v41
	v_fma_f32 v48, -v37, v43, v42
	v_fmac_f32_e32 v43, v48, v41
	v_fma_f32 v37, -v37, v43, v42
	v_div_fmas_f32 v37, v37, v41, v43
	v_pk_mul_f32 v[40:41], v[34:35], v[40:41] op_sel_hi:[1,0]
	v_pk_add_f32 v[42:43], v[34:35], v[40:41] op_sel:[0,1] op_sel_hi:[1,0] neg_lo:[0,1] neg_hi:[0,1]
	v_pk_add_f32 v[34:35], v[34:35], v[40:41] op_sel:[0,1] op_sel_hi:[1,0]
	v_div_fixup_f32 v36, v37, v36, 1.0
	v_mov_b32_e32 v43, v35
	v_pk_mul_f32 v[40:41], v[42:43], v[36:37] op_sel_hi:[1,0]
	v_mov_b32_e32 v42, v41
                                        ; implicit-def: $vgpr48
                                        ; implicit-def: $vgpr34_vgpr35
                                        ; implicit-def: $vgpr41
.LBB74_94:                              ;   in Loop: Header=BB74_4 Depth=1
	s_andn2_saveexec_b64 s[10:11], s[10:11]
	s_cbranch_execz .LBB74_96
; %bb.95:                               ;   in Loop: Header=BB74_4 Depth=1
	v_div_scale_f32 v36, s[14:15], v48, v48, v34
	v_rcp_f32_e32 v37, v36
	v_div_scale_f32 v40, vcc, v34, v48, v34
	v_fma_f32 v42, -v36, v37, 1.0
	v_fmac_f32_e32 v37, v42, v37
	v_mul_f32_e32 v42, v40, v37
	v_fma_f32 v43, -v36, v42, v40
	v_fmac_f32_e32 v42, v43, v37
	v_div_scale_f32 v43, s[14:15], v41, v41, v35
	v_rcp_f32_e32 v49, v43
	v_fma_f32 v36, -v36, v42, v40
	v_div_fmas_f32 v36, v36, v37, v42
	v_div_fixup_f32 v40, v36, v48, v34
	v_fma_f32 v34, -v43, v49, 1.0
	v_fmac_f32_e32 v49, v34, v49
	v_div_scale_f32 v34, vcc, v35, v41, v35
	v_mul_f32_e32 v36, v34, v49
	v_fma_f32 v37, -v43, v36, v34
	v_fmac_f32_e32 v36, v37, v49
	v_fma_f32 v34, -v43, v36, v34
	v_div_fmas_f32 v34, v34, v49, v36
	v_div_fixup_f32 v42, v34, v41, v35
.LBB74_96:                              ;   in Loop: Header=BB74_4 Depth=1
	s_or_b64 exec, exec, s[10:11]
                                        ; implicit-def: $vgpr37
                                        ; implicit-def: $vgpr34_vgpr35
.LBB74_97:                              ;   in Loop: Header=BB74_4 Depth=1
	s_andn2_saveexec_b64 s[10:11], s[12:13]
	s_cbranch_execz .LBB74_99
; %bb.98:                               ;   in Loop: Header=BB74_4 Depth=1
	v_div_scale_f32 v40, s[12:13], v37, v37, v36
	v_rcp_f32_e32 v41, v40
	v_div_scale_f32 v42, vcc, v36, v37, v36
	v_fma_f32 v43, -v40, v41, 1.0
	v_fmac_f32_e32 v41, v43, v41
	v_mul_f32_e32 v43, v42, v41
	v_fma_f32 v48, -v40, v43, v42
	v_fmac_f32_e32 v43, v48, v41
	v_fma_f32 v40, -v40, v43, v42
	v_div_fmas_f32 v40, v40, v41, v43
	v_div_fixup_f32 v40, v40, v37, v36
	v_fmac_f32_e32 v37, v36, v40
	v_div_scale_f32 v36, s[12:13], v37, v37, 1.0
	v_rcp_f32_e32 v41, v36
	v_fma_f32 v42, -v36, v41, 1.0
	v_fmac_f32_e32 v41, v42, v41
	v_div_scale_f32 v42, vcc, 1.0, v37, 1.0
	v_mul_f32_e32 v43, v42, v41
	v_fma_f32 v48, -v36, v43, v42
	v_fmac_f32_e32 v43, v48, v41
	v_fma_f32 v36, -v36, v43, v42
	v_div_fmas_f32 v36, v36, v41, v43
	v_pk_fma_f32 v[42:43], v[34:35], v[40:41], v[34:35] op_sel:[0,0,1] op_sel_hi:[1,1,0] neg_lo:[0,0,1] neg_hi:[0,0,1]
	v_pk_fma_f32 v[34:35], v[34:35], v[40:41], v[34:35] op_sel:[0,0,1] op_sel_hi:[1,0,0]
	v_div_fixup_f32 v36, v36, v37, 1.0
	v_mov_b32_e32 v43, v35
	v_pk_mul_f32 v[40:41], v[42:43], v[36:37] op_sel_hi:[1,0]
	v_mov_b32_e32 v42, v41
.LBB74_99:                              ;   in Loop: Header=BB74_4 Depth=1
	s_or_b64 exec, exec, s[10:11]
.LBB74_100:                             ;   in Loop: Header=BB74_4 Depth=1
	s_and_saveexec_b64 s[10:11], s[0:1]
	s_xor_b64 s[0:1], exec, s[10:11]
	s_cbranch_execnz .LBB74_104
; %bb.101:                              ;   in Loop: Header=BB74_4 Depth=1
	s_or_b64 exec, exec, s[0:1]
	s_and_saveexec_b64 s[0:1], s[2:3]
	s_cbranch_execnz .LBB74_105
.LBB74_102:                             ;   in Loop: Header=BB74_4 Depth=1
	s_or_b64 exec, exec, s[0:1]
	s_and_saveexec_b64 s[0:1], s[6:7]
	s_cbranch_execnz .LBB74_106
.LBB74_103:                             ;   in Loop: Header=BB74_4 Depth=1
	s_or_b64 exec, exec, s[0:1]
	s_and_saveexec_b64 s[0:1], s[8:9]
	s_cbranch_execz .LBB74_3
	s_branch .LBB74_107
.LBB74_104:                             ;   in Loop: Header=BB74_4 Depth=1
	v_mov_b32_e32 v35, s21
	v_add_co_u32_e32 v34, vcc, s20, v2
	v_add_f32_e32 v26, v26, v39
	v_add_f32_e32 v27, v27, v38
	v_addc_co_u32_e32 v35, vcc, v1, v35, vcc
	global_store_dwordx2 v[34:35], v[26:27], off
	s_or_b64 exec, exec, s[0:1]
	s_and_saveexec_b64 s[0:1], s[2:3]
	s_cbranch_execz .LBB74_102
.LBB74_105:                             ;   in Loop: Header=BB74_4 Depth=1
	v_add_f32_e32 v26, v28, v45
	v_add_f32_e32 v27, v29, v44
	v_mov_b32_e32 v29, s21
	v_add_co_u32_e32 v28, vcc, s20, v20
	v_addc_co_u32_e32 v29, vcc, v19, v29, vcc
	global_store_dwordx2 v[28:29], v[26:27], off
	s_or_b64 exec, exec, s[0:1]
	s_and_saveexec_b64 s[0:1], s[6:7]
	s_cbranch_execz .LBB74_103
.LBB74_106:                             ;   in Loop: Header=BB74_4 Depth=1
	v_mov_b32_e32 v29, s21
	v_add_co_u32_e32 v28, vcc, s20, v14
	v_add_f32_e32 v26, v30, v47
	v_add_f32_e32 v27, v31, v46
	v_addc_co_u32_e32 v29, vcc, v13, v29, vcc
	global_store_dwordx2 v[28:29], v[26:27], off
	s_or_b64 exec, exec, s[0:1]
	s_and_saveexec_b64 s[0:1], s[8:9]
	s_cbranch_execz .LBB74_3
.LBB74_107:                             ;   in Loop: Header=BB74_4 Depth=1
	v_mov_b32_e32 v29, s21
	v_add_co_u32_e32 v28, vcc, s20, v8
	v_add_f32_e32 v26, v32, v42
	v_add_f32_e32 v27, v33, v40
	v_addc_co_u32_e32 v29, vcc, v7, v29, vcc
	global_store_dwordx2 v[28:29], v[26:27], off
	s_branch .LBB74_3
.LBB74_108:
	s_mov_b64 s[8:9], 0
.LBB74_109:
	s_andn2_b64 vcc, exec, s[8:9]
	s_cbranch_vccnz .LBB74_193
; %bb.110:
	v_mov_b32_e32 v25, 0
	v_lshlrev_b32_e32 v24, 2, v0
	s_mov_b32 s14, 0
	v_cmp_gt_i64_e32 vcc, s[18:19], v[24:25]
	s_and_saveexec_b64 s[0:1], vcc
	s_cbranch_execz .LBB74_193
; %bb.111:
	s_load_dword s4, s[4:5], 0xc64
	s_and_b32 s2, s17, 0x7fffffff
	s_cmp_lg_u32 s2, 0
	v_cmp_neq_f32_e64 s[0:1], s16, 1.0
	s_cselect_b64 s[2:3], -1, 0
	s_or_b64 s[6:7], s[0:1], s[2:3]
	s_waitcnt lgkmcnt(0)
	s_and_b32 s0, s4, 0xffff
	v_add_lshl_u32 v24, v0, s0, 2
	s_lshl_b32 s15, s0, 2
	v_lshlrev_b32_e32 v26, 5, v0
	s_lshl_b32 s20, s0, 5
	s_mov_b64 s[8:9], 0
	s_mov_b64 s[10:11], 0xffff
	s_branch .LBB74_114
.LBB74_112:                             ;   in Loop: Header=BB74_114 Depth=1
	s_or_b64 exec, exec, s[0:1]
.LBB74_113:                             ;   in Loop: Header=BB74_114 Depth=1
	v_cmp_le_i64_e32 vcc, s[18:19], v[24:25]
	v_cmp_lt_u64_e64 s[0:1], s[10:11], v[24:25]
	s_or_b64 s[0:1], vcc, s[0:1]
	s_add_u32 s33, s33, s20
	s_addc_u32 s34, s34, 0
	s_add_u32 s37, s37, s20
	s_addc_u32 s38, s38, 0
	s_add_u32 s35, s35, s20
	v_add_f32_e32 v0, v0, v16
	v_add_f32_e32 v6, v6, v31
	;; [unrolled: 1-line block ×5, first 2 shown]
	s_addc_u32 s36, s36, 0
	v_add_f32_e32 v1, v1, v17
	v_add_f32_e32 v2, v2, v8
	;; [unrolled: 1-line block ×3, first 2 shown]
	global_store_dwordx4 v[28:29], v[4:7], off
	global_store_dwordx4 v[28:29], v[0:3], off offset:16
	s_and_b64 s[0:1], exec, s[0:1]
	v_mov_b32_e32 v0, s14
	v_add_co_u32_e32 v24, vcc, s15, v24
	s_or_b64 s[8:9], s[0:1], s[8:9]
	v_addc_co_u32_e32 v25, vcc, v25, v0, vcc
	s_andn2_b64 exec, exec, s[8:9]
	s_cbranch_execz .LBB74_193
.LBB74_114:                             ; =>This Inner Loop Header: Depth=1
	v_mov_b32_e32 v0, s34
	v_add_co_u32_e32 v28, vcc, s33, v26
	v_addc_co_u32_e32 v29, vcc, 0, v0, vcc
	v_mov_b32_e32 v9, s38
	v_add_co_u32_e32 v8, vcc, s37, v26
	v_addc_co_u32_e32 v9, vcc, 0, v9, vcc
	global_load_dwordx4 v[0:3], v[28:29], off offset:16
	global_load_dwordx4 v[4:7], v[28:29], off
	global_load_dwordx4 v[12:15], v[8:9], off offset:16
	global_load_dwordx4 v[20:23], v[8:9], off
	v_mov_b32_e32 v8, s36
	v_add_co_u32_e32 v30, vcc, s35, v26
	v_addc_co_u32_e32 v31, vcc, 0, v8, vcc
	global_load_dwordx4 v[8:11], v[30:31], off offset:16
	global_load_dwordx4 v[16:19], v[30:31], off
	s_and_b64 vcc, exec, s[6:7]
	s_waitcnt vmcnt(2)
	v_cmp_gt_f32_e64 s[0:1], 0, v20
	v_cndmask_b32_e64 v32, v20, -v20, s[0:1]
	v_cmp_gt_f32_e64 s[0:1], 0, v21
	v_cndmask_b32_e64 v31, v21, -v21, s[0:1]
	v_cmp_ge_f32_e64 s[0:1], v32, v31
	s_cbranch_vccz .LBB74_124
; %bb.115:                              ;   in Loop: Header=BB74_114 Depth=1
                                        ; implicit-def: $vgpr30
                                        ; implicit-def: $vgpr33
	s_and_saveexec_b64 s[2:3], s[0:1]
	s_xor_b64 s[4:5], exec, s[2:3]
	s_cbranch_execz .LBB74_121
; %bb.116:                              ;   in Loop: Header=BB74_114 Depth=1
	v_cmp_neq_f32_e32 vcc, 0, v20
	v_cmp_neq_f32_e64 s[2:3], 0, v21
	s_or_b64 s[2:3], vcc, s[2:3]
                                        ; implicit-def: $vgpr30
                                        ; implicit-def: $vgpr33
	s_and_saveexec_b64 s[12:13], s[2:3]
	s_xor_b64 s[2:3], exec, s[12:13]
	s_cbranch_execz .LBB74_118
; %bb.117:                              ;   in Loop: Header=BB74_114 Depth=1
	v_div_scale_f32 v27, s[12:13], v20, v20, v21
	v_rcp_f32_e32 v30, v27
	v_div_scale_f32 v33, vcc, v21, v20, v21
	v_fma_f32 v34, -v27, v30, 1.0
	v_fmac_f32_e32 v30, v34, v30
	v_mul_f32_e32 v34, v33, v30
	v_fma_f32 v35, -v27, v34, v33
	v_fmac_f32_e32 v34, v35, v30
	v_fma_f32 v27, -v27, v34, v33
	v_div_fmas_f32 v27, v27, v30, v34
	v_div_fixup_f32 v27, v27, v20, v21
	v_fma_f32 v30, v21, v27, v20
	v_div_scale_f32 v33, s[12:13], v30, v30, 1.0
	v_rcp_f32_e32 v34, v33
	v_fma_f32 v35, -v33, v34, 1.0
	v_fmac_f32_e32 v34, v35, v34
	v_div_scale_f32 v35, vcc, 1.0, v30, 1.0
	v_mul_f32_e32 v36, v35, v34
	v_fma_f32 v37, -v33, v36, v35
	v_fmac_f32_e32 v36, v37, v34
	v_fma_f32 v33, -v33, v36, v35
	v_div_fmas_f32 v33, v33, v34, v36
	v_div_fixup_f32 v30, v33, v30, 1.0
	s_waitcnt vmcnt(0)
	v_fma_f32 v33, v17, v27, v16
	v_fma_f32 v27, -v16, v27, v17
	v_mul_f32_e32 v33, v33, v30
	v_mul_f32_e32 v30, v27, v30
.LBB74_118:                             ;   in Loop: Header=BB74_114 Depth=1
	s_andn2_saveexec_b64 s[2:3], s[2:3]
	s_cbranch_execz .LBB74_120
; %bb.119:                              ;   in Loop: Header=BB74_114 Depth=1
	s_waitcnt vmcnt(0)
	v_div_scale_f32 v27, s[12:13], v32, v32, v16
	v_rcp_f32_e32 v30, v27
	v_div_scale_f32 v33, vcc, v16, v32, v16
	v_fma_f32 v34, -v27, v30, 1.0
	v_fmac_f32_e32 v30, v34, v30
	v_mul_f32_e32 v34, v33, v30
	v_fma_f32 v35, -v27, v34, v33
	v_fmac_f32_e32 v34, v35, v30
	v_div_scale_f32 v35, s[12:13], v31, v31, v17
	v_rcp_f32_e32 v36, v35
	v_fma_f32 v27, -v27, v34, v33
	v_div_fmas_f32 v27, v27, v30, v34
	v_div_fixup_f32 v33, v27, v32, v16
	v_fma_f32 v27, -v35, v36, 1.0
	v_fmac_f32_e32 v36, v27, v36
	v_div_scale_f32 v27, vcc, v17, v31, v17
	v_mul_f32_e32 v30, v27, v36
	v_fma_f32 v34, -v35, v30, v27
	v_fmac_f32_e32 v30, v34, v36
	v_fma_f32 v27, -v35, v30, v27
	v_div_fmas_f32 v27, v27, v36, v30
	v_div_fixup_f32 v30, v27, v31, v17
.LBB74_120:                             ;   in Loop: Header=BB74_114 Depth=1
	s_or_b64 exec, exec, s[2:3]
.LBB74_121:                             ;   in Loop: Header=BB74_114 Depth=1
	s_andn2_saveexec_b64 s[2:3], s[4:5]
	s_cbranch_execz .LBB74_123
; %bb.122:                              ;   in Loop: Header=BB74_114 Depth=1
	v_div_scale_f32 v27, s[4:5], v21, v21, v20
	v_rcp_f32_e32 v30, v27
	v_div_scale_f32 v33, vcc, v20, v21, v20
	v_fma_f32 v34, -v27, v30, 1.0
	v_fmac_f32_e32 v30, v34, v30
	v_mul_f32_e32 v34, v33, v30
	v_fma_f32 v35, -v27, v34, v33
	v_fmac_f32_e32 v34, v35, v30
	v_fma_f32 v27, -v27, v34, v33
	v_div_fmas_f32 v27, v27, v30, v34
	v_div_fixup_f32 v27, v27, v21, v20
	v_fma_f32 v30, v20, v27, v21
	v_div_scale_f32 v33, s[4:5], v30, v30, 1.0
	v_rcp_f32_e32 v34, v33
	v_fma_f32 v35, -v33, v34, 1.0
	v_fmac_f32_e32 v34, v35, v34
	v_div_scale_f32 v35, vcc, 1.0, v30, 1.0
	v_mul_f32_e32 v36, v35, v34
	v_fma_f32 v37, -v33, v36, v35
	v_fmac_f32_e32 v36, v37, v34
	v_fma_f32 v33, -v33, v36, v35
	v_div_fmas_f32 v33, v33, v34, v36
	v_div_fixup_f32 v30, v33, v30, 1.0
	s_waitcnt vmcnt(0)
	v_fma_f32 v33, v16, v27, v17
	v_fma_f32 v27, v17, v27, -v16
	v_mul_f32_e32 v33, v33, v30
	v_mul_f32_e32 v30, v27, v30
.LBB74_123:                             ;   in Loop: Header=BB74_114 Depth=1
	s_or_b64 exec, exec, s[2:3]
	v_mul_f32_e32 v27, s17, v30
	v_mul_f32_e32 v30, s16, v30
	v_fma_f32 v27, v33, s16, -v27
	v_fmac_f32_e32 v30, s17, v33
	s_branch .LBB74_134
.LBB74_124:                             ;   in Loop: Header=BB74_114 Depth=1
                                        ; implicit-def: $vgpr30
                                        ; implicit-def: $vgpr27
	s_cbranch_execz .LBB74_134
; %bb.125:                              ;   in Loop: Header=BB74_114 Depth=1
                                        ; implicit-def: $vgpr30
                                        ; implicit-def: $vgpr27
	s_and_saveexec_b64 s[2:3], s[0:1]
	s_xor_b64 s[2:3], exec, s[2:3]
	s_cbranch_execz .LBB74_131
; %bb.126:                              ;   in Loop: Header=BB74_114 Depth=1
	v_cmp_neq_f32_e32 vcc, 0, v20
	v_cmp_neq_f32_e64 s[0:1], 0, v21
	s_or_b64 s[0:1], vcc, s[0:1]
                                        ; implicit-def: $vgpr30
                                        ; implicit-def: $vgpr27
	s_and_saveexec_b64 s[4:5], s[0:1]
	s_xor_b64 s[0:1], exec, s[4:5]
	s_cbranch_execz .LBB74_128
; %bb.127:                              ;   in Loop: Header=BB74_114 Depth=1
	v_div_scale_f32 v27, s[4:5], v20, v20, v21
	v_rcp_f32_e32 v30, v27
	v_div_scale_f32 v31, vcc, v21, v20, v21
	v_fma_f32 v32, -v27, v30, 1.0
	v_fmac_f32_e32 v30, v32, v30
	v_mul_f32_e32 v32, v31, v30
	v_fma_f32 v33, -v27, v32, v31
	v_fmac_f32_e32 v32, v33, v30
	v_fma_f32 v27, -v27, v32, v31
	v_div_fmas_f32 v27, v27, v30, v32
	v_div_fixup_f32 v30, v27, v20, v21
	v_fma_f32 v27, v21, v30, v20
	v_div_scale_f32 v31, s[4:5], v27, v27, 1.0
	v_rcp_f32_e32 v32, v31
	v_fma_f32 v33, -v31, v32, 1.0
	v_fmac_f32_e32 v32, v33, v32
	v_div_scale_f32 v33, vcc, 1.0, v27, 1.0
	v_mul_f32_e32 v34, v33, v32
	v_fma_f32 v35, -v31, v34, v33
	v_fmac_f32_e32 v34, v35, v32
	v_fma_f32 v31, -v31, v34, v33
	v_div_fmas_f32 v31, v31, v32, v34
	v_div_fixup_f32 v31, v31, v27, 1.0
	s_waitcnt vmcnt(0)
	v_fma_f32 v27, v17, v30, v16
	v_fma_f32 v30, -v16, v30, v17
	v_mul_f32_e32 v27, v27, v31
	v_mul_f32_e32 v30, v30, v31
                                        ; implicit-def: $vgpr32
                                        ; implicit-def: $vgpr31
.LBB74_128:                             ;   in Loop: Header=BB74_114 Depth=1
	s_andn2_saveexec_b64 s[0:1], s[0:1]
	s_cbranch_execz .LBB74_130
; %bb.129:                              ;   in Loop: Header=BB74_114 Depth=1
	s_waitcnt vmcnt(0)
	v_div_scale_f32 v27, s[4:5], v32, v32, v16
	v_rcp_f32_e32 v30, v27
	v_div_scale_f32 v33, vcc, v16, v32, v16
	v_fma_f32 v34, -v27, v30, 1.0
	v_fmac_f32_e32 v30, v34, v30
	v_mul_f32_e32 v34, v33, v30
	v_fma_f32 v35, -v27, v34, v33
	v_fmac_f32_e32 v34, v35, v30
	v_fma_f32 v27, -v27, v34, v33
	v_div_scale_f32 v33, s[4:5], v31, v31, v17
	v_rcp_f32_e32 v35, v33
	v_div_fmas_f32 v27, v27, v30, v34
	v_div_fixup_f32 v27, v27, v32, v16
	v_fma_f32 v30, -v33, v35, 1.0
	v_fmac_f32_e32 v35, v30, v35
	v_div_scale_f32 v30, vcc, v17, v31, v17
	v_mul_f32_e32 v32, v30, v35
	v_fma_f32 v34, -v33, v32, v30
	v_fmac_f32_e32 v32, v34, v35
	v_fma_f32 v30, -v33, v32, v30
	v_div_fmas_f32 v30, v30, v35, v32
	v_div_fixup_f32 v30, v30, v31, v17
.LBB74_130:                             ;   in Loop: Header=BB74_114 Depth=1
	s_or_b64 exec, exec, s[0:1]
.LBB74_131:                             ;   in Loop: Header=BB74_114 Depth=1
	s_andn2_saveexec_b64 s[0:1], s[2:3]
	s_cbranch_execz .LBB74_133
; %bb.132:                              ;   in Loop: Header=BB74_114 Depth=1
	v_div_scale_f32 v27, s[2:3], v21, v21, v20
	v_rcp_f32_e32 v30, v27
	v_div_scale_f32 v31, vcc, v20, v21, v20
	v_fma_f32 v32, -v27, v30, 1.0
	v_fmac_f32_e32 v30, v32, v30
	v_mul_f32_e32 v32, v31, v30
	v_fma_f32 v33, -v27, v32, v31
	v_fmac_f32_e32 v32, v33, v30
	v_fma_f32 v27, -v27, v32, v31
	v_div_fmas_f32 v27, v27, v30, v32
	v_div_fixup_f32 v30, v27, v21, v20
	v_fma_f32 v20, v20, v30, v21
	v_div_scale_f32 v21, s[2:3], v20, v20, 1.0
	v_rcp_f32_e32 v27, v21
	v_fma_f32 v31, -v21, v27, 1.0
	v_fmac_f32_e32 v27, v31, v27
	v_div_scale_f32 v31, vcc, 1.0, v20, 1.0
	v_mul_f32_e32 v32, v31, v27
	v_fma_f32 v33, -v21, v32, v31
	v_fmac_f32_e32 v32, v33, v27
	v_fma_f32 v21, -v21, v32, v31
	v_div_fmas_f32 v21, v21, v27, v32
	v_div_fixup_f32 v20, v21, v20, 1.0
	s_waitcnt vmcnt(0)
	v_fma_f32 v21, v16, v30, v17
	v_fma_f32 v16, v17, v30, -v16
	v_mul_f32_e32 v27, v21, v20
	v_mul_f32_e32 v30, v16, v20
.LBB74_133:                             ;   in Loop: Header=BB74_114 Depth=1
	s_or_b64 exec, exec, s[0:1]
.LBB74_134:                             ;   in Loop: Header=BB74_114 Depth=1
	v_cmp_gt_f32_e32 vcc, 0, v22
	v_cndmask_b32_e64 v20, v22, -v22, vcc
	v_cmp_gt_f32_e32 vcc, 0, v23
	s_waitcnt vmcnt(0)
	v_cndmask_b32_e64 v16, v23, -v23, vcc
	v_cndmask_b32_e64 v17, 0, 1, s[6:7]
	v_cmp_ne_u32_e64 s[0:1], 1, v17
	s_andn2_b64 vcc, exec, s[6:7]
	v_cmp_ge_f32_e64 s[2:3], v20, v16
	s_cbranch_vccnz .LBB74_144
; %bb.135:                              ;   in Loop: Header=BB74_114 Depth=1
                                        ; implicit-def: $vgpr21
                                        ; implicit-def: $vgpr17
	s_and_saveexec_b64 s[4:5], s[2:3]
	s_xor_b64 s[12:13], exec, s[4:5]
	s_cbranch_execz .LBB74_141
; %bb.136:                              ;   in Loop: Header=BB74_114 Depth=1
	v_cmp_neq_f32_e32 vcc, 0, v22
	v_cmp_neq_f32_e64 s[4:5], 0, v23
	s_or_b64 s[4:5], vcc, s[4:5]
                                        ; implicit-def: $vgpr21
                                        ; implicit-def: $vgpr17
	s_and_saveexec_b64 s[22:23], s[4:5]
	s_xor_b64 s[4:5], exec, s[22:23]
	s_cbranch_execz .LBB74_138
; %bb.137:                              ;   in Loop: Header=BB74_114 Depth=1
	v_div_scale_f32 v17, s[22:23], v22, v22, v23
	v_rcp_f32_e32 v21, v17
	v_div_scale_f32 v31, vcc, v23, v22, v23
	v_fma_f32 v32, -v17, v21, 1.0
	v_fmac_f32_e32 v21, v32, v21
	v_mul_f32_e32 v32, v31, v21
	v_fma_f32 v33, -v17, v32, v31
	v_fmac_f32_e32 v32, v33, v21
	v_fma_f32 v17, -v17, v32, v31
	v_div_fmas_f32 v17, v17, v21, v32
	v_div_fixup_f32 v21, v17, v22, v23
	v_fma_f32 v17, v23, v21, v22
	v_div_scale_f32 v31, s[22:23], v17, v17, 1.0
	v_rcp_f32_e32 v32, v31
	v_fma_f32 v33, -v31, v32, 1.0
	v_fmac_f32_e32 v32, v33, v32
	v_div_scale_f32 v33, vcc, 1.0, v17, 1.0
	v_mul_f32_e32 v34, v33, v32
	v_fma_f32 v35, -v31, v34, v33
	v_fmac_f32_e32 v34, v35, v32
	v_fma_f32 v31, -v31, v34, v33
	v_div_fmas_f32 v31, v31, v32, v34
	v_div_fixup_f32 v31, v31, v17, 1.0
	v_fma_f32 v17, v19, v21, v18
	v_fma_f32 v21, -v18, v21, v19
	v_mul_f32_e32 v17, v17, v31
	v_mul_f32_e32 v21, v21, v31
.LBB74_138:                             ;   in Loop: Header=BB74_114 Depth=1
	s_andn2_saveexec_b64 s[4:5], s[4:5]
	s_cbranch_execz .LBB74_140
; %bb.139:                              ;   in Loop: Header=BB74_114 Depth=1
	v_div_scale_f32 v17, s[22:23], v20, v20, v18
	v_rcp_f32_e32 v21, v17
	v_div_scale_f32 v31, vcc, v18, v20, v18
	v_fma_f32 v32, -v17, v21, 1.0
	v_fmac_f32_e32 v21, v32, v21
	v_mul_f32_e32 v32, v31, v21
	v_fma_f32 v33, -v17, v32, v31
	v_fmac_f32_e32 v32, v33, v21
	v_fma_f32 v17, -v17, v32, v31
	v_div_scale_f32 v31, s[22:23], v16, v16, v19
	v_rcp_f32_e32 v33, v31
	v_div_fmas_f32 v17, v17, v21, v32
	v_div_fixup_f32 v17, v17, v20, v18
	v_fma_f32 v21, -v31, v33, 1.0
	v_fmac_f32_e32 v33, v21, v33
	v_div_scale_f32 v21, vcc, v19, v16, v19
	v_mul_f32_e32 v32, v21, v33
	v_fma_f32 v34, -v31, v32, v21
	v_fmac_f32_e32 v32, v34, v33
	v_fma_f32 v21, -v31, v32, v21
	v_div_fmas_f32 v21, v21, v33, v32
	v_div_fixup_f32 v21, v21, v16, v19
.LBB74_140:                             ;   in Loop: Header=BB74_114 Depth=1
	s_or_b64 exec, exec, s[4:5]
.LBB74_141:                             ;   in Loop: Header=BB74_114 Depth=1
	s_andn2_saveexec_b64 s[4:5], s[12:13]
	s_cbranch_execz .LBB74_143
; %bb.142:                              ;   in Loop: Header=BB74_114 Depth=1
	v_div_scale_f32 v17, s[12:13], v23, v23, v22
	v_rcp_f32_e32 v21, v17
	v_div_scale_f32 v31, vcc, v22, v23, v22
	v_fma_f32 v32, -v17, v21, 1.0
	v_fmac_f32_e32 v21, v32, v21
	v_mul_f32_e32 v32, v31, v21
	v_fma_f32 v33, -v17, v32, v31
	v_fmac_f32_e32 v32, v33, v21
	v_fma_f32 v17, -v17, v32, v31
	v_div_fmas_f32 v17, v17, v21, v32
	v_div_fixup_f32 v21, v17, v23, v22
	v_fma_f32 v17, v22, v21, v23
	v_div_scale_f32 v31, s[12:13], v17, v17, 1.0
	v_rcp_f32_e32 v32, v31
	v_fma_f32 v33, -v31, v32, 1.0
	v_fmac_f32_e32 v32, v33, v32
	v_div_scale_f32 v33, vcc, 1.0, v17, 1.0
	v_mul_f32_e32 v34, v33, v32
	v_fma_f32 v35, -v31, v34, v33
	v_fmac_f32_e32 v34, v35, v32
	v_fma_f32 v31, -v31, v34, v33
	v_div_fmas_f32 v31, v31, v32, v34
	v_div_fixup_f32 v31, v31, v17, 1.0
	v_fma_f32 v17, v18, v21, v19
	v_fma_f32 v21, v19, v21, -v18
	v_mul_f32_e32 v17, v17, v31
	v_mul_f32_e32 v21, v21, v31
.LBB74_143:                             ;   in Loop: Header=BB74_114 Depth=1
	s_or_b64 exec, exec, s[4:5]
	v_mul_f32_e32 v31, s17, v21
	v_mul_f32_e32 v32, s16, v21
	v_fma_f32 v31, v17, s16, -v31
	v_fmac_f32_e32 v32, s17, v17
	s_branch .LBB74_154
.LBB74_144:                             ;   in Loop: Header=BB74_114 Depth=1
                                        ; implicit-def: $vgpr32
                                        ; implicit-def: $vgpr31
	s_cbranch_execz .LBB74_154
; %bb.145:                              ;   in Loop: Header=BB74_114 Depth=1
                                        ; implicit-def: $vgpr32
                                        ; implicit-def: $vgpr31
	s_and_saveexec_b64 s[4:5], s[2:3]
	s_xor_b64 s[4:5], exec, s[4:5]
	s_cbranch_execz .LBB74_151
; %bb.146:                              ;   in Loop: Header=BB74_114 Depth=1
	v_cmp_neq_f32_e32 vcc, 0, v22
	v_cmp_neq_f32_e64 s[2:3], 0, v23
	s_or_b64 s[2:3], vcc, s[2:3]
                                        ; implicit-def: $vgpr32
                                        ; implicit-def: $vgpr31
	s_and_saveexec_b64 s[12:13], s[2:3]
	s_xor_b64 s[2:3], exec, s[12:13]
	s_cbranch_execz .LBB74_148
; %bb.147:                              ;   in Loop: Header=BB74_114 Depth=1
	v_div_scale_f32 v16, s[12:13], v22, v22, v23
	v_rcp_f32_e32 v17, v16
	v_div_scale_f32 v20, vcc, v23, v22, v23
	v_fma_f32 v21, -v16, v17, 1.0
	v_fmac_f32_e32 v17, v21, v17
	v_mul_f32_e32 v21, v20, v17
	v_fma_f32 v31, -v16, v21, v20
	v_fmac_f32_e32 v21, v31, v17
	v_fma_f32 v16, -v16, v21, v20
	v_div_fmas_f32 v16, v16, v17, v21
	v_div_fixup_f32 v16, v16, v22, v23
	v_fmac_f32_e32 v22, v23, v16
	v_div_scale_f32 v17, s[12:13], v22, v22, 1.0
	v_rcp_f32_e32 v20, v17
	v_fma_f32 v21, -v17, v20, 1.0
	v_fmac_f32_e32 v20, v21, v20
	v_div_scale_f32 v21, vcc, 1.0, v22, 1.0
	v_mul_f32_e32 v23, v21, v20
	v_fma_f32 v31, -v17, v23, v21
	v_fmac_f32_e32 v23, v31, v20
	v_fma_f32 v17, -v17, v23, v21
	v_div_fmas_f32 v17, v17, v20, v23
	v_div_fixup_f32 v17, v17, v22, 1.0
	v_fma_f32 v20, v19, v16, v18
	v_fma_f32 v16, -v18, v16, v19
	v_mul_f32_e32 v31, v20, v17
	v_mul_f32_e32 v32, v16, v17
                                        ; implicit-def: $vgpr16_vgpr17_vgpr18_vgpr19
                                        ; implicit-def: $vgpr20
                                        ; implicit-def: $vgpr16
.LBB74_148:                             ;   in Loop: Header=BB74_114 Depth=1
	s_andn2_saveexec_b64 s[2:3], s[2:3]
	s_cbranch_execz .LBB74_150
; %bb.149:                              ;   in Loop: Header=BB74_114 Depth=1
	v_div_scale_f32 v17, s[12:13], v20, v20, v18
	v_rcp_f32_e32 v21, v17
	v_div_scale_f32 v22, vcc, v18, v20, v18
	v_fma_f32 v23, -v17, v21, 1.0
	v_fmac_f32_e32 v21, v23, v21
	v_mul_f32_e32 v23, v22, v21
	v_fma_f32 v31, -v17, v23, v22
	v_fmac_f32_e32 v23, v31, v21
	v_fma_f32 v17, -v17, v23, v22
	v_div_scale_f32 v22, s[12:13], v16, v16, v19
	v_rcp_f32_e32 v32, v22
	v_div_fmas_f32 v17, v17, v21, v23
	v_div_fixup_f32 v31, v17, v20, v18
	v_fma_f32 v17, -v22, v32, 1.0
	v_fmac_f32_e32 v32, v17, v32
	v_div_scale_f32 v17, vcc, v19, v16, v19
	v_mul_f32_e32 v18, v17, v32
	v_fma_f32 v20, -v22, v18, v17
	v_fmac_f32_e32 v18, v20, v32
	v_fma_f32 v17, -v22, v18, v17
	v_div_fmas_f32 v17, v17, v32, v18
	v_div_fixup_f32 v32, v17, v16, v19
.LBB74_150:                             ;   in Loop: Header=BB74_114 Depth=1
	s_or_b64 exec, exec, s[2:3]
                                        ; implicit-def: $vgpr20_vgpr21_vgpr22_vgpr23
                                        ; implicit-def: $vgpr16_vgpr17_vgpr18_vgpr19
.LBB74_151:                             ;   in Loop: Header=BB74_114 Depth=1
	s_andn2_saveexec_b64 s[2:3], s[4:5]
	s_cbranch_execz .LBB74_153
; %bb.152:                              ;   in Loop: Header=BB74_114 Depth=1
	v_div_scale_f32 v16, s[4:5], v23, v23, v22
	v_rcp_f32_e32 v17, v16
	v_div_scale_f32 v20, vcc, v22, v23, v22
	v_fma_f32 v21, -v16, v17, 1.0
	v_fmac_f32_e32 v17, v21, v17
	v_mul_f32_e32 v21, v20, v17
	v_fma_f32 v31, -v16, v21, v20
	v_fmac_f32_e32 v21, v31, v17
	v_fma_f32 v16, -v16, v21, v20
	v_div_fmas_f32 v16, v16, v17, v21
	v_div_fixup_f32 v16, v16, v23, v22
	v_fmac_f32_e32 v23, v22, v16
	v_div_scale_f32 v17, s[4:5], v23, v23, 1.0
	v_rcp_f32_e32 v20, v17
	v_fma_f32 v21, -v17, v20, 1.0
	v_fmac_f32_e32 v20, v21, v20
	v_div_scale_f32 v21, vcc, 1.0, v23, 1.0
	v_mul_f32_e32 v22, v21, v20
	v_fma_f32 v31, -v17, v22, v21
	v_fmac_f32_e32 v22, v31, v20
	v_fma_f32 v17, -v17, v22, v21
	v_div_fmas_f32 v17, v17, v20, v22
	v_div_fixup_f32 v17, v17, v23, 1.0
	v_fma_f32 v20, v18, v16, v19
	v_fma_f32 v16, v19, v16, -v18
	v_mul_f32_e32 v31, v20, v17
	v_mul_f32_e32 v32, v16, v17
.LBB74_153:                             ;   in Loop: Header=BB74_114 Depth=1
	s_or_b64 exec, exec, s[2:3]
.LBB74_154:                             ;   in Loop: Header=BB74_114 Depth=1
	v_cmp_gt_f32_e32 vcc, 0, v12
	v_cndmask_b32_e64 v19, v12, -v12, vcc
	v_cmp_gt_f32_e32 vcc, 0, v13
	v_cndmask_b32_e64 v18, v13, -v13, vcc
	s_and_b64 vcc, exec, s[0:1]
	v_cmp_ge_f32_e64 s[2:3], v19, v18
	s_cbranch_vccnz .LBB74_164
; %bb.155:                              ;   in Loop: Header=BB74_114 Depth=1
                                        ; implicit-def: $vgpr17
                                        ; implicit-def: $vgpr20
	s_and_saveexec_b64 s[4:5], s[2:3]
	s_xor_b64 s[12:13], exec, s[4:5]
	s_cbranch_execz .LBB74_161
; %bb.156:                              ;   in Loop: Header=BB74_114 Depth=1
	v_cmp_neq_f32_e32 vcc, 0, v12
	v_cmp_neq_f32_e64 s[4:5], 0, v13
	s_or_b64 s[4:5], vcc, s[4:5]
                                        ; implicit-def: $vgpr17
                                        ; implicit-def: $vgpr20
	s_and_saveexec_b64 s[22:23], s[4:5]
	s_xor_b64 s[4:5], exec, s[22:23]
	s_cbranch_execz .LBB74_158
; %bb.157:                              ;   in Loop: Header=BB74_114 Depth=1
	v_div_scale_f32 v16, s[22:23], v12, v12, v13
	v_rcp_f32_e32 v17, v16
	v_div_scale_f32 v20, vcc, v13, v12, v13
	v_fma_f32 v21, -v16, v17, 1.0
	v_fmac_f32_e32 v17, v21, v17
	v_mul_f32_e32 v21, v20, v17
	v_fma_f32 v22, -v16, v21, v20
	v_fmac_f32_e32 v21, v22, v17
	v_fma_f32 v16, -v16, v21, v20
	v_div_fmas_f32 v16, v16, v17, v21
	v_div_fixup_f32 v16, v16, v12, v13
	v_fma_f32 v17, v13, v16, v12
	v_div_scale_f32 v20, s[22:23], v17, v17, 1.0
	v_rcp_f32_e32 v21, v20
	v_fma_f32 v22, -v20, v21, 1.0
	v_fmac_f32_e32 v21, v22, v21
	v_div_scale_f32 v22, vcc, 1.0, v17, 1.0
	v_mul_f32_e32 v23, v22, v21
	v_fma_f32 v33, -v20, v23, v22
	v_fmac_f32_e32 v23, v33, v21
	v_fma_f32 v20, -v20, v23, v22
	v_div_fmas_f32 v20, v20, v21, v23
	v_div_fixup_f32 v17, v20, v17, 1.0
	v_fma_f32 v20, v9, v16, v8
	v_fma_f32 v16, -v8, v16, v9
	v_mul_f32_e32 v20, v20, v17
	v_mul_f32_e32 v17, v16, v17
.LBB74_158:                             ;   in Loop: Header=BB74_114 Depth=1
	s_andn2_saveexec_b64 s[4:5], s[4:5]
	s_cbranch_execz .LBB74_160
; %bb.159:                              ;   in Loop: Header=BB74_114 Depth=1
	v_div_scale_f32 v16, s[22:23], v19, v19, v8
	v_rcp_f32_e32 v17, v16
	v_div_scale_f32 v20, vcc, v8, v19, v8
	v_fma_f32 v21, -v16, v17, 1.0
	v_fmac_f32_e32 v17, v21, v17
	v_mul_f32_e32 v21, v20, v17
	v_fma_f32 v22, -v16, v21, v20
	v_fmac_f32_e32 v21, v22, v17
	v_div_scale_f32 v22, s[22:23], v18, v18, v9
	v_rcp_f32_e32 v23, v22
	v_fma_f32 v16, -v16, v21, v20
	v_div_fmas_f32 v16, v16, v17, v21
	v_div_fixup_f32 v20, v16, v19, v8
	v_fma_f32 v16, -v22, v23, 1.0
	v_fmac_f32_e32 v23, v16, v23
	v_div_scale_f32 v16, vcc, v9, v18, v9
	v_mul_f32_e32 v17, v16, v23
	v_fma_f32 v21, -v22, v17, v16
	v_fmac_f32_e32 v17, v21, v23
	v_fma_f32 v16, -v22, v17, v16
	v_div_fmas_f32 v16, v16, v23, v17
	v_div_fixup_f32 v17, v16, v18, v9
.LBB74_160:                             ;   in Loop: Header=BB74_114 Depth=1
	s_or_b64 exec, exec, s[4:5]
.LBB74_161:                             ;   in Loop: Header=BB74_114 Depth=1
	s_andn2_saveexec_b64 s[4:5], s[12:13]
	s_cbranch_execz .LBB74_163
; %bb.162:                              ;   in Loop: Header=BB74_114 Depth=1
	v_div_scale_f32 v16, s[12:13], v13, v13, v12
	v_rcp_f32_e32 v17, v16
	v_div_scale_f32 v20, vcc, v12, v13, v12
	v_fma_f32 v21, -v16, v17, 1.0
	v_fmac_f32_e32 v17, v21, v17
	v_mul_f32_e32 v21, v20, v17
	v_fma_f32 v22, -v16, v21, v20
	v_fmac_f32_e32 v21, v22, v17
	v_fma_f32 v16, -v16, v21, v20
	v_div_fmas_f32 v16, v16, v17, v21
	v_div_fixup_f32 v16, v16, v13, v12
	v_fma_f32 v17, v12, v16, v13
	v_div_scale_f32 v20, s[12:13], v17, v17, 1.0
	v_rcp_f32_e32 v21, v20
	v_fma_f32 v22, -v20, v21, 1.0
	v_fmac_f32_e32 v21, v22, v21
	v_div_scale_f32 v22, vcc, 1.0, v17, 1.0
	v_mul_f32_e32 v23, v22, v21
	v_fma_f32 v33, -v20, v23, v22
	v_fmac_f32_e32 v23, v33, v21
	v_fma_f32 v20, -v20, v23, v22
	v_div_fmas_f32 v20, v20, v21, v23
	v_div_fixup_f32 v17, v20, v17, 1.0
	v_fma_f32 v20, v8, v16, v9
	v_fma_f32 v16, v9, v16, -v8
	v_mul_f32_e32 v20, v20, v17
	v_mul_f32_e32 v17, v16, v17
.LBB74_163:                             ;   in Loop: Header=BB74_114 Depth=1
	s_or_b64 exec, exec, s[4:5]
	v_mul_f32_e32 v16, s17, v17
	v_mul_f32_e32 v17, s16, v17
	v_fma_f32 v16, v20, s16, -v16
	v_fmac_f32_e32 v17, s17, v20
	s_branch .LBB74_174
.LBB74_164:                             ;   in Loop: Header=BB74_114 Depth=1
                                        ; implicit-def: $vgpr17
                                        ; implicit-def: $vgpr16
	s_cbranch_execz .LBB74_174
; %bb.165:                              ;   in Loop: Header=BB74_114 Depth=1
                                        ; implicit-def: $vgpr17
                                        ; implicit-def: $vgpr16
	s_and_saveexec_b64 s[4:5], s[2:3]
	s_xor_b64 s[4:5], exec, s[4:5]
	s_cbranch_execz .LBB74_171
; %bb.166:                              ;   in Loop: Header=BB74_114 Depth=1
	v_cmp_neq_f32_e32 vcc, 0, v12
	v_cmp_neq_f32_e64 s[2:3], 0, v13
	s_or_b64 s[2:3], vcc, s[2:3]
                                        ; implicit-def: $vgpr17
                                        ; implicit-def: $vgpr16
	s_and_saveexec_b64 s[12:13], s[2:3]
	s_xor_b64 s[2:3], exec, s[12:13]
	s_cbranch_execz .LBB74_168
; %bb.167:                              ;   in Loop: Header=BB74_114 Depth=1
	v_div_scale_f32 v16, s[12:13], v12, v12, v13
	v_rcp_f32_e32 v17, v16
	v_div_scale_f32 v18, vcc, v13, v12, v13
	v_fma_f32 v19, -v16, v17, 1.0
	v_fmac_f32_e32 v17, v19, v17
	v_mul_f32_e32 v19, v18, v17
	v_fma_f32 v20, -v16, v19, v18
	v_fmac_f32_e32 v19, v20, v17
	v_fma_f32 v16, -v16, v19, v18
	v_div_fmas_f32 v16, v16, v17, v19
	v_div_fixup_f32 v17, v16, v12, v13
	v_fma_f32 v16, v13, v17, v12
	v_div_scale_f32 v18, s[12:13], v16, v16, 1.0
	v_rcp_f32_e32 v19, v18
	v_fma_f32 v20, -v18, v19, 1.0
	v_fmac_f32_e32 v19, v20, v19
	v_div_scale_f32 v20, vcc, 1.0, v16, 1.0
	v_mul_f32_e32 v21, v20, v19
	v_fma_f32 v22, -v18, v21, v20
	v_fmac_f32_e32 v21, v22, v19
	v_fma_f32 v18, -v18, v21, v20
	v_div_fmas_f32 v18, v18, v19, v21
	v_div_fixup_f32 v18, v18, v16, 1.0
	v_fma_f32 v16, v9, v17, v8
	v_fma_f32 v17, -v8, v17, v9
	v_mul_f32_e32 v16, v16, v18
	v_mul_f32_e32 v17, v17, v18
                                        ; implicit-def: $vgpr19
                                        ; implicit-def: $vgpr18
.LBB74_168:                             ;   in Loop: Header=BB74_114 Depth=1
	s_andn2_saveexec_b64 s[2:3], s[2:3]
	s_cbranch_execz .LBB74_170
; %bb.169:                              ;   in Loop: Header=BB74_114 Depth=1
	v_div_scale_f32 v16, s[12:13], v19, v19, v8
	v_rcp_f32_e32 v17, v16
	v_div_scale_f32 v20, vcc, v8, v19, v8
	v_fma_f32 v21, -v16, v17, 1.0
	v_fmac_f32_e32 v17, v21, v17
	v_mul_f32_e32 v21, v20, v17
	v_fma_f32 v22, -v16, v21, v20
	v_fmac_f32_e32 v21, v22, v17
	v_fma_f32 v16, -v16, v21, v20
	v_div_scale_f32 v20, s[12:13], v18, v18, v9
	v_rcp_f32_e32 v22, v20
	v_div_fmas_f32 v16, v16, v17, v21
	v_div_fixup_f32 v16, v16, v19, v8
	v_fma_f32 v17, -v20, v22, 1.0
	v_fmac_f32_e32 v22, v17, v22
	v_div_scale_f32 v17, vcc, v9, v18, v9
	v_mul_f32_e32 v19, v17, v22
	v_fma_f32 v21, -v20, v19, v17
	v_fmac_f32_e32 v19, v21, v22
	v_fma_f32 v17, -v20, v19, v17
	v_div_fmas_f32 v17, v17, v22, v19
	v_div_fixup_f32 v17, v17, v18, v9
.LBB74_170:                             ;   in Loop: Header=BB74_114 Depth=1
	s_or_b64 exec, exec, s[2:3]
.LBB74_171:                             ;   in Loop: Header=BB74_114 Depth=1
	s_andn2_saveexec_b64 s[2:3], s[4:5]
	s_cbranch_execz .LBB74_173
; %bb.172:                              ;   in Loop: Header=BB74_114 Depth=1
	v_div_scale_f32 v16, s[4:5], v13, v13, v12
	v_rcp_f32_e32 v17, v16
	v_div_scale_f32 v18, vcc, v12, v13, v12
	v_fma_f32 v19, -v16, v17, 1.0
	v_fmac_f32_e32 v17, v19, v17
	v_mul_f32_e32 v19, v18, v17
	v_fma_f32 v20, -v16, v19, v18
	v_fmac_f32_e32 v19, v20, v17
	v_fma_f32 v16, -v16, v19, v18
	v_div_fmas_f32 v16, v16, v17, v19
	v_div_fixup_f32 v17, v16, v13, v12
	v_fma_f32 v12, v12, v17, v13
	v_div_scale_f32 v13, s[4:5], v12, v12, 1.0
	v_rcp_f32_e32 v16, v13
	v_fma_f32 v18, -v13, v16, 1.0
	v_fmac_f32_e32 v16, v18, v16
	v_div_scale_f32 v18, vcc, 1.0, v12, 1.0
	v_mul_f32_e32 v19, v18, v16
	v_fma_f32 v20, -v13, v19, v18
	v_fmac_f32_e32 v19, v20, v16
	v_fma_f32 v13, -v13, v19, v18
	v_div_fmas_f32 v13, v13, v16, v19
	v_div_fixup_f32 v12, v13, v12, 1.0
	v_fma_f32 v13, v8, v17, v9
	v_fma_f32 v8, v9, v17, -v8
	v_mul_f32_e32 v16, v13, v12
	v_mul_f32_e32 v17, v8, v12
.LBB74_173:                             ;   in Loop: Header=BB74_114 Depth=1
	s_or_b64 exec, exec, s[2:3]
.LBB74_174:                             ;   in Loop: Header=BB74_114 Depth=1
	v_cmp_gt_f32_e32 vcc, 0, v15
	v_cndmask_b32_e64 v13, v15, -v15, vcc
	v_cmp_gt_f32_e32 vcc, 0, v14
	v_cndmask_b32_e64 v18, v14, -v14, vcc
	s_and_b64 vcc, exec, s[0:1]
	v_cmp_ge_f32_e64 s[0:1], v18, v13
	s_cbranch_vccnz .LBB74_184
; %bb.175:                              ;   in Loop: Header=BB74_114 Depth=1
                                        ; implicit-def: $vgpr12
                                        ; implicit-def: $vgpr8
	s_and_saveexec_b64 s[2:3], s[0:1]
	s_xor_b64 s[4:5], exec, s[2:3]
	s_cbranch_execz .LBB74_181
; %bb.176:                              ;   in Loop: Header=BB74_114 Depth=1
	v_cmp_neq_f32_e32 vcc, 0, v14
	v_cmp_neq_f32_e64 s[2:3], 0, v15
	s_or_b64 s[2:3], vcc, s[2:3]
                                        ; implicit-def: $vgpr12
                                        ; implicit-def: $vgpr8
	s_and_saveexec_b64 s[12:13], s[2:3]
	s_xor_b64 s[2:3], exec, s[12:13]
	s_cbranch_execz .LBB74_178
; %bb.177:                              ;   in Loop: Header=BB74_114 Depth=1
	v_div_scale_f32 v8, s[12:13], v14, v14, v15
	v_rcp_f32_e32 v9, v8
	v_div_scale_f32 v12, vcc, v15, v14, v15
	v_fma_f32 v19, -v8, v9, 1.0
	v_fmac_f32_e32 v9, v19, v9
	v_mul_f32_e32 v19, v12, v9
	v_fma_f32 v20, -v8, v19, v12
	v_fmac_f32_e32 v19, v20, v9
	v_fma_f32 v8, -v8, v19, v12
	v_div_fmas_f32 v8, v8, v9, v19
	v_div_fixup_f32 v9, v8, v14, v15
	v_fma_f32 v8, v15, v9, v14
	v_div_scale_f32 v12, s[12:13], v8, v8, 1.0
	v_rcp_f32_e32 v19, v12
	v_fma_f32 v20, -v12, v19, 1.0
	v_fmac_f32_e32 v19, v20, v19
	v_div_scale_f32 v20, vcc, 1.0, v8, 1.0
	v_mul_f32_e32 v21, v20, v19
	v_fma_f32 v22, -v12, v21, v20
	v_fmac_f32_e32 v21, v22, v19
	v_fma_f32 v12, -v12, v21, v20
	v_div_fmas_f32 v12, v12, v19, v21
	v_div_fixup_f32 v12, v12, v8, 1.0
	v_fma_f32 v8, v11, v9, v10
	v_fma_f32 v9, -v10, v9, v11
	v_mul_f32_e32 v8, v8, v12
	v_mul_f32_e32 v12, v9, v12
.LBB74_178:                             ;   in Loop: Header=BB74_114 Depth=1
	s_andn2_saveexec_b64 s[2:3], s[2:3]
	s_cbranch_execz .LBB74_180
; %bb.179:                              ;   in Loop: Header=BB74_114 Depth=1
	v_div_scale_f32 v8, s[12:13], v18, v18, v10
	v_rcp_f32_e32 v9, v8
	v_div_scale_f32 v12, vcc, v10, v18, v10
	v_fma_f32 v19, -v8, v9, 1.0
	v_fmac_f32_e32 v9, v19, v9
	v_mul_f32_e32 v19, v12, v9
	v_fma_f32 v20, -v8, v19, v12
	v_fmac_f32_e32 v19, v20, v9
	v_fma_f32 v8, -v8, v19, v12
	v_div_scale_f32 v12, s[12:13], v13, v13, v11
	v_rcp_f32_e32 v20, v12
	v_div_fmas_f32 v8, v8, v9, v19
	v_div_fixup_f32 v8, v8, v18, v10
	v_fma_f32 v9, -v12, v20, 1.0
	v_fmac_f32_e32 v20, v9, v20
	v_div_scale_f32 v9, vcc, v11, v13, v11
	v_mul_f32_e32 v19, v9, v20
	v_fma_f32 v21, -v12, v19, v9
	v_fmac_f32_e32 v19, v21, v20
	v_fma_f32 v9, -v12, v19, v9
	v_div_fmas_f32 v9, v9, v20, v19
	v_div_fixup_f32 v12, v9, v13, v11
.LBB74_180:                             ;   in Loop: Header=BB74_114 Depth=1
	s_or_b64 exec, exec, s[2:3]
.LBB74_181:                             ;   in Loop: Header=BB74_114 Depth=1
	s_andn2_saveexec_b64 s[2:3], s[4:5]
	s_cbranch_execz .LBB74_183
; %bb.182:                              ;   in Loop: Header=BB74_114 Depth=1
	v_div_scale_f32 v8, s[4:5], v15, v15, v14
	v_rcp_f32_e32 v9, v8
	v_div_scale_f32 v12, vcc, v14, v15, v14
	v_fma_f32 v19, -v8, v9, 1.0
	v_fmac_f32_e32 v9, v19, v9
	v_mul_f32_e32 v19, v12, v9
	v_fma_f32 v20, -v8, v19, v12
	v_fmac_f32_e32 v19, v20, v9
	v_fma_f32 v8, -v8, v19, v12
	v_div_fmas_f32 v8, v8, v9, v19
	v_div_fixup_f32 v9, v8, v15, v14
	v_fma_f32 v8, v14, v9, v15
	v_div_scale_f32 v12, s[4:5], v8, v8, 1.0
	v_rcp_f32_e32 v19, v12
	v_fma_f32 v20, -v12, v19, 1.0
	v_fmac_f32_e32 v19, v20, v19
	v_div_scale_f32 v20, vcc, 1.0, v8, 1.0
	v_mul_f32_e32 v21, v20, v19
	v_fma_f32 v22, -v12, v21, v20
	v_fmac_f32_e32 v21, v22, v19
	v_fma_f32 v12, -v12, v21, v20
	v_div_fmas_f32 v12, v12, v19, v21
	v_div_fixup_f32 v12, v12, v8, 1.0
	v_fma_f32 v8, v10, v9, v11
	v_fma_f32 v9, v11, v9, -v10
	v_mul_f32_e32 v8, v8, v12
	v_mul_f32_e32 v12, v9, v12
.LBB74_183:                             ;   in Loop: Header=BB74_114 Depth=1
	s_or_b64 exec, exec, s[2:3]
	v_pk_mul_f32 v[22:23], v[12:13], s[16:17] op_sel_hi:[0,1]
	v_pk_mul_f32 v[20:21], v[8:9], s[16:17] op_sel_hi:[0,1]
	v_pk_fma_f32 v[8:9], v[8:9], s[16:17], v[22:23] op_sel:[0,0,1] op_sel_hi:[0,1,0]
	v_sub_f32_e32 v8, v20, v23
	s_branch .LBB74_113
.LBB74_184:                             ;   in Loop: Header=BB74_114 Depth=1
                                        ; implicit-def: $vgpr9
	s_cbranch_execz .LBB74_113
; %bb.185:                              ;   in Loop: Header=BB74_114 Depth=1
                                        ; implicit-def: $vgpr9
	s_and_saveexec_b64 s[2:3], s[0:1]
	s_xor_b64 s[2:3], exec, s[2:3]
	s_cbranch_execz .LBB74_191
; %bb.186:                              ;   in Loop: Header=BB74_114 Depth=1
	v_cmp_neq_f32_e32 vcc, 0, v14
	v_cmp_neq_f32_e64 s[0:1], 0, v15
	s_or_b64 s[0:1], vcc, s[0:1]
                                        ; implicit-def: $vgpr9
	s_and_saveexec_b64 s[4:5], s[0:1]
	s_xor_b64 s[0:1], exec, s[4:5]
	s_cbranch_execz .LBB74_188
; %bb.187:                              ;   in Loop: Header=BB74_114 Depth=1
	v_div_scale_f32 v8, s[4:5], v14, v14, v15
	v_rcp_f32_e32 v9, v8
	v_div_scale_f32 v12, vcc, v15, v14, v15
	v_fma_f32 v13, -v8, v9, 1.0
	v_fmac_f32_e32 v9, v13, v9
	v_mul_f32_e32 v13, v12, v9
	v_fma_f32 v18, -v8, v13, v12
	v_fmac_f32_e32 v13, v18, v9
	v_fma_f32 v8, -v8, v13, v12
	v_div_fmas_f32 v8, v8, v9, v13
	v_div_fixup_f32 v8, v8, v14, v15
	v_fmac_f32_e32 v14, v15, v8
	v_div_scale_f32 v9, s[4:5], v14, v14, 1.0
	v_rcp_f32_e32 v12, v9
	v_fma_f32 v13, -v9, v12, 1.0
	v_fmac_f32_e32 v12, v13, v12
	v_div_scale_f32 v13, vcc, 1.0, v14, 1.0
	v_mul_f32_e32 v15, v13, v12
	v_fma_f32 v18, -v9, v15, v13
	v_fmac_f32_e32 v15, v18, v12
	v_fma_f32 v9, -v9, v15, v13
	v_div_fmas_f32 v9, v9, v12, v15
	v_div_fixup_f32 v12, v9, v14, 1.0
	v_pk_mul_f32 v[8:9], v[10:11], v[8:9] op_sel_hi:[1,0]
	v_pk_add_f32 v[14:15], v[10:11], v[8:9] op_sel:[0,1] op_sel_hi:[1,0] neg_lo:[0,1] neg_hi:[0,1]
	v_pk_add_f32 v[8:9], v[10:11], v[8:9] op_sel:[0,1] op_sel_hi:[1,0]
	v_mov_b32_e32 v9, v15
	v_pk_mul_f32 v[8:9], v[8:9], v[12:13] op_sel_hi:[1,0]
                                        ; implicit-def: $vgpr18
                                        ; implicit-def: $vgpr10_vgpr11
                                        ; implicit-def: $vgpr13
.LBB74_188:                             ;   in Loop: Header=BB74_114 Depth=1
	s_andn2_saveexec_b64 s[0:1], s[0:1]
	s_cbranch_execz .LBB74_190
; %bb.189:                              ;   in Loop: Header=BB74_114 Depth=1
	v_div_scale_f32 v8, s[4:5], v18, v18, v10
	v_rcp_f32_e32 v9, v8
	v_div_scale_f32 v12, vcc, v10, v18, v10
	v_fma_f32 v14, -v8, v9, 1.0
	v_fmac_f32_e32 v9, v14, v9
	v_mul_f32_e32 v14, v12, v9
	v_fma_f32 v15, -v8, v14, v12
	v_fmac_f32_e32 v14, v15, v9
	v_fma_f32 v8, -v8, v14, v12
	v_div_scale_f32 v12, s[4:5], v13, v13, v11
	v_rcp_f32_e32 v15, v12
	v_div_fmas_f32 v8, v8, v9, v14
	v_div_fixup_f32 v8, v8, v18, v10
	v_fma_f32 v9, -v12, v15, 1.0
	v_fmac_f32_e32 v15, v9, v15
	v_div_scale_f32 v9, vcc, v11, v13, v11
	v_mul_f32_e32 v10, v9, v15
	v_fma_f32 v14, -v12, v10, v9
	v_fmac_f32_e32 v10, v14, v15
	v_fma_f32 v9, -v12, v10, v9
	v_div_fmas_f32 v9, v9, v15, v10
	v_div_fixup_f32 v9, v9, v13, v11
.LBB74_190:                             ;   in Loop: Header=BB74_114 Depth=1
	s_or_b64 exec, exec, s[0:1]
                                        ; implicit-def: $vgpr12_vgpr13_vgpr14_vgpr15
                                        ; implicit-def: $vgpr10_vgpr11
.LBB74_191:                             ;   in Loop: Header=BB74_114 Depth=1
	s_andn2_saveexec_b64 s[0:1], s[2:3]
	s_cbranch_execz .LBB74_112
; %bb.192:                              ;   in Loop: Header=BB74_114 Depth=1
	v_div_scale_f32 v8, s[2:3], v15, v15, v14
	v_rcp_f32_e32 v9, v8
	v_div_scale_f32 v12, vcc, v14, v15, v14
	v_fma_f32 v13, -v8, v9, 1.0
	v_fmac_f32_e32 v9, v13, v9
	v_mul_f32_e32 v13, v12, v9
	v_fma_f32 v18, -v8, v13, v12
	v_fmac_f32_e32 v13, v18, v9
	v_fma_f32 v8, -v8, v13, v12
	v_div_fmas_f32 v8, v8, v9, v13
	v_div_fixup_f32 v8, v8, v15, v14
	v_fmac_f32_e32 v15, v14, v8
	v_div_scale_f32 v9, s[2:3], v15, v15, 1.0
	v_rcp_f32_e32 v12, v9
	v_fma_f32 v13, -v9, v12, 1.0
	v_fmac_f32_e32 v12, v13, v12
	v_div_scale_f32 v13, vcc, 1.0, v15, 1.0
	v_mul_f32_e32 v14, v13, v12
	v_fma_f32 v18, -v9, v14, v13
	v_fmac_f32_e32 v14, v18, v12
	v_fma_f32 v9, -v9, v14, v13
	v_div_fmas_f32 v9, v9, v12, v14
	v_div_fixup_f32 v12, v9, v15, 1.0
	v_pk_fma_f32 v[14:15], v[10:11], v[8:9], v[10:11] op_sel:[0,0,1] op_sel_hi:[1,0,0] neg_lo:[0,0,1] neg_hi:[0,0,1]
	v_pk_fma_f32 v[8:9], v[10:11], v[8:9], v[10:11] op_sel:[0,0,1] op_sel_hi:[1,0,0]
	v_mov_b32_e32 v9, v15
	v_pk_mul_f32 v[8:9], v[8:9], v[12:13] op_sel_hi:[1,0]
	s_branch .LBB74_112
.LBB74_193:
	s_endpgm
	.section	.rodata,"a",@progbits
	.p2align	6, 0x0
	.amdhsa_kernel _ZN2at6native12_GLOBAL__N_125multi_tensor_apply_kernelINS1_18TensorListMetadataILi3EEENS1_24PointwiseOpScalarFunctorIN3c107complexIfEELi3ELi3ELi0EEEJSt7dividesIS8_ES8_EEEvT_T0_DpT1_
		.amdhsa_group_segment_fixed_size 0
		.amdhsa_private_segment_fixed_size 0
		.amdhsa_kernarg_size 3416
		.amdhsa_user_sgpr_count 6
		.amdhsa_user_sgpr_private_segment_buffer 1
		.amdhsa_user_sgpr_dispatch_ptr 0
		.amdhsa_user_sgpr_queue_ptr 0
		.amdhsa_user_sgpr_kernarg_segment_ptr 1
		.amdhsa_user_sgpr_dispatch_id 0
		.amdhsa_user_sgpr_flat_scratch_init 0
		.amdhsa_user_sgpr_kernarg_preload_length 0
		.amdhsa_user_sgpr_kernarg_preload_offset 0
		.amdhsa_user_sgpr_private_segment_size 0
		.amdhsa_uses_dynamic_stack 0
		.amdhsa_system_sgpr_private_segment_wavefront_offset 0
		.amdhsa_system_sgpr_workgroup_id_x 1
		.amdhsa_system_sgpr_workgroup_id_y 0
		.amdhsa_system_sgpr_workgroup_id_z 0
		.amdhsa_system_sgpr_workgroup_info 0
		.amdhsa_system_vgpr_workitem_id 0
		.amdhsa_next_free_vgpr 64
		.amdhsa_next_free_sgpr 44
		.amdhsa_accum_offset 64
		.amdhsa_reserve_vcc 1
		.amdhsa_reserve_flat_scratch 0
		.amdhsa_float_round_mode_32 0
		.amdhsa_float_round_mode_16_64 0
		.amdhsa_float_denorm_mode_32 3
		.amdhsa_float_denorm_mode_16_64 3
		.amdhsa_dx10_clamp 1
		.amdhsa_ieee_mode 1
		.amdhsa_fp16_overflow 0
		.amdhsa_tg_split 0
		.amdhsa_exception_fp_ieee_invalid_op 0
		.amdhsa_exception_fp_denorm_src 0
		.amdhsa_exception_fp_ieee_div_zero 0
		.amdhsa_exception_fp_ieee_overflow 0
		.amdhsa_exception_fp_ieee_underflow 0
		.amdhsa_exception_fp_ieee_inexact 0
		.amdhsa_exception_int_div_zero 0
	.end_amdhsa_kernel
	.section	.text._ZN2at6native12_GLOBAL__N_125multi_tensor_apply_kernelINS1_18TensorListMetadataILi3EEENS1_24PointwiseOpScalarFunctorIN3c107complexIfEELi3ELi3ELi0EEEJSt7dividesIS8_ES8_EEEvT_T0_DpT1_,"axG",@progbits,_ZN2at6native12_GLOBAL__N_125multi_tensor_apply_kernelINS1_18TensorListMetadataILi3EEENS1_24PointwiseOpScalarFunctorIN3c107complexIfEELi3ELi3ELi0EEEJSt7dividesIS8_ES8_EEEvT_T0_DpT1_,comdat
.Lfunc_end74:
	.size	_ZN2at6native12_GLOBAL__N_125multi_tensor_apply_kernelINS1_18TensorListMetadataILi3EEENS1_24PointwiseOpScalarFunctorIN3c107complexIfEELi3ELi3ELi0EEEJSt7dividesIS8_ES8_EEEvT_T0_DpT1_, .Lfunc_end74-_ZN2at6native12_GLOBAL__N_125multi_tensor_apply_kernelINS1_18TensorListMetadataILi3EEENS1_24PointwiseOpScalarFunctorIN3c107complexIfEELi3ELi3ELi0EEEJSt7dividesIS8_ES8_EEEvT_T0_DpT1_
                                        ; -- End function
	.section	.AMDGPU.csdata,"",@progbits
; Kernel info:
; codeLenInByte = 11412
; NumSgprs: 48
; NumVgprs: 64
; NumAgprs: 0
; TotalNumVgprs: 64
; ScratchSize: 0
; MemoryBound: 1
; FloatMode: 240
; IeeeMode: 1
; LDSByteSize: 0 bytes/workgroup (compile time only)
; SGPRBlocks: 5
; VGPRBlocks: 7
; NumSGPRsForWavesPerEU: 48
; NumVGPRsForWavesPerEU: 64
; AccumOffset: 64
; Occupancy: 8
; WaveLimiterHint : 0
; COMPUTE_PGM_RSRC2:SCRATCH_EN: 0
; COMPUTE_PGM_RSRC2:USER_SGPR: 6
; COMPUTE_PGM_RSRC2:TRAP_HANDLER: 0
; COMPUTE_PGM_RSRC2:TGID_X_EN: 1
; COMPUTE_PGM_RSRC2:TGID_Y_EN: 0
; COMPUTE_PGM_RSRC2:TGID_Z_EN: 0
; COMPUTE_PGM_RSRC2:TIDIG_COMP_CNT: 0
; COMPUTE_PGM_RSRC3_GFX90A:ACCUM_OFFSET: 15
; COMPUTE_PGM_RSRC3_GFX90A:TG_SPLIT: 0
	.section	.text._ZN2at6native12_GLOBAL__N_125multi_tensor_apply_kernelINS1_18TensorListMetadataILi3EEENS1_24PointwiseOpScalarFunctorIN3c104HalfELi3ELi3ELi0EEEJSt7dividesIfEfEEEvT_T0_DpT1_,"axG",@progbits,_ZN2at6native12_GLOBAL__N_125multi_tensor_apply_kernelINS1_18TensorListMetadataILi3EEENS1_24PointwiseOpScalarFunctorIN3c104HalfELi3ELi3ELi0EEEJSt7dividesIfEfEEEvT_T0_DpT1_,comdat
	.globl	_ZN2at6native12_GLOBAL__N_125multi_tensor_apply_kernelINS1_18TensorListMetadataILi3EEENS1_24PointwiseOpScalarFunctorIN3c104HalfELi3ELi3ELi0EEEJSt7dividesIfEfEEEvT_T0_DpT1_ ; -- Begin function _ZN2at6native12_GLOBAL__N_125multi_tensor_apply_kernelINS1_18TensorListMetadataILi3EEENS1_24PointwiseOpScalarFunctorIN3c104HalfELi3ELi3ELi0EEEJSt7dividesIfEfEEEvT_T0_DpT1_
	.p2align	8
	.type	_ZN2at6native12_GLOBAL__N_125multi_tensor_apply_kernelINS1_18TensorListMetadataILi3EEENS1_24PointwiseOpScalarFunctorIN3c104HalfELi3ELi3ELi0EEEJSt7dividesIfEfEEEvT_T0_DpT1_,@function
_ZN2at6native12_GLOBAL__N_125multi_tensor_apply_kernelINS1_18TensorListMetadataILi3EEENS1_24PointwiseOpScalarFunctorIN3c104HalfELi3ELi3ELi0EEEJSt7dividesIfEfEEEvT_T0_DpT1_: ; @_ZN2at6native12_GLOBAL__N_125multi_tensor_apply_kernelINS1_18TensorListMetadataILi3EEENS1_24PointwiseOpScalarFunctorIN3c104HalfELi3ELi3ELi0EEEJSt7dividesIfEfEEEvT_T0_DpT1_
; %bb.0:
	v_mov_b32_e32 v1, s6
	global_load_ubyte v1, v1, s[4:5] offset:1536
	s_load_dword s12, s[4:5], 0xc4c
	s_add_u32 s0, s4, s6
	s_mul_hi_u32 s2, s6, 3
	s_mul_i32 s6, s6, 3
	s_addc_u32 s7, s5, 0
	s_add_u32 s6, s0, s6
	s_addc_u32 s7, s7, s2
	s_load_dword s6, s[6:7], 0x740
	s_mov_b32 s1, 0
	s_mov_b32 s3, s1
	s_waitcnt lgkmcnt(0)
	s_ashr_i32 s7, s6, 31
	s_lshl_b64 s[22:23], s[6:7], 17
	s_waitcnt vmcnt(0)
	v_readfirstlane_b32 s0, v1
	s_lshl_b32 s0, s0, 3
	s_load_dwordx2 s[14:15], s[4:5], s0 offset:0x0
	s_load_dwordx2 s[16:17], s[4:5], s0 offset:0x180
	;; [unrolled: 1-line block ×4, first 2 shown]
	s_waitcnt lgkmcnt(0)
	s_and_b32 s0, s14, 7
	s_add_u32 s2, s16, s22
	s_or_b32 s2, s18, s2
	s_and_b32 s2, s2, 7
	s_cmp_eq_u32 s2, 0
	s_cselect_b64 s[10:11], -1, 0
	s_lshl_b64 s[6:7], s[6:7], 16
	s_sub_u32 s20, s8, s6
	s_subb_u32 s21, s9, s7
	s_and_b32 s2, s8, 3
	s_or_b64 s[0:1], s[0:1], s[2:3]
	s_cmp_eq_u64 s[0:1], 0
	s_cselect_b64 s[0:1], -1, 0
	s_and_b64 s[2:3], s[10:11], s[0:1]
	s_mov_b64 s[0:1], -1
	s_and_b64 vcc, exec, s[2:3]
	s_cbranch_vccnz .LBB75_29
; %bb.1:
	v_cmp_lt_i64_e64 s[0:1], s[20:21], 1
	s_and_b64 vcc, exec, s[0:1]
	s_cbranch_vccnz .LBB75_28
; %bb.2:
	s_load_dword s0, s[4:5], 0xc5c
	v_mov_b32_e32 v2, 0x10000
	v_mov_b32_e32 v3, 0
	v_cmp_lt_u64_e32 vcc, s[20:21], v[2:3]
	v_lshlrev_b32_e32 v14, 1, v0
	s_waitcnt lgkmcnt(0)
	s_and_b32 s6, s0, 0xffff
	s_and_b64 s[0:1], vcc, exec
	v_mov_b32_e32 v19, s15
	v_add_co_u32_e32 v2, vcc, s14, v14
	v_addc_co_u32_e32 v1, vcc, 0, v19, vcc
	v_mov_b32_e32 v21, s17
	v_add_co_u32_e32 v4, vcc, s16, v14
	v_addc_co_u32_e32 v3, vcc, 0, v21, vcc
	v_mov_b32_e32 v15, 0
	v_mov_b32_e32 v23, s19
	v_add_co_u32_e32 v6, vcc, s18, v14
	v_addc_co_u32_e32 v5, vcc, 0, v23, vcc
	v_mad_u64_u32 v[12:13], s[2:3], s6, 6, v[14:15]
	v_add_co_u32_e32 v8, vcc, s14, v12
	v_addc_co_u32_e32 v7, vcc, v19, v13, vcc
	v_add_co_u32_e32 v10, vcc, s16, v12
	v_addc_co_u32_e32 v9, vcc, v21, v13, vcc
	v_add_co_u32_e32 v12, vcc, s18, v12
	s_mul_i32 s8, s6, 3
	v_addc_co_u32_e32 v11, vcc, v23, v13, vcc
	s_cselect_b32 s25, s21, 0
	s_cselect_b32 s24, s20, 0x10000
	s_lshl_b32 s30, s6, 2
	v_add_co_u32_e32 v25, vcc, s8, v0
	v_addc_co_u32_e64 v26, s[2:3], 0, 0, vcc
	v_add_co_u32_e32 v17, vcc, s30, v14
	v_addc_co_u32_e64 v20, s[2:3], 0, 0, vcc
	v_add_co_u32_e32 v14, vcc, s14, v17
	v_addc_co_u32_e32 v13, vcc, v19, v20, vcc
	v_add_co_u32_e32 v16, vcc, s16, v17
	v_addc_co_u32_e32 v15, vcc, v21, v20, vcc
	v_add_co_u32_e32 v18, vcc, s18, v17
	s_lshl_b32 s7, s6, 1
	v_addc_co_u32_e32 v17, vcc, v23, v20, vcc
	v_add_co_u32_e32 v27, vcc, s7, v0
	v_addc_co_u32_e64 v28, s[2:3], 0, 0, vcc
	v_add_co_u32_e32 v29, vcc, s6, v0
	v_lshlrev_b32_e32 v24, 1, v29
	v_addc_co_u32_e64 v30, s[2:3], 0, 0, vcc
	v_add_co_u32_e32 v20, vcc, s14, v24
	v_addc_co_u32_e32 v19, vcc, 0, v19, vcc
	v_add_co_u32_e32 v22, vcc, s16, v24
	v_addc_co_u32_e32 v21, vcc, 0, v21, vcc
	v_add_co_u32_e32 v24, vcc, s18, v24
	s_mov_b32 s13, 0
	v_cmp_eq_f32_e64 s[0:1], s12, 1.0
	s_lshl_b32 s31, s6, 3
	v_addc_co_u32_e32 v23, vcc, 0, v23, vcc
	s_mov_b64 s[26:27], 0
	s_branch .LBB75_4
.LBB75_3:                               ;   in Loop: Header=BB75_4 Depth=1
	s_or_b64 exec, exec, s[2:3]
	s_add_u32 s26, s26, s30
	s_addc_u32 s27, s27, 0
	s_waitcnt vmcnt(1)
	v_pk_mov_b32 v[32:33], s[20:21], s[20:21] op_sel:[0,1]
	v_cmp_lt_i64_e32 vcc, s[26:27], v[32:33]
	v_mov_b32_e32 v32, 0x10000
	v_mov_b32_e32 v33, 0
	v_cmp_lt_u64_e64 s[2:3], s[26:27], v[32:33]
	s_and_b64 s[2:3], vcc, s[2:3]
	v_mov_b32_e32 v31, s13
	v_add_co_u32_e32 v2, vcc, s31, v2
	v_addc_co_u32_e32 v1, vcc, v1, v31, vcc
	v_add_co_u32_e32 v4, vcc, s31, v4
	v_addc_co_u32_e32 v3, vcc, v3, v31, vcc
	;; [unrolled: 2-line block ×12, first 2 shown]
	s_and_b64 vcc, exec, s[2:3]
	s_cbranch_vccz .LBB75_28
.LBB75_4:                               ; =>This Inner Loop Header: Depth=1
	v_mov_b32_e32 v31, s27
	v_add_co_u32_e32 v32, vcc, s26, v0
	v_addc_co_u32_e32 v33, vcc, 0, v31, vcc
	v_cmp_gt_u64_e32 vcc, s[24:25], v[32:33]
	v_mov_b32_e32 v32, 0
	s_waitcnt vmcnt(0)
	v_mov_b32_e32 v35, 0
	s_and_saveexec_b64 s[6:7], vcc
	s_cbranch_execz .LBB75_6
; %bb.5:                                ;   in Loop: Header=BB75_4 Depth=1
	v_mov_b32_e32 v31, s23
	v_add_co_u32_e64 v36, s[2:3], s22, v2
	v_addc_co_u32_e64 v37, s[2:3], v1, v31, s[2:3]
	v_add_co_u32_e64 v38, s[2:3], s22, v4
	v_addc_co_u32_e64 v39, s[2:3], v3, v31, s[2:3]
	global_load_ushort v32, v[36:37], off
	global_load_ushort v35, v[38:39], off
.LBB75_6:                               ;   in Loop: Header=BB75_4 Depth=1
	s_or_b64 exec, exec, s[6:7]
	v_mov_b32_e32 v31, 0
	v_mov_b32_e32 v37, 0
	s_and_saveexec_b64 s[6:7], vcc
	s_cbranch_execz .LBB75_8
; %bb.7:                                ;   in Loop: Header=BB75_4 Depth=1
	v_mov_b32_e32 v33, s23
	v_add_co_u32_e64 v36, s[2:3], s22, v6
	v_addc_co_u32_e64 v37, s[2:3], v5, v33, s[2:3]
	global_load_ushort v37, v[36:37], off
.LBB75_8:                               ;   in Loop: Header=BB75_4 Depth=1
	s_or_b64 exec, exec, s[6:7]
	v_mov_b32_e32 v33, s27
	v_add_co_u32_e64 v38, s[2:3], s26, v29
	v_addc_co_u32_e64 v39, s[2:3], v30, v33, s[2:3]
	v_cmp_gt_u64_e64 s[2:3], s[24:25], v[38:39]
	v_mov_b32_e32 v36, 0
	s_and_saveexec_b64 s[8:9], s[2:3]
	s_cbranch_execz .LBB75_10
; %bb.9:                                ;   in Loop: Header=BB75_4 Depth=1
	v_mov_b32_e32 v31, s23
	v_add_co_u32_e64 v38, s[6:7], s22, v20
	v_addc_co_u32_e64 v39, s[6:7], v19, v31, s[6:7]
	v_add_co_u32_e64 v40, s[6:7], s22, v22
	v_addc_co_u32_e64 v41, s[6:7], v21, v31, s[6:7]
	global_load_ushort v31, v[38:39], off
	global_load_ushort v36, v[40:41], off
.LBB75_10:                              ;   in Loop: Header=BB75_4 Depth=1
	s_or_b64 exec, exec, s[8:9]
	v_mov_b32_e32 v33, 0
	v_mov_b32_e32 v39, 0
	s_and_saveexec_b64 s[8:9], s[2:3]
	s_cbranch_execz .LBB75_12
; %bb.11:                               ;   in Loop: Header=BB75_4 Depth=1
	v_mov_b32_e32 v34, s23
	v_add_co_u32_e64 v38, s[6:7], s22, v24
	v_addc_co_u32_e64 v39, s[6:7], v23, v34, s[6:7]
	global_load_ushort v39, v[38:39], off
.LBB75_12:                              ;   in Loop: Header=BB75_4 Depth=1
	s_or_b64 exec, exec, s[8:9]
	v_mov_b32_e32 v34, s27
	v_add_co_u32_e64 v40, s[6:7], s26, v27
	v_addc_co_u32_e64 v41, s[6:7], v28, v34, s[6:7]
	v_cmp_gt_u64_e64 s[6:7], s[24:25], v[40:41]
	v_mov_b32_e32 v38, 0
	s_and_saveexec_b64 s[10:11], s[6:7]
	s_cbranch_execz .LBB75_14
; %bb.13:                               ;   in Loop: Header=BB75_4 Depth=1
	v_mov_b32_e32 v33, s23
	v_add_co_u32_e64 v40, s[8:9], s22, v14
	v_addc_co_u32_e64 v41, s[8:9], v13, v33, s[8:9]
	v_add_co_u32_e64 v42, s[8:9], s22, v16
	v_addc_co_u32_e64 v43, s[8:9], v15, v33, s[8:9]
	global_load_ushort v33, v[40:41], off
	global_load_ushort v38, v[42:43], off
.LBB75_14:                              ;   in Loop: Header=BB75_4 Depth=1
	s_or_b64 exec, exec, s[10:11]
	v_mov_b32_e32 v34, 0
	v_mov_b32_e32 v41, 0
	s_and_saveexec_b64 s[10:11], s[6:7]
	s_cbranch_execz .LBB75_16
; %bb.15:                               ;   in Loop: Header=BB75_4 Depth=1
	v_mov_b32_e32 v41, s23
	v_add_co_u32_e64 v40, s[8:9], s22, v18
	v_addc_co_u32_e64 v41, s[8:9], v17, v41, s[8:9]
	global_load_ushort v41, v[40:41], off
.LBB75_16:                              ;   in Loop: Header=BB75_4 Depth=1
	s_or_b64 exec, exec, s[10:11]
	v_mov_b32_e32 v40, s27
	v_add_co_u32_e64 v42, s[8:9], s26, v25
	v_addc_co_u32_e64 v43, s[8:9], v26, v40, s[8:9]
	v_cmp_gt_u64_e64 s[8:9], s[24:25], v[42:43]
	v_mov_b32_e32 v40, 0
	s_and_saveexec_b64 s[28:29], s[8:9]
	s_cbranch_execnz .LBB75_22
; %bb.17:                               ;   in Loop: Header=BB75_4 Depth=1
	s_or_b64 exec, exec, s[28:29]
	v_mov_b32_e32 v42, 0
	s_and_saveexec_b64 s[28:29], s[8:9]
	s_cbranch_execnz .LBB75_23
.LBB75_18:                              ;   in Loop: Header=BB75_4 Depth=1
	s_or_b64 exec, exec, s[28:29]
	s_and_saveexec_b64 s[10:11], vcc
	s_cbranch_execnz .LBB75_24
.LBB75_19:                              ;   in Loop: Header=BB75_4 Depth=1
	s_or_b64 exec, exec, s[10:11]
	s_and_saveexec_b64 s[10:11], s[2:3]
	s_cbranch_execnz .LBB75_25
.LBB75_20:                              ;   in Loop: Header=BB75_4 Depth=1
	s_or_b64 exec, exec, s[10:11]
	s_and_saveexec_b64 s[2:3], s[6:7]
	s_cbranch_execnz .LBB75_26
.LBB75_21:                              ;   in Loop: Header=BB75_4 Depth=1
	s_or_b64 exec, exec, s[2:3]
	s_and_saveexec_b64 s[2:3], s[8:9]
	s_cbranch_execz .LBB75_3
	s_branch .LBB75_27
.LBB75_22:                              ;   in Loop: Header=BB75_4 Depth=1
	v_mov_b32_e32 v34, s23
	v_add_co_u32_e64 v42, s[10:11], s22, v8
	v_addc_co_u32_e64 v43, s[10:11], v7, v34, s[10:11]
	v_add_co_u32_e64 v44, s[10:11], s22, v10
	v_addc_co_u32_e64 v45, s[10:11], v9, v34, s[10:11]
	global_load_ushort v34, v[42:43], off
	global_load_ushort v40, v[44:45], off
	s_or_b64 exec, exec, s[28:29]
	v_mov_b32_e32 v42, 0
	s_and_saveexec_b64 s[28:29], s[8:9]
	s_cbranch_execz .LBB75_18
.LBB75_23:                              ;   in Loop: Header=BB75_4 Depth=1
	v_mov_b32_e32 v43, s23
	v_add_co_u32_e64 v42, s[10:11], s22, v12
	v_addc_co_u32_e64 v43, s[10:11], v11, v43, s[10:11]
	global_load_ushort v42, v[42:43], off
	s_or_b64 exec, exec, s[28:29]
	s_and_saveexec_b64 s[10:11], vcc
	s_cbranch_execz .LBB75_19
.LBB75_24:                              ;   in Loop: Header=BB75_4 Depth=1
	s_waitcnt vmcnt(0)
	v_cvt_f32_f16_e32 v35, v35
	v_cvt_f32_f16_e32 v37, v37
	;; [unrolled: 1-line block ×3, first 2 shown]
	v_mov_b32_e32 v43, s23
	v_div_scale_f32 v44, s[28:29], v37, v37, v35
	v_rcp_f32_e32 v45, v44
	v_div_scale_f32 v47, vcc, v35, v37, v35
	v_fma_f32 v48, -v44, v45, 1.0
	v_fmac_f32_e32 v45, v48, v45
	v_mul_f32_e32 v48, v47, v45
	v_fma_f32 v49, -v44, v48, v47
	v_fmac_f32_e32 v48, v49, v45
	v_fma_f32 v44, -v44, v48, v47
	v_div_fmas_f32 v44, v44, v45, v48
	v_div_fixup_f32 v35, v44, v37, v35
	v_add_f32_e32 v37, v35, v46
	v_fma_mix_f32 v32, s12, v35, v32 op_sel_hi:[0,0,1]
	v_cndmask_b32_e64 v32, v32, v37, s[0:1]
	v_cvt_f16_f32_e32 v32, v32
	v_add_co_u32_e32 v44, vcc, s22, v2
	v_addc_co_u32_e32 v45, vcc, v1, v43, vcc
	global_store_short v[44:45], v32, off
	s_or_b64 exec, exec, s[10:11]
	s_and_saveexec_b64 s[10:11], s[2:3]
	s_cbranch_execz .LBB75_20
.LBB75_25:                              ;   in Loop: Header=BB75_4 Depth=1
	s_waitcnt vmcnt(0)
	v_cvt_f32_f16_e32 v32, v36
	v_cvt_f32_f16_e32 v35, v39
	;; [unrolled: 1-line block ×3, first 2 shown]
	v_div_scale_f32 v36, s[2:3], v35, v35, v32
	v_rcp_f32_e32 v37, v36
	v_div_scale_f32 v43, vcc, v32, v35, v32
	v_fma_f32 v44, -v36, v37, 1.0
	v_fmac_f32_e32 v37, v44, v37
	v_mul_f32_e32 v44, v43, v37
	v_fma_f32 v45, -v36, v44, v43
	v_fmac_f32_e32 v44, v45, v37
	v_fma_f32 v36, -v36, v44, v43
	v_div_fmas_f32 v36, v36, v37, v44
	v_div_fixup_f32 v32, v36, v35, v32
	v_add_f32_e32 v35, v32, v39
	v_fma_mix_f32 v31, s12, v32, v31 op_sel_hi:[0,0,1]
	v_cndmask_b32_e64 v31, v31, v35, s[0:1]
	v_cvt_f16_f32_e32 v31, v31
	v_mov_b32_e32 v32, s23
	v_add_co_u32_e32 v36, vcc, s22, v20
	v_addc_co_u32_e32 v37, vcc, v19, v32, vcc
	global_store_short v[36:37], v31, off
	s_or_b64 exec, exec, s[10:11]
	s_and_saveexec_b64 s[2:3], s[6:7]
	s_cbranch_execz .LBB75_21
.LBB75_26:                              ;   in Loop: Header=BB75_4 Depth=1
	s_waitcnt vmcnt(0)
	v_cvt_f32_f16_e32 v31, v38
	v_cvt_f32_f16_e32 v32, v41
	;; [unrolled: 1-line block ×3, first 2 shown]
	v_div_scale_f32 v35, s[6:7], v32, v32, v31
	v_rcp_f32_e32 v36, v35
	v_div_scale_f32 v38, vcc, v31, v32, v31
	v_fma_f32 v39, -v35, v36, 1.0
	v_fmac_f32_e32 v36, v39, v36
	v_mul_f32_e32 v39, v38, v36
	v_fma_f32 v41, -v35, v39, v38
	v_fmac_f32_e32 v39, v41, v36
	v_fma_f32 v35, -v35, v39, v38
	v_div_fmas_f32 v35, v35, v36, v39
	v_div_fixup_f32 v31, v35, v32, v31
	v_add_f32_e32 v32, v31, v37
	v_fma_mix_f32 v31, s12, v31, v33 op_sel_hi:[0,0,1]
	v_cndmask_b32_e64 v31, v31, v32, s[0:1]
	v_cvt_f16_f32_e32 v31, v31
	v_mov_b32_e32 v33, s23
	v_add_co_u32_e32 v32, vcc, s22, v14
	v_addc_co_u32_e32 v33, vcc, v13, v33, vcc
	global_store_short v[32:33], v31, off
	s_or_b64 exec, exec, s[2:3]
	s_and_saveexec_b64 s[2:3], s[8:9]
	s_cbranch_execz .LBB75_3
.LBB75_27:                              ;   in Loop: Header=BB75_4 Depth=1
	s_waitcnt vmcnt(0)
	v_cvt_f32_f16_e32 v31, v40
	v_cvt_f32_f16_e32 v32, v42
	;; [unrolled: 1-line block ×3, first 2 shown]
	v_div_scale_f32 v33, s[6:7], v32, v32, v31
	v_rcp_f32_e32 v35, v33
	v_div_scale_f32 v37, vcc, v31, v32, v31
	v_fma_f32 v38, -v33, v35, 1.0
	v_fmac_f32_e32 v35, v38, v35
	v_mul_f32_e32 v38, v37, v35
	v_fma_f32 v39, -v33, v38, v37
	v_fmac_f32_e32 v38, v39, v35
	v_fma_f32 v33, -v33, v38, v37
	v_div_fmas_f32 v33, v33, v35, v38
	v_div_fixup_f32 v31, v33, v32, v31
	v_add_f32_e32 v32, v31, v36
	v_fma_mix_f32 v31, s12, v31, v34 op_sel_hi:[0,0,1]
	v_cndmask_b32_e64 v31, v31, v32, s[0:1]
	v_cvt_f16_f32_e32 v31, v31
	v_mov_b32_e32 v33, s23
	v_add_co_u32_e32 v32, vcc, s22, v8
	v_addc_co_u32_e32 v33, vcc, v7, v33, vcc
	global_store_short v[32:33], v31, off
	s_branch .LBB75_3
.LBB75_28:
	s_mov_b64 s[0:1], 0
.LBB75_29:
	s_andn2_b64 vcc, exec, s[0:1]
	s_cbranch_vccnz .LBB75_33
; %bb.30:
	v_mov_b32_e32 v3, 0
	v_lshlrev_b32_e32 v2, 2, v0
	s_mov_b32 s2, 0
	v_cmp_gt_i64_e32 vcc, s[20:21], v[2:3]
	s_and_saveexec_b64 s[0:1], vcc
	s_cbranch_execz .LBB75_33
; %bb.31:
	s_load_dword s3, s[4:5], 0xc5c
	v_lshlrev_b32_e32 v1, 3, v0
	v_mov_b32_e32 v2, s23
	v_add_co_u32_e32 v4, vcc, s22, v1
	s_waitcnt lgkmcnt(0)
	s_and_b32 s3, s3, 0xffff
	v_cmp_eq_f32_e64 s[0:1], s12, 1.0
	s_mov_b32 s13, s12
	s_mov_b32 s8, s12
	;; [unrolled: 1-line block ×3, first 2 shown]
	v_addc_co_u32_e32 v1, vcc, 0, v2, vcc
	s_lshl_b32 s24, s3, 3
	v_add_lshl_u32 v2, v0, s3, 2
	s_lshl_b32 s25, s3, 2
	s_mov_b64 s[10:11], 0
	v_mov_b32_e32 v0, s15
	v_mov_b32_e32 v5, s17
	;; [unrolled: 1-line block ×3, first 2 shown]
	s_mov_b64 s[22:23], 0xffff
	v_mov_b32_e32 v7, s2
	v_mov_b32_e32 v8, s2
.LBB75_32:                              ; =>This Inner Loop Header: Depth=1
	v_add_co_u32_e32 v10, vcc, s14, v4
	v_addc_co_u32_e32 v11, vcc, v0, v1, vcc
	v_add_co_u32_e32 v12, vcc, s16, v4
	v_addc_co_u32_e32 v13, vcc, v5, v1, vcc
	;; [unrolled: 2-line block ×3, first 2 shown]
	global_load_dwordx2 v[16:17], v[12:13], off
	global_load_dwordx2 v[18:19], v[14:15], off
	;; [unrolled: 1-line block ×3, first 2 shown]
	v_cmp_le_i64_e32 vcc, s[20:21], v[2:3]
	v_cmp_lt_u64_e64 s[2:3], s[22:23], v[2:3]
	v_add_co_u32_e64 v4, s[4:5], s24, v4
	v_addc_co_u32_e64 v1, s[4:5], v1, v7, s[4:5]
	s_or_b64 s[26:27], vcc, s[2:3]
	v_add_co_u32_e64 v2, s[4:5], s25, v2
	v_addc_co_u32_e64 v3, s[4:5], v3, v8, s[4:5]
	s_waitcnt vmcnt(2)
	v_cvt_f32_f16_sdwa v9, v17 dst_sel:DWORD dst_unused:UNUSED_PAD src0_sel:WORD_1
	s_waitcnt vmcnt(1)
	v_cvt_f32_f16_sdwa v22, v19 dst_sel:DWORD dst_unused:UNUSED_PAD src0_sel:WORD_1
	s_waitcnt vmcnt(0)
	v_cvt_f32_f16_e32 v12, v20
	v_cvt_f32_f16_sdwa v13, v20 dst_sel:DWORD dst_unused:UNUSED_PAD src0_sel:WORD_1
	v_cvt_f32_f16_e32 v14, v21
	v_cvt_f32_f16_sdwa v15, v21 dst_sel:DWORD dst_unused:UNUSED_PAD src0_sel:WORD_1
	;; [unrolled: 2-line block ×3, first 2 shown]
	v_cvt_f32_f16_e32 v16, v16
	v_cvt_f32_f16_e32 v21, v18
	v_cvt_f32_f16_sdwa v18, v18 dst_sel:DWORD dst_unused:UNUSED_PAD src0_sel:WORD_1
	v_cvt_f32_f16_e32 v19, v19
	v_div_scale_f32 v29, s[6:7], v22, v22, v9
	v_div_scale_f32 v23, s[2:3], v21, v21, v16
	;; [unrolled: 1-line block ×3, first 2 shown]
	v_rcp_f32_e32 v31, v23
	v_div_scale_f32 v27, s[4:5], v19, v19, v20
	v_rcp_f32_e32 v32, v25
	v_rcp_f32_e32 v33, v27
	;; [unrolled: 1-line block ×3, first 2 shown]
	v_fma_f32 v35, -v23, v31, 1.0
	v_div_scale_f32 v24, vcc, v16, v21, v16
	v_fma_f32 v36, -v25, v32, 1.0
	v_fmac_f32_e32 v31, v35, v31
	v_div_scale_f32 v26, s[2:3], v17, v18, v17
	v_fma_f32 v37, -v27, v33, 1.0
	v_fmac_f32_e32 v32, v36, v32
	v_mul_f32_e32 v35, v24, v31
	v_div_scale_f32 v28, s[4:5], v20, v19, v20
	v_fma_f32 v38, -v29, v34, 1.0
	v_fmac_f32_e32 v33, v37, v33
	v_mul_f32_e32 v36, v26, v32
	v_fma_f32 v39, -v23, v35, v24
	v_div_scale_f32 v30, s[6:7], v9, v22, v9
	v_fmac_f32_e32 v34, v38, v34
	v_mul_f32_e32 v37, v28, v33
	v_fma_f32 v40, -v25, v36, v26
	v_fmac_f32_e32 v35, v39, v31
	v_mul_f32_e32 v38, v30, v34
	v_fma_f32 v41, -v27, v37, v28
	v_fmac_f32_e32 v36, v40, v32
	v_fma_f32 v23, -v23, v35, v24
	v_fma_f32 v42, -v29, v38, v30
	v_fmac_f32_e32 v37, v41, v33
	v_fma_f32 v24, -v25, v36, v26
	v_div_fmas_f32 v23, v23, v31, v35
	s_mov_b64 vcc, s[2:3]
	v_fmac_f32_e32 v38, v42, v34
	v_fma_f32 v25, -v27, v37, v28
	v_div_fixup_f32 v16, v23, v21, v16
	v_div_fmas_f32 v21, v24, v32, v36
	s_mov_b64 vcc, s[4:5]
	v_fma_f32 v26, -v29, v38, v30
	v_div_fixup_f32 v17, v21, v18, v17
	v_div_fmas_f32 v18, v25, v33, v37
	s_mov_b64 vcc, s[6:7]
	v_div_fixup_f32 v18, v18, v19, v20
	v_div_fmas_f32 v19, v26, v34, v38
	v_pk_add_f32 v[20:21], v[16:17], v[12:13]
	v_pk_fma_f32 v[12:13], s[12:13], v[16:17], v[12:13]
	v_div_fixup_f32 v19, v19, v22, v9
	v_cndmask_b32_e64 v9, v12, v20, s[0:1]
	v_cndmask_b32_e64 v16, v13, v21, s[0:1]
	v_pk_add_f32 v[12:13], v[18:19], v[14:15]
	v_pk_fma_f32 v[14:15], s[8:9], v[18:19], v[14:15]
	v_cndmask_b32_e64 v12, v14, v12, s[0:1]
	v_cndmask_b32_e64 v13, v15, v13, s[0:1]
	v_cvt_f16_f32_e32 v16, v16
	v_cvt_f16_f32_e32 v9, v9
	;; [unrolled: 1-line block ×4, first 2 shown]
	s_and_b64 s[2:3], exec, s[26:27]
	s_or_b64 s[10:11], s[2:3], s[10:11]
	v_pack_b32_f16 v12, v9, v16
	v_pack_b32_f16 v13, v14, v13
	global_store_dwordx2 v[10:11], v[12:13], off
	s_andn2_b64 exec, exec, s[10:11]
	s_cbranch_execnz .LBB75_32
.LBB75_33:
	s_endpgm
	.section	.rodata,"a",@progbits
	.p2align	6, 0x0
	.amdhsa_kernel _ZN2at6native12_GLOBAL__N_125multi_tensor_apply_kernelINS1_18TensorListMetadataILi3EEENS1_24PointwiseOpScalarFunctorIN3c104HalfELi3ELi3ELi0EEEJSt7dividesIfEfEEEvT_T0_DpT1_
		.amdhsa_group_segment_fixed_size 0
		.amdhsa_private_segment_fixed_size 0
		.amdhsa_kernarg_size 3408
		.amdhsa_user_sgpr_count 6
		.amdhsa_user_sgpr_private_segment_buffer 1
		.amdhsa_user_sgpr_dispatch_ptr 0
		.amdhsa_user_sgpr_queue_ptr 0
		.amdhsa_user_sgpr_kernarg_segment_ptr 1
		.amdhsa_user_sgpr_dispatch_id 0
		.amdhsa_user_sgpr_flat_scratch_init 0
		.amdhsa_user_sgpr_kernarg_preload_length 0
		.amdhsa_user_sgpr_kernarg_preload_offset 0
		.amdhsa_user_sgpr_private_segment_size 0
		.amdhsa_uses_dynamic_stack 0
		.amdhsa_system_sgpr_private_segment_wavefront_offset 0
		.amdhsa_system_sgpr_workgroup_id_x 1
		.amdhsa_system_sgpr_workgroup_id_y 0
		.amdhsa_system_sgpr_workgroup_id_z 0
		.amdhsa_system_sgpr_workgroup_info 0
		.amdhsa_system_vgpr_workitem_id 0
		.amdhsa_next_free_vgpr 50
		.amdhsa_next_free_sgpr 32
		.amdhsa_accum_offset 52
		.amdhsa_reserve_vcc 1
		.amdhsa_reserve_flat_scratch 0
		.amdhsa_float_round_mode_32 0
		.amdhsa_float_round_mode_16_64 0
		.amdhsa_float_denorm_mode_32 3
		.amdhsa_float_denorm_mode_16_64 3
		.amdhsa_dx10_clamp 1
		.amdhsa_ieee_mode 1
		.amdhsa_fp16_overflow 0
		.amdhsa_tg_split 0
		.amdhsa_exception_fp_ieee_invalid_op 0
		.amdhsa_exception_fp_denorm_src 0
		.amdhsa_exception_fp_ieee_div_zero 0
		.amdhsa_exception_fp_ieee_overflow 0
		.amdhsa_exception_fp_ieee_underflow 0
		.amdhsa_exception_fp_ieee_inexact 0
		.amdhsa_exception_int_div_zero 0
	.end_amdhsa_kernel
	.section	.text._ZN2at6native12_GLOBAL__N_125multi_tensor_apply_kernelINS1_18TensorListMetadataILi3EEENS1_24PointwiseOpScalarFunctorIN3c104HalfELi3ELi3ELi0EEEJSt7dividesIfEfEEEvT_T0_DpT1_,"axG",@progbits,_ZN2at6native12_GLOBAL__N_125multi_tensor_apply_kernelINS1_18TensorListMetadataILi3EEENS1_24PointwiseOpScalarFunctorIN3c104HalfELi3ELi3ELi0EEEJSt7dividesIfEfEEEvT_T0_DpT1_,comdat
.Lfunc_end75:
	.size	_ZN2at6native12_GLOBAL__N_125multi_tensor_apply_kernelINS1_18TensorListMetadataILi3EEENS1_24PointwiseOpScalarFunctorIN3c104HalfELi3ELi3ELi0EEEJSt7dividesIfEfEEEvT_T0_DpT1_, .Lfunc_end75-_ZN2at6native12_GLOBAL__N_125multi_tensor_apply_kernelINS1_18TensorListMetadataILi3EEENS1_24PointwiseOpScalarFunctorIN3c104HalfELi3ELi3ELi0EEEJSt7dividesIfEfEEEvT_T0_DpT1_
                                        ; -- End function
	.section	.AMDGPU.csdata,"",@progbits
; Kernel info:
; codeLenInByte = 2584
; NumSgprs: 36
; NumVgprs: 50
; NumAgprs: 0
; TotalNumVgprs: 50
; ScratchSize: 0
; MemoryBound: 0
; FloatMode: 240
; IeeeMode: 1
; LDSByteSize: 0 bytes/workgroup (compile time only)
; SGPRBlocks: 4
; VGPRBlocks: 6
; NumSGPRsForWavesPerEU: 36
; NumVGPRsForWavesPerEU: 50
; AccumOffset: 52
; Occupancy: 8
; WaveLimiterHint : 0
; COMPUTE_PGM_RSRC2:SCRATCH_EN: 0
; COMPUTE_PGM_RSRC2:USER_SGPR: 6
; COMPUTE_PGM_RSRC2:TRAP_HANDLER: 0
; COMPUTE_PGM_RSRC2:TGID_X_EN: 1
; COMPUTE_PGM_RSRC2:TGID_Y_EN: 0
; COMPUTE_PGM_RSRC2:TGID_Z_EN: 0
; COMPUTE_PGM_RSRC2:TIDIG_COMP_CNT: 0
; COMPUTE_PGM_RSRC3_GFX90A:ACCUM_OFFSET: 12
; COMPUTE_PGM_RSRC3_GFX90A:TG_SPLIT: 0
	.section	.text._ZN2at6native12_GLOBAL__N_125multi_tensor_apply_kernelINS1_18TensorListMetadataILi3EEENS1_24PointwiseOpScalarFunctorIN3c108BFloat16ELi3ELi3ELi0EEEJSt7dividesIfEfEEEvT_T0_DpT1_,"axG",@progbits,_ZN2at6native12_GLOBAL__N_125multi_tensor_apply_kernelINS1_18TensorListMetadataILi3EEENS1_24PointwiseOpScalarFunctorIN3c108BFloat16ELi3ELi3ELi0EEEJSt7dividesIfEfEEEvT_T0_DpT1_,comdat
	.globl	_ZN2at6native12_GLOBAL__N_125multi_tensor_apply_kernelINS1_18TensorListMetadataILi3EEENS1_24PointwiseOpScalarFunctorIN3c108BFloat16ELi3ELi3ELi0EEEJSt7dividesIfEfEEEvT_T0_DpT1_ ; -- Begin function _ZN2at6native12_GLOBAL__N_125multi_tensor_apply_kernelINS1_18TensorListMetadataILi3EEENS1_24PointwiseOpScalarFunctorIN3c108BFloat16ELi3ELi3ELi0EEEJSt7dividesIfEfEEEvT_T0_DpT1_
	.p2align	8
	.type	_ZN2at6native12_GLOBAL__N_125multi_tensor_apply_kernelINS1_18TensorListMetadataILi3EEENS1_24PointwiseOpScalarFunctorIN3c108BFloat16ELi3ELi3ELi0EEEJSt7dividesIfEfEEEvT_T0_DpT1_,@function
_ZN2at6native12_GLOBAL__N_125multi_tensor_apply_kernelINS1_18TensorListMetadataILi3EEENS1_24PointwiseOpScalarFunctorIN3c108BFloat16ELi3ELi3ELi0EEEJSt7dividesIfEfEEEvT_T0_DpT1_: ; @_ZN2at6native12_GLOBAL__N_125multi_tensor_apply_kernelINS1_18TensorListMetadataILi3EEENS1_24PointwiseOpScalarFunctorIN3c108BFloat16ELi3ELi3ELi0EEEJSt7dividesIfEfEEEvT_T0_DpT1_
; %bb.0:
	v_mov_b32_e32 v1, s6
	global_load_ubyte v1, v1, s[4:5] offset:1536
	s_load_dword s28, s[4:5], 0xc4c
	s_add_u32 s0, s4, s6
	s_mul_hi_u32 s2, s6, 3
	s_mul_i32 s6, s6, 3
	s_addc_u32 s7, s5, 0
	s_add_u32 s6, s0, s6
	s_addc_u32 s7, s7, s2
	s_load_dword s6, s[6:7], 0x740
	s_mov_b32 s1, 0
	s_mov_b32 s3, s1
	s_waitcnt lgkmcnt(0)
	s_ashr_i32 s7, s6, 31
	s_lshl_b64 s[20:21], s[6:7], 17
	s_waitcnt vmcnt(0)
	v_readfirstlane_b32 s0, v1
	s_lshl_b32 s0, s0, 3
	s_load_dwordx2 s[12:13], s[4:5], s0 offset:0x0
	s_load_dwordx2 s[14:15], s[4:5], s0 offset:0x180
	s_load_dwordx2 s[8:9], s[4:5], s0 offset:0x480
	s_load_dwordx2 s[16:17], s[4:5], s0 offset:0x300
	s_waitcnt lgkmcnt(0)
	s_and_b32 s0, s12, 7
	s_add_u32 s2, s14, s20
	s_or_b32 s2, s16, s2
	s_and_b32 s2, s2, 7
	s_cmp_eq_u32 s2, 0
	s_cselect_b64 s[10:11], -1, 0
	s_lshl_b64 s[6:7], s[6:7], 16
	s_sub_u32 s18, s8, s6
	s_subb_u32 s19, s9, s7
	s_and_b32 s2, s8, 3
	s_or_b64 s[0:1], s[0:1], s[2:3]
	s_cmp_eq_u64 s[0:1], 0
	s_cselect_b64 s[0:1], -1, 0
	s_and_b64 s[2:3], s[10:11], s[0:1]
	s_mov_b64 s[0:1], -1
	s_and_b64 vcc, exec, s[2:3]
	s_cbranch_vccnz .LBB76_29
; %bb.1:
	v_cmp_lt_i64_e64 s[0:1], s[18:19], 1
	s_and_b64 vcc, exec, s[0:1]
	s_cbranch_vccnz .LBB76_28
; %bb.2:
	s_load_dword s0, s[4:5], 0xc5c
	v_mov_b32_e32 v2, 0x10000
	v_mov_b32_e32 v3, 0
	v_cmp_lt_u64_e32 vcc, s[18:19], v[2:3]
	v_lshlrev_b32_e32 v14, 1, v0
	s_waitcnt lgkmcnt(0)
	s_and_b32 s6, s0, 0xffff
	s_and_b64 s[0:1], vcc, exec
	v_mov_b32_e32 v19, s13
	v_add_co_u32_e32 v2, vcc, s12, v14
	v_addc_co_u32_e32 v1, vcc, 0, v19, vcc
	v_mov_b32_e32 v21, s15
	v_add_co_u32_e32 v4, vcc, s14, v14
	v_addc_co_u32_e32 v3, vcc, 0, v21, vcc
	v_mov_b32_e32 v15, 0
	v_mov_b32_e32 v23, s17
	v_add_co_u32_e32 v6, vcc, s16, v14
	v_addc_co_u32_e32 v5, vcc, 0, v23, vcc
	v_mad_u64_u32 v[12:13], s[2:3], s6, 6, v[14:15]
	v_add_co_u32_e32 v8, vcc, s12, v12
	v_addc_co_u32_e32 v7, vcc, v19, v13, vcc
	v_add_co_u32_e32 v10, vcc, s14, v12
	v_addc_co_u32_e32 v9, vcc, v21, v13, vcc
	v_add_co_u32_e32 v12, vcc, s16, v12
	s_mul_i32 s8, s6, 3
	v_addc_co_u32_e32 v11, vcc, v23, v13, vcc
	s_cselect_b32 s23, s19, 0
	s_cselect_b32 s22, s18, 0x10000
	s_lshl_b32 s30, s6, 2
	v_add_co_u32_e32 v25, vcc, s8, v0
	v_addc_co_u32_e64 v26, s[2:3], 0, 0, vcc
	v_add_co_u32_e32 v17, vcc, s30, v14
	v_addc_co_u32_e64 v20, s[2:3], 0, 0, vcc
	v_add_co_u32_e32 v14, vcc, s12, v17
	v_addc_co_u32_e32 v13, vcc, v19, v20, vcc
	v_add_co_u32_e32 v16, vcc, s14, v17
	v_addc_co_u32_e32 v15, vcc, v21, v20, vcc
	v_add_co_u32_e32 v18, vcc, s16, v17
	s_lshl_b32 s7, s6, 1
	v_addc_co_u32_e32 v17, vcc, v23, v20, vcc
	v_add_co_u32_e32 v27, vcc, s7, v0
	v_addc_co_u32_e64 v28, s[2:3], 0, 0, vcc
	v_add_co_u32_e32 v29, vcc, s6, v0
	v_lshlrev_b32_e32 v24, 1, v29
	v_addc_co_u32_e64 v30, s[2:3], 0, 0, vcc
	v_add_co_u32_e32 v20, vcc, s12, v24
	v_addc_co_u32_e32 v19, vcc, 0, v19, vcc
	v_add_co_u32_e32 v22, vcc, s14, v24
	v_addc_co_u32_e32 v21, vcc, 0, v21, vcc
	v_add_co_u32_e32 v24, vcc, s16, v24
	s_mov_b32 s29, 0
	v_cmp_eq_f32_e64 s[0:1], s28, 1.0
	s_lshl_b32 s31, s6, 3
	v_addc_co_u32_e32 v23, vcc, 0, v23, vcc
	s_mov_b64 s[24:25], 0
	s_movk_i32 s33, 0x7fff
	v_mov_b32_e32 v31, 0x7fc0
	s_branch .LBB76_4
.LBB76_3:                               ;   in Loop: Header=BB76_4 Depth=1
	s_or_b64 exec, exec, s[2:3]
	s_add_u32 s24, s24, s30
	s_addc_u32 s25, s25, 0
	s_waitcnt vmcnt(1)
	v_pk_mov_b32 v[32:33], s[18:19], s[18:19] op_sel:[0,1]
	v_cmp_lt_i64_e32 vcc, s[24:25], v[32:33]
	v_mov_b32_e32 v32, 0x10000
	v_mov_b32_e32 v33, 0
	v_cmp_lt_u64_e64 s[2:3], s[24:25], v[32:33]
	s_and_b64 s[2:3], vcc, s[2:3]
	v_mov_b32_e32 v32, s29
	v_add_co_u32_e32 v2, vcc, s31, v2
	v_addc_co_u32_e32 v1, vcc, v1, v32, vcc
	v_add_co_u32_e32 v4, vcc, s31, v4
	v_addc_co_u32_e32 v3, vcc, v3, v32, vcc
	;; [unrolled: 2-line block ×12, first 2 shown]
	s_and_b64 vcc, exec, s[2:3]
	s_cbranch_vccz .LBB76_28
.LBB76_4:                               ; =>This Inner Loop Header: Depth=1
	v_mov_b32_e32 v33, s25
	v_add_co_u32_e32 v32, vcc, s24, v0
	v_addc_co_u32_e32 v33, vcc, 0, v33, vcc
	v_cmp_gt_u64_e32 vcc, s[22:23], v[32:33]
	v_mov_b32_e32 v33, 0
	s_waitcnt vmcnt(0)
	v_mov_b32_e32 v35, 0
	s_and_saveexec_b64 s[6:7], vcc
	s_cbranch_execz .LBB76_6
; %bb.5:                                ;   in Loop: Header=BB76_4 Depth=1
	v_mov_b32_e32 v32, s21
	v_add_co_u32_e64 v36, s[2:3], s20, v2
	v_addc_co_u32_e64 v37, s[2:3], v1, v32, s[2:3]
	v_add_co_u32_e64 v38, s[2:3], s20, v4
	v_addc_co_u32_e64 v39, s[2:3], v3, v32, s[2:3]
	global_load_ushort v33, v[36:37], off
	global_load_ushort v35, v[38:39], off
.LBB76_6:                               ;   in Loop: Header=BB76_4 Depth=1
	s_or_b64 exec, exec, s[6:7]
	v_mov_b32_e32 v32, 0
	v_mov_b32_e32 v38, 0
	s_and_saveexec_b64 s[6:7], vcc
	s_cbranch_execz .LBB76_8
; %bb.7:                                ;   in Loop: Header=BB76_4 Depth=1
	v_mov_b32_e32 v34, s21
	v_add_co_u32_e64 v36, s[2:3], s20, v6
	v_addc_co_u32_e64 v37, s[2:3], v5, v34, s[2:3]
	global_load_ushort v38, v[36:37], off
.LBB76_8:                               ;   in Loop: Header=BB76_4 Depth=1
	s_or_b64 exec, exec, s[6:7]
	v_mov_b32_e32 v34, s25
	v_add_co_u32_e64 v36, s[2:3], s24, v29
	v_addc_co_u32_e64 v37, s[2:3], v30, v34, s[2:3]
	v_cmp_gt_u64_e64 s[2:3], s[22:23], v[36:37]
	v_mov_b32_e32 v37, 0
	s_and_saveexec_b64 s[8:9], s[2:3]
	s_cbranch_execz .LBB76_10
; %bb.9:                                ;   in Loop: Header=BB76_4 Depth=1
	v_mov_b32_e32 v32, s21
	v_add_co_u32_e64 v40, s[6:7], s20, v22
	v_addc_co_u32_e64 v41, s[6:7], v21, v32, s[6:7]
	v_add_co_u32_e64 v42, s[6:7], s20, v20
	v_addc_co_u32_e64 v43, s[6:7], v19, v32, s[6:7]
	global_load_ushort v32, v[42:43], off
	global_load_ushort v37, v[40:41], off
.LBB76_10:                              ;   in Loop: Header=BB76_4 Depth=1
	s_or_b64 exec, exec, s[8:9]
	v_mov_b32_e32 v34, 0
	v_mov_b32_e32 v40, 0
	s_and_saveexec_b64 s[8:9], s[2:3]
	s_cbranch_execz .LBB76_12
; %bb.11:                               ;   in Loop: Header=BB76_4 Depth=1
	v_mov_b32_e32 v36, s21
	v_add_co_u32_e64 v40, s[6:7], s20, v24
	v_addc_co_u32_e64 v41, s[6:7], v23, v36, s[6:7]
	global_load_ushort v40, v[40:41], off
.LBB76_12:                              ;   in Loop: Header=BB76_4 Depth=1
	s_or_b64 exec, exec, s[8:9]
	v_mov_b32_e32 v36, s25
	v_add_co_u32_e64 v42, s[6:7], s24, v27
	v_addc_co_u32_e64 v43, s[6:7], v28, v36, s[6:7]
	v_cmp_gt_u64_e64 s[6:7], s[22:23], v[42:43]
	v_mov_b32_e32 v39, 0
	s_and_saveexec_b64 s[10:11], s[6:7]
	s_cbranch_execz .LBB76_14
; %bb.13:                               ;   in Loop: Header=BB76_4 Depth=1
	v_mov_b32_e32 v34, s21
	v_add_co_u32_e64 v42, s[8:9], s20, v16
	v_addc_co_u32_e64 v43, s[8:9], v15, v34, s[8:9]
	v_add_co_u32_e64 v44, s[8:9], s20, v14
	v_addc_co_u32_e64 v45, s[8:9], v13, v34, s[8:9]
	global_load_ushort v34, v[44:45], off
	global_load_ushort v39, v[42:43], off
.LBB76_14:                              ;   in Loop: Header=BB76_4 Depth=1
	s_or_b64 exec, exec, s[10:11]
	v_mov_b32_e32 v36, 0
	v_mov_b32_e32 v42, 0
	s_and_saveexec_b64 s[10:11], s[6:7]
	s_cbranch_execz .LBB76_16
; %bb.15:                               ;   in Loop: Header=BB76_4 Depth=1
	v_mov_b32_e32 v41, s21
	v_add_co_u32_e64 v42, s[8:9], s20, v18
	v_addc_co_u32_e64 v43, s[8:9], v17, v41, s[8:9]
	global_load_ushort v42, v[42:43], off
.LBB76_16:                              ;   in Loop: Header=BB76_4 Depth=1
	s_or_b64 exec, exec, s[10:11]
	v_mov_b32_e32 v41, s25
	v_add_co_u32_e64 v44, s[8:9], s24, v25
	v_addc_co_u32_e64 v45, s[8:9], v26, v41, s[8:9]
	v_cmp_gt_u64_e64 s[8:9], s[22:23], v[44:45]
	v_mov_b32_e32 v41, 0
	s_and_saveexec_b64 s[26:27], s[8:9]
	s_cbranch_execnz .LBB76_22
; %bb.17:                               ;   in Loop: Header=BB76_4 Depth=1
	s_or_b64 exec, exec, s[26:27]
	v_mov_b32_e32 v43, 0
	s_and_saveexec_b64 s[26:27], s[8:9]
	s_cbranch_execnz .LBB76_23
.LBB76_18:                              ;   in Loop: Header=BB76_4 Depth=1
	s_or_b64 exec, exec, s[26:27]
	s_and_saveexec_b64 s[10:11], vcc
	s_cbranch_execnz .LBB76_24
.LBB76_19:                              ;   in Loop: Header=BB76_4 Depth=1
	s_or_b64 exec, exec, s[10:11]
	s_and_saveexec_b64 s[10:11], s[2:3]
	s_cbranch_execnz .LBB76_25
.LBB76_20:                              ;   in Loop: Header=BB76_4 Depth=1
	s_or_b64 exec, exec, s[10:11]
	s_and_saveexec_b64 s[2:3], s[6:7]
	s_cbranch_execnz .LBB76_26
.LBB76_21:                              ;   in Loop: Header=BB76_4 Depth=1
	s_or_b64 exec, exec, s[2:3]
	s_and_saveexec_b64 s[2:3], s[8:9]
	s_cbranch_execz .LBB76_3
	s_branch .LBB76_27
.LBB76_22:                              ;   in Loop: Header=BB76_4 Depth=1
	v_mov_b32_e32 v36, s21
	v_add_co_u32_e64 v44, s[10:11], s20, v10
	v_addc_co_u32_e64 v45, s[10:11], v9, v36, s[10:11]
	v_add_co_u32_e64 v46, s[10:11], s20, v8
	v_addc_co_u32_e64 v47, s[10:11], v7, v36, s[10:11]
	global_load_ushort v36, v[46:47], off
	global_load_ushort v41, v[44:45], off
	s_or_b64 exec, exec, s[26:27]
	v_mov_b32_e32 v43, 0
	s_and_saveexec_b64 s[26:27], s[8:9]
	s_cbranch_execz .LBB76_18
.LBB76_23:                              ;   in Loop: Header=BB76_4 Depth=1
	v_mov_b32_e32 v43, s21
	v_add_co_u32_e64 v44, s[10:11], s20, v12
	v_addc_co_u32_e64 v45, s[10:11], v11, v43, s[10:11]
	global_load_ushort v43, v[44:45], off
	s_or_b64 exec, exec, s[26:27]
	s_and_saveexec_b64 s[10:11], vcc
	s_cbranch_execz .LBB76_19
.LBB76_24:                              ;   in Loop: Header=BB76_4 Depth=1
	s_waitcnt vmcnt(0)
	v_lshlrev_b32_e32 v35, 16, v35
	v_lshlrev_b32_e32 v38, 16, v38
	v_div_scale_f32 v44, s[26:27], v38, v38, v35
	v_rcp_f32_e32 v45, v44
	v_lshlrev_b32_e32 v33, 16, v33
	v_fma_f32 v46, -v44, v45, 1.0
	v_fmac_f32_e32 v45, v46, v45
	v_div_scale_f32 v46, vcc, v35, v38, v35
	v_mul_f32_e32 v47, v46, v45
	v_fma_f32 v48, -v44, v47, v46
	v_fmac_f32_e32 v47, v48, v45
	v_fma_f32 v44, -v44, v47, v46
	v_div_fmas_f32 v44, v44, v45, v47
	v_div_fixup_f32 v35, v44, v38, v35
	v_add_f32_e32 v38, v35, v33
	v_fmac_f32_e32 v33, s28, v35
	v_cndmask_b32_e64 v33, v33, v38, s[0:1]
	v_bfe_u32 v35, v33, 16, 1
	v_add3_u32 v35, v33, v35, s33
	v_lshrrev_b32_e32 v35, 16, v35
	v_cmp_o_f32_e32 vcc, v33, v33
	v_cndmask_b32_e32 v33, v31, v35, vcc
	v_mov_b32_e32 v35, s21
	v_add_co_u32_e32 v44, vcc, s20, v2
	v_addc_co_u32_e32 v45, vcc, v1, v35, vcc
	global_store_short v[44:45], v33, off
	s_or_b64 exec, exec, s[10:11]
	s_and_saveexec_b64 s[10:11], s[2:3]
	s_cbranch_execz .LBB76_20
.LBB76_25:                              ;   in Loop: Header=BB76_4 Depth=1
	s_waitcnt vmcnt(0)
	v_lshlrev_b32_e32 v33, 16, v37
	v_lshlrev_b32_e32 v35, 16, v40
	v_div_scale_f32 v37, s[2:3], v35, v35, v33
	v_rcp_f32_e32 v38, v37
	v_lshlrev_b32_e32 v32, 16, v32
	v_fma_f32 v40, -v37, v38, 1.0
	v_fmac_f32_e32 v38, v40, v38
	v_div_scale_f32 v40, vcc, v33, v35, v33
	v_mul_f32_e32 v44, v40, v38
	v_fma_f32 v45, -v37, v44, v40
	v_fmac_f32_e32 v44, v45, v38
	v_fma_f32 v37, -v37, v44, v40
	v_div_fmas_f32 v37, v37, v38, v44
	v_div_fixup_f32 v33, v37, v35, v33
	v_add_f32_e32 v35, v33, v32
	v_fmac_f32_e32 v32, s28, v33
	v_cndmask_b32_e64 v35, v32, v35, s[0:1]
	v_bfe_u32 v32, v35, 16, 1
	v_add3_u32 v32, v35, v32, s33
	v_lshrrev_b32_e32 v37, 16, v32
	v_mov_b32_e32 v33, s21
	v_add_co_u32_e32 v32, vcc, s20, v20
	v_addc_co_u32_e32 v33, vcc, v19, v33, vcc
	v_cmp_o_f32_e32 vcc, v35, v35
	v_cndmask_b32_e32 v35, v31, v37, vcc
	global_store_short v[32:33], v35, off
	s_or_b64 exec, exec, s[10:11]
	s_and_saveexec_b64 s[2:3], s[6:7]
	s_cbranch_execz .LBB76_21
.LBB76_26:                              ;   in Loop: Header=BB76_4 Depth=1
	s_waitcnt vmcnt(0)
	v_lshlrev_b32_e32 v32, 16, v39
	v_lshlrev_b32_e32 v33, 16, v42
	v_div_scale_f32 v35, s[6:7], v33, v33, v32
	v_rcp_f32_e32 v37, v35
	v_lshlrev_b32_e32 v34, 16, v34
	v_fma_f32 v38, -v35, v37, 1.0
	v_fmac_f32_e32 v37, v38, v37
	v_div_scale_f32 v38, vcc, v32, v33, v32
	v_mul_f32_e32 v39, v38, v37
	v_fma_f32 v40, -v35, v39, v38
	v_fmac_f32_e32 v39, v40, v37
	v_fma_f32 v35, -v35, v39, v38
	v_div_fmas_f32 v35, v35, v37, v39
	v_div_fixup_f32 v32, v35, v33, v32
	v_add_f32_e32 v33, v32, v34
	v_fmac_f32_e32 v34, s28, v32
	v_cndmask_b32_e64 v34, v34, v33, s[0:1]
	v_bfe_u32 v32, v34, 16, 1
	v_add3_u32 v32, v34, v32, s33
	v_lshrrev_b32_e32 v35, 16, v32
	v_mov_b32_e32 v33, s21
	v_add_co_u32_e32 v32, vcc, s20, v14
	v_addc_co_u32_e32 v33, vcc, v13, v33, vcc
	v_cmp_o_f32_e32 vcc, v34, v34
	v_cndmask_b32_e32 v34, v31, v35, vcc
	global_store_short v[32:33], v34, off
	s_or_b64 exec, exec, s[2:3]
	s_and_saveexec_b64 s[2:3], s[8:9]
	s_cbranch_execz .LBB76_3
.LBB76_27:                              ;   in Loop: Header=BB76_4 Depth=1
	s_waitcnt vmcnt(0)
	v_lshlrev_b32_e32 v32, 16, v41
	v_lshlrev_b32_e32 v33, 16, v43
	v_div_scale_f32 v34, s[6:7], v33, v33, v32
	v_rcp_f32_e32 v35, v34
	v_lshlrev_b32_e32 v36, 16, v36
	v_fma_f32 v37, -v34, v35, 1.0
	v_fmac_f32_e32 v35, v37, v35
	v_div_scale_f32 v37, vcc, v32, v33, v32
	v_mul_f32_e32 v38, v37, v35
	v_fma_f32 v39, -v34, v38, v37
	v_fmac_f32_e32 v38, v39, v35
	v_fma_f32 v34, -v34, v38, v37
	v_div_fmas_f32 v34, v34, v35, v38
	v_div_fixup_f32 v32, v34, v33, v32
	v_add_f32_e32 v33, v32, v36
	v_fmac_f32_e32 v36, s28, v32
	v_cndmask_b32_e64 v34, v36, v33, s[0:1]
	v_bfe_u32 v32, v34, 16, 1
	v_add3_u32 v32, v34, v32, s33
	v_lshrrev_b32_e32 v35, 16, v32
	v_mov_b32_e32 v33, s21
	v_add_co_u32_e32 v32, vcc, s20, v8
	v_addc_co_u32_e32 v33, vcc, v7, v33, vcc
	v_cmp_o_f32_e32 vcc, v34, v34
	v_cndmask_b32_e32 v34, v31, v35, vcc
	global_store_short v[32:33], v34, off
	s_branch .LBB76_3
.LBB76_28:
	s_mov_b64 s[0:1], 0
.LBB76_29:
	s_andn2_b64 vcc, exec, s[0:1]
	s_cbranch_vccnz .LBB76_33
; %bb.30:
	v_mov_b32_e32 v3, 0
	v_lshlrev_b32_e32 v2, 2, v0
	s_mov_b32 s2, 0
	v_cmp_gt_i64_e32 vcc, s[18:19], v[2:3]
	s_and_saveexec_b64 s[0:1], vcc
	s_cbranch_execz .LBB76_33
; %bb.31:
	s_load_dword s3, s[4:5], 0xc5c
	v_lshlrev_b32_e32 v1, 3, v0
	v_mov_b32_e32 v2, s21
	v_add_co_u32_e32 v4, vcc, s20, v1
	s_waitcnt lgkmcnt(0)
	s_and_b32 s3, s3, 0xffff
	v_cmp_eq_f32_e64 s[0:1], s28, 1.0
	v_addc_co_u32_e32 v1, vcc, 0, v2, vcc
	s_lshl_b32 s20, s3, 3
	v_add_lshl_u32 v2, v0, s3, 2
	s_lshl_b32 s21, s3, 2
	s_mov_b64 s[8:9], 0
	v_mov_b32_e32 v0, s13
	v_mov_b32_e32 v5, s15
	;; [unrolled: 1-line block ×3, first 2 shown]
	s_movk_i32 s13, 0x7fff
	v_mov_b32_e32 v7, 0x7fc0
	v_mov_b32_e32 v8, 0x7fc00000
	s_mov_b64 s[10:11], 0xffff
	v_mov_b32_e32 v9, s2
	v_mov_b32_e32 v10, s2
.LBB76_32:                              ; =>This Inner Loop Header: Depth=1
	v_add_co_u32_e32 v12, vcc, s12, v4
	v_addc_co_u32_e32 v13, vcc, v0, v1, vcc
	v_add_co_u32_e32 v14, vcc, s14, v4
	v_addc_co_u32_e32 v15, vcc, v5, v1, vcc
	;; [unrolled: 2-line block ×3, first 2 shown]
	global_load_dwordx2 v[18:19], v[12:13], off
	global_load_dwordx2 v[20:21], v[14:15], off
	;; [unrolled: 1-line block ×3, first 2 shown]
	v_cmp_le_i64_e32 vcc, s[18:19], v[2:3]
	v_cmp_lt_u64_e64 s[2:3], s[10:11], v[2:3]
	s_or_b64 s[2:3], vcc, s[2:3]
	v_add_co_u32_e64 v4, s[4:5], s20, v4
	s_and_b64 s[2:3], exec, s[2:3]
	v_addc_co_u32_e64 v1, s[4:5], v1, v9, s[4:5]
	s_or_b64 s[8:9], s[2:3], s[8:9]
	v_add_co_u32_e64 v2, s[4:5], s21, v2
	v_addc_co_u32_e64 v3, s[4:5], v3, v10, s[4:5]
	s_waitcnt vmcnt(2)
	v_lshlrev_b32_e32 v11, 16, v18
	s_waitcnt vmcnt(1)
	v_lshlrev_b32_e32 v14, 16, v20
	;; [unrolled: 2-line block ×3, first 2 shown]
	v_and_b32_e32 v17, 0xffff0000, v20
	v_and_b32_e32 v24, 0xffff0000, v22
	v_alignbit_b32 v20, v21, v20, 16
	v_alignbit_b32 v22, v23, v22, 16
	v_div_scale_f32 v25, s[2:3], v15, v15, v14
	v_and_b32_e32 v21, 0xffff0000, v21
	v_and_b32_e32 v23, 0xffff0000, v23
	v_div_scale_f32 v27, s[2:3], v24, v24, v17
	v_and_b32_e32 v20, 0xffff0000, v20
	v_and_b32_e32 v22, 0xffff0000, v22
	v_rcp_f32_e32 v31, v25
	v_div_scale_f32 v29, s[4:5], v23, v23, v21
	v_rcp_f32_e32 v32, v27
	v_div_scale_f32 v33, s[6:7], v22, v22, v20
	v_rcp_f32_e32 v35, v29
	v_rcp_f32_e32 v36, v33
	v_fma_f32 v37, -v25, v31, 1.0
	v_div_scale_f32 v26, vcc, v14, v15, v14
	v_fma_f32 v38, -v27, v32, 1.0
	v_fmac_f32_e32 v31, v37, v31
	v_div_scale_f32 v28, s[2:3], v17, v24, v17
	v_fma_f32 v39, -v29, v35, 1.0
	v_fmac_f32_e32 v32, v38, v32
	v_fma_f32 v37, -v33, v36, 1.0
	v_mul_f32_e32 v38, v26, v31
	v_div_scale_f32 v34, s[6:7], v20, v22, v20
	v_fmac_f32_e32 v35, v39, v35
	v_mul_f32_e32 v39, v28, v32
	v_fmac_f32_e32 v36, v37, v36
	v_fma_f32 v40, -v25, v38, v26
	v_div_scale_f32 v30, s[4:5], v21, v23, v21
	v_fma_f32 v41, -v27, v39, v28
	v_mul_f32_e32 v42, v34, v36
	v_fmac_f32_e32 v38, v40, v31
	v_mul_f32_e32 v37, v30, v35
	v_fmac_f32_e32 v39, v41, v32
	v_fma_f32 v40, -v33, v42, v34
	v_fma_f32 v25, -v25, v38, v26
	;; [unrolled: 1-line block ×4, first 2 shown]
	v_fmac_f32_e32 v42, v40, v36
	v_div_fmas_f32 v25, v25, v31, v38
	s_mov_b64 vcc, s[2:3]
	v_fmac_f32_e32 v37, v43, v35
	v_fma_f32 v28, -v33, v42, v34
	v_div_fixup_f32 v14, v25, v15, v14
	v_div_fmas_f32 v15, v26, v32, v39
	s_mov_b64 vcc, s[6:7]
	v_and_b32_e32 v16, 0xffff0000, v18
	v_alignbit_b32 v18, v19, v18, 16
	v_fma_f32 v27, -v29, v37, v30
	v_add_f32_e32 v25, v14, v11
	v_fmac_f32_e32 v11, s28, v14
	v_div_fixup_f32 v14, v15, v24, v17
	v_div_fmas_f32 v15, v28, v36, v42
	s_mov_b64 vcc, s[4:5]
	v_and_b32_e32 v18, 0xffff0000, v18
	v_cndmask_b32_e64 v11, v11, v25, s[0:1]
	v_add_f32_e32 v17, v14, v16
	v_fmac_f32_e32 v16, s28, v14
	v_div_fixup_f32 v14, v15, v22, v20
	v_div_fmas_f32 v15, v27, v35, v37
	v_and_b32_e32 v19, 0xffff0000, v19
	v_bfe_u32 v20, v11, 16, 1
	v_cndmask_b32_e64 v16, v16, v17, s[0:1]
	v_add_f32_e32 v17, v14, v18
	v_fmac_f32_e32 v18, s28, v14
	v_div_fixup_f32 v14, v15, v23, v21
	v_add3_u32 v15, v11, v20, s13
	v_bfe_u32 v20, v16, 16, 1
	v_cndmask_b32_e64 v17, v18, v17, s[0:1]
	v_add_f32_e32 v18, v14, v19
	v_fmac_f32_e32 v19, s28, v14
	v_lshrrev_b32_e32 v14, 16, v15
	v_add3_u32 v15, v16, v20, s13
	v_bfe_u32 v20, v17, 16, 1
	v_cndmask_b32_e64 v18, v19, v18, s[0:1]
	v_cmp_o_f32_e32 vcc, v11, v11
	v_cndmask_b32_e32 v11, v7, v14, vcc
	v_and_b32_e32 v14, 0xffff0000, v15
	v_add3_u32 v15, v17, v20, s13
	v_bfe_u32 v19, v18, 16, 1
	v_cmp_o_f32_e32 vcc, v16, v16
	v_cndmask_b32_e32 v14, v8, v14, vcc
	v_lshrrev_b32_e32 v15, 16, v15
	v_add3_u32 v16, v18, v19, s13
	v_cmp_o_f32_e32 vcc, v17, v17
	v_cndmask_b32_e32 v15, v7, v15, vcc
	v_and_b32_e32 v16, 0xffff0000, v16
	v_cmp_o_f32_e32 vcc, v18, v18
	v_or_b32_e32 v11, v11, v14
	v_cndmask_b32_e32 v16, v8, v16, vcc
	v_or3_b32 v14, v11, 0, 0
	v_or3_b32 v15, 0, v15, v16
	global_store_dwordx2 v[12:13], v[14:15], off
	s_andn2_b64 exec, exec, s[8:9]
	s_cbranch_execnz .LBB76_32
.LBB76_33:
	s_endpgm
	.section	.rodata,"a",@progbits
	.p2align	6, 0x0
	.amdhsa_kernel _ZN2at6native12_GLOBAL__N_125multi_tensor_apply_kernelINS1_18TensorListMetadataILi3EEENS1_24PointwiseOpScalarFunctorIN3c108BFloat16ELi3ELi3ELi0EEEJSt7dividesIfEfEEEvT_T0_DpT1_
		.amdhsa_group_segment_fixed_size 0
		.amdhsa_private_segment_fixed_size 0
		.amdhsa_kernarg_size 3408
		.amdhsa_user_sgpr_count 6
		.amdhsa_user_sgpr_private_segment_buffer 1
		.amdhsa_user_sgpr_dispatch_ptr 0
		.amdhsa_user_sgpr_queue_ptr 0
		.amdhsa_user_sgpr_kernarg_segment_ptr 1
		.amdhsa_user_sgpr_dispatch_id 0
		.amdhsa_user_sgpr_flat_scratch_init 0
		.amdhsa_user_sgpr_kernarg_preload_length 0
		.amdhsa_user_sgpr_kernarg_preload_offset 0
		.amdhsa_user_sgpr_private_segment_size 0
		.amdhsa_uses_dynamic_stack 0
		.amdhsa_system_sgpr_private_segment_wavefront_offset 0
		.amdhsa_system_sgpr_workgroup_id_x 1
		.amdhsa_system_sgpr_workgroup_id_y 0
		.amdhsa_system_sgpr_workgroup_id_z 0
		.amdhsa_system_sgpr_workgroup_info 0
		.amdhsa_system_vgpr_workitem_id 0
		.amdhsa_next_free_vgpr 49
		.amdhsa_next_free_sgpr 34
		.amdhsa_accum_offset 52
		.amdhsa_reserve_vcc 1
		.amdhsa_reserve_flat_scratch 0
		.amdhsa_float_round_mode_32 0
		.amdhsa_float_round_mode_16_64 0
		.amdhsa_float_denorm_mode_32 3
		.amdhsa_float_denorm_mode_16_64 3
		.amdhsa_dx10_clamp 1
		.amdhsa_ieee_mode 1
		.amdhsa_fp16_overflow 0
		.amdhsa_tg_split 0
		.amdhsa_exception_fp_ieee_invalid_op 0
		.amdhsa_exception_fp_denorm_src 0
		.amdhsa_exception_fp_ieee_div_zero 0
		.amdhsa_exception_fp_ieee_overflow 0
		.amdhsa_exception_fp_ieee_underflow 0
		.amdhsa_exception_fp_ieee_inexact 0
		.amdhsa_exception_int_div_zero 0
	.end_amdhsa_kernel
	.section	.text._ZN2at6native12_GLOBAL__N_125multi_tensor_apply_kernelINS1_18TensorListMetadataILi3EEENS1_24PointwiseOpScalarFunctorIN3c108BFloat16ELi3ELi3ELi0EEEJSt7dividesIfEfEEEvT_T0_DpT1_,"axG",@progbits,_ZN2at6native12_GLOBAL__N_125multi_tensor_apply_kernelINS1_18TensorListMetadataILi3EEENS1_24PointwiseOpScalarFunctorIN3c108BFloat16ELi3ELi3ELi0EEEJSt7dividesIfEfEEEvT_T0_DpT1_,comdat
.Lfunc_end76:
	.size	_ZN2at6native12_GLOBAL__N_125multi_tensor_apply_kernelINS1_18TensorListMetadataILi3EEENS1_24PointwiseOpScalarFunctorIN3c108BFloat16ELi3ELi3ELi0EEEJSt7dividesIfEfEEEvT_T0_DpT1_, .Lfunc_end76-_ZN2at6native12_GLOBAL__N_125multi_tensor_apply_kernelINS1_18TensorListMetadataILi3EEENS1_24PointwiseOpScalarFunctorIN3c108BFloat16ELi3ELi3ELi0EEEJSt7dividesIfEfEEEvT_T0_DpT1_
                                        ; -- End function
	.section	.AMDGPU.csdata,"",@progbits
; Kernel info:
; codeLenInByte = 2828
; NumSgprs: 38
; NumVgprs: 49
; NumAgprs: 0
; TotalNumVgprs: 49
; ScratchSize: 0
; MemoryBound: 0
; FloatMode: 240
; IeeeMode: 1
; LDSByteSize: 0 bytes/workgroup (compile time only)
; SGPRBlocks: 4
; VGPRBlocks: 6
; NumSGPRsForWavesPerEU: 38
; NumVGPRsForWavesPerEU: 49
; AccumOffset: 52
; Occupancy: 8
; WaveLimiterHint : 0
; COMPUTE_PGM_RSRC2:SCRATCH_EN: 0
; COMPUTE_PGM_RSRC2:USER_SGPR: 6
; COMPUTE_PGM_RSRC2:TRAP_HANDLER: 0
; COMPUTE_PGM_RSRC2:TGID_X_EN: 1
; COMPUTE_PGM_RSRC2:TGID_Y_EN: 0
; COMPUTE_PGM_RSRC2:TGID_Z_EN: 0
; COMPUTE_PGM_RSRC2:TIDIG_COMP_CNT: 0
; COMPUTE_PGM_RSRC3_GFX90A:ACCUM_OFFSET: 12
; COMPUTE_PGM_RSRC3_GFX90A:TG_SPLIT: 0
	.section	.text._ZN2at6native12_GLOBAL__N_125multi_tensor_apply_kernelINS1_18TensorListMetadataILi3EEENS1_32PointwiseOpScalar0dTensorFunctorIhLi3ELi2ELi0EEEJSt7dividesIhEhEEEvT_T0_DpT1_,"axG",@progbits,_ZN2at6native12_GLOBAL__N_125multi_tensor_apply_kernelINS1_18TensorListMetadataILi3EEENS1_32PointwiseOpScalar0dTensorFunctorIhLi3ELi2ELi0EEEJSt7dividesIhEhEEEvT_T0_DpT1_,comdat
	.globl	_ZN2at6native12_GLOBAL__N_125multi_tensor_apply_kernelINS1_18TensorListMetadataILi3EEENS1_32PointwiseOpScalar0dTensorFunctorIhLi3ELi2ELi0EEEJSt7dividesIhEhEEEvT_T0_DpT1_ ; -- Begin function _ZN2at6native12_GLOBAL__N_125multi_tensor_apply_kernelINS1_18TensorListMetadataILi3EEENS1_32PointwiseOpScalar0dTensorFunctorIhLi3ELi2ELi0EEEJSt7dividesIhEhEEEvT_T0_DpT1_
	.p2align	8
	.type	_ZN2at6native12_GLOBAL__N_125multi_tensor_apply_kernelINS1_18TensorListMetadataILi3EEENS1_32PointwiseOpScalar0dTensorFunctorIhLi3ELi2ELi0EEEJSt7dividesIhEhEEEvT_T0_DpT1_,@function
_ZN2at6native12_GLOBAL__N_125multi_tensor_apply_kernelINS1_18TensorListMetadataILi3EEENS1_32PointwiseOpScalar0dTensorFunctorIhLi3ELi2ELi0EEEJSt7dividesIhEhEEEvT_T0_DpT1_: ; @_ZN2at6native12_GLOBAL__N_125multi_tensor_apply_kernelINS1_18TensorListMetadataILi3EEENS1_32PointwiseOpScalar0dTensorFunctorIhLi3ELi2ELi0EEEJSt7dividesIhEhEEEvT_T0_DpT1_
; %bb.0:
	v_mov_b32_e32 v1, s6
	global_load_ubyte v1, v1, s[4:5] offset:1536
	s_add_u32 s0, s4, s6
	s_addc_u32 s1, s5, 0
	s_mul_hi_u32 s2, s6, 3
	s_mul_i32 s6, s6, 3
	s_add_u32 s0, s0, s6
	s_addc_u32 s1, s1, s2
	s_load_dword s0, s[0:1], 0x740
	v_mov_b32_e32 v3, 0
	s_mov_b32 s19, 0
	s_waitcnt vmcnt(0)
	v_readfirstlane_b32 s1, v1
	s_lshl_b32 s1, s1, 3
	s_load_dwordx2 s[2:3], s[4:5], s1 offset:0x180
	s_load_dwordx2 s[10:11], s[4:5], s1 offset:0x300
	s_waitcnt lgkmcnt(0)
	global_load_ubyte v1, v3, s[2:3]
	s_load_dword s24, s[4:5], 0xc48
	s_load_dwordx2 s[12:13], s[4:5], s1 offset:0x0
	s_load_dwordx2 s[6:7], s[4:5], s1 offset:0x480
	s_ashr_i32 s1, s0, 31
	s_lshl_b64 s[14:15], s[0:1], 16
	s_waitcnt lgkmcnt(0)
	s_add_u32 s16, s12, s14
	s_addc_u32 s17, s13, s15
	s_add_u32 s0, s2, s14
	s_add_u32 s25, s10, s14
	s_addc_u32 s2, s11, s15
	s_or_b32 s0, s25, s0
	s_and_b32 s0, s0, 3
	s_cmp_lg_u32 s0, 0
	s_cselect_b64 s[0:1], -1, 0
	s_sub_u32 s8, s6, s14
	s_subb_u32 s9, s7, s15
	s_or_b64 s[6:7], s[6:7], s[16:17]
	s_and_b32 s18, s6, 3
	s_cmp_lg_u64 s[18:19], 0
	s_cselect_b64 s[6:7], -1, 0
	s_or_b64 s[0:1], s[0:1], s[6:7]
	s_andn2_b64 vcc, exec, s[0:1]
	s_mov_b64 s[0:1], -1
	s_cbranch_vccz .LBB77_5
; %bb.1:
	v_lshlrev_b32_e32 v2, 2, v0
	v_cmp_gt_i64_e32 vcc, s[8:9], v[2:3]
	s_and_saveexec_b64 s[18:19], vcc
	s_cbranch_execz .LBB77_4
; %bb.2:
	s_load_dword s0, s[4:5], 0xc5c
	s_mov_b32 s1, 0
	s_waitcnt vmcnt(0)
	v_cvt_f32_ubyte0_e32 v4, v1
	s_mov_b64 s[20:21], 0
	s_lshr_b32 s26, s24, 16
	s_waitcnt lgkmcnt(0)
	s_and_b32 s0, s0, 0xffff
	s_lshl_b32 s27, s0, 2
	v_mov_b32_e32 v5, s17
	v_mov_b32_e32 v6, s2
	s_mov_b32 s17, 0x6050400
	v_mov_b32_e32 v7, s1
	s_mov_b64 s[22:23], 0xffff
.LBB77_3:                               ; =>This Inner Loop Header: Depth=1
	v_add_co_u32_e32 v8, vcc, s16, v2
	v_addc_co_u32_e32 v9, vcc, v5, v3, vcc
	v_add_co_u32_e32 v10, vcc, s25, v2
	v_addc_co_u32_e32 v11, vcc, v6, v3, vcc
	global_load_dword v12, v[10:11], off
	global_load_dword v13, v[8:9], off
	v_add_co_u32_e32 v2, vcc, s27, v2
	v_addc_co_u32_e32 v3, vcc, v7, v3, vcc
	v_cmp_le_i64_e32 vcc, s[8:9], v[2:3]
	v_cmp_lt_u64_e64 s[0:1], s[22:23], v[2:3]
	s_or_b64 s[0:1], vcc, s[0:1]
	s_and_b64 s[0:1], exec, s[0:1]
	s_or_b64 s[20:21], s[0:1], s[20:21]
	s_waitcnt vmcnt(1)
	v_cvt_f32_ubyte1_e32 v14, v12
	v_cvt_f32_ubyte2_e32 v16, v12
	v_cvt_f32_ubyte0_e32 v10, v12
	v_cvt_f32_ubyte3_e32 v12, v12
	v_rcp_iflag_f32_e32 v19, v14
	v_rcp_iflag_f32_e32 v20, v16
	;; [unrolled: 1-line block ×4, first 2 shown]
	v_mul_f32_e32 v19, v4, v19
	v_mul_f32_e32 v20, v4, v20
	;; [unrolled: 1-line block ×4, first 2 shown]
	v_trunc_f32_e32 v19, v19
	v_trunc_f32_e32 v20, v20
	;; [unrolled: 1-line block ×4, first 2 shown]
	v_mad_f32 v23, -v19, v14, v4
	v_cvt_u32_f32_e32 v19, v19
	v_mad_f32 v24, -v20, v16, v4
	v_cvt_u32_f32_e32 v20, v20
	;; [unrolled: 2-line block ×4, first 2 shown]
	v_cmp_ge_f32_e64 vcc, |v23|, v14
	v_cmp_ge_f32_e64 s[0:1], |v24|, v16
	s_waitcnt vmcnt(0)
	v_lshrrev_b32_e32 v11, 8, v13
	v_lshrrev_b32_e32 v15, 16, v13
	v_cmp_ge_f32_e64 s[2:3], |v25|, v12
	v_cmp_ge_f32_e64 s[6:7], |v22|, v10
	v_addc_co_u32_e32 v12, vcc, 0, v19, vcc
	v_addc_co_u32_e64 v14, vcc, 0, v20, s[0:1]
	v_lshrrev_b32_e32 v17, 24, v13
	v_addc_co_u32_e64 v10, s[6:7], 0, v18, s[6:7]
	v_addc_co_u32_e64 v16, vcc, 0, v21, s[2:3]
	v_mad_legacy_u16 v11, v12, s26, v11
	v_mad_legacy_u16 v12, v14, s26, v15
	;; [unrolled: 1-line block ×4, first 2 shown]
	v_and_b32_e32 v11, 0xff, v11
	v_and_b32_e32 v12, 0xff, v12
	v_lshlrev_b32_e32 v13, 24, v13
	v_perm_b32 v10, v11, v10, s17
	v_lshlrev_b32_e32 v11, 16, v12
	v_or3_b32 v10, v10, v11, v13
	global_store_dword v[8:9], v10, off
	s_andn2_b64 exec, exec, s[20:21]
	s_cbranch_execnz .LBB77_3
.LBB77_4:
	s_or_b64 exec, exec, s[18:19]
	s_mov_b64 s[0:1], 0
.LBB77_5:
	s_andn2_b64 vcc, exec, s[0:1]
	s_cbranch_vccnz .LBB77_25
; %bb.6:
	v_cmp_lt_i64_e64 s[0:1], s[8:9], 1
	s_and_b64 vcc, exec, s[0:1]
	s_cbranch_vccnz .LBB77_25
; %bb.7:
	s_load_dword s0, s[4:5], 0xc5c
	v_mov_b32_e32 v2, 0x10000
	v_mov_b32_e32 v3, 0
	v_cmp_lt_u64_e32 vcc, s[8:9], v[2:3]
	v_mov_b32_e32 v2, s15
	s_waitcnt lgkmcnt(0)
	s_and_b32 s6, s0, 0xffff
	s_and_b64 s[0:1], vcc, exec
	v_add_co_u32_e32 v3, vcc, s14, v0
	v_addc_co_u32_e32 v2, vcc, 0, v2, vcc
	v_mov_b32_e32 v4, s13
	v_add_co_u32_e32 v10, vcc, s12, v3
	s_cselect_b32 s5, s9, 0
	s_cselect_b32 s4, s8, 0x10000
	s_lshl_b32 s7, s6, 1
	s_mul_i32 s0, s6, 3
	s_lshl_b32 s16, s6, 2
	v_addc_co_u32_e32 v11, vcc, v4, v2, vcc
	v_mov_b32_e32 v5, s11
	v_add_co_u32_e32 v12, vcc, s10, v3
	s_add_u32 s1, s14, s0
	v_addc_co_u32_e32 v13, vcc, v5, v2, vcc
	s_addc_u32 s11, s15, 0
	v_mov_b32_e32 v6, s11
	v_add_co_u32_e32 v7, vcc, s1, v0
	v_addc_co_u32_e32 v6, vcc, 0, v6, vcc
	v_add_co_u32_e32 v14, vcc, s12, v7
	v_addc_co_u32_e32 v15, vcc, v4, v6, vcc
	;; [unrolled: 2-line block ×3, first 2 shown]
	v_add_co_u32_e32 v18, vcc, s0, v0
	v_addc_co_u32_e64 v19, s[0:1], 0, 0, vcc
	s_add_u32 s0, s14, s7
	s_addc_u32 s1, s15, 0
	v_mov_b32_e32 v6, s1
	v_add_co_u32_e32 v7, vcc, s0, v0
	v_addc_co_u32_e32 v6, vcc, 0, v6, vcc
	v_add_co_u32_e32 v20, vcc, s12, v7
	v_addc_co_u32_e32 v21, vcc, v4, v6, vcc
	;; [unrolled: 2-line block ×3, first 2 shown]
	v_add_co_u32_e32 v24, vcc, s7, v0
	v_addc_co_u32_e64 v25, s[0:1], 0, 0, vcc
	v_add_co_u32_e32 v3, vcc, s6, v3
	v_addc_co_u32_e32 v2, vcc, 0, v2, vcc
	v_add_co_u32_e32 v26, vcc, s12, v3
	v_addc_co_u32_e32 v27, vcc, v4, v2, vcc
	;; [unrolled: 2-line block ×3, first 2 shown]
	v_add_co_u32_e32 v30, vcc, s6, v0
	s_mov_b64 s[2:3], 0x10000
	s_waitcnt vmcnt(0)
	v_cvt_f32_ubyte0_e32 v1, v1
	v_addc_co_u32_e64 v31, s[0:1], 0, 0, vcc
	s_mov_b64 s[6:7], 0
	s_branch .LBB77_9
.LBB77_8:                               ;   in Loop: Header=BB77_9 Depth=1
	s_or_b64 exec, exec, s[0:1]
	s_add_u32 s6, s6, s16
	s_addc_u32 s7, s7, 0
	v_pk_mov_b32 v[2:3], s[8:9], s[8:9] op_sel:[0,1]
	v_cmp_ge_i64_e32 vcc, s[6:7], v[2:3]
	v_mov_b32_e32 v2, 0xffff
	v_mov_b32_e32 v3, 0
	v_cmp_gt_u64_e64 s[0:1], s[6:7], v[2:3]
	s_or_b64 s[0:1], vcc, s[0:1]
	s_and_b64 vcc, exec, s[0:1]
	s_cbranch_vccnz .LBB77_25
.LBB77_9:                               ; =>This Inner Loop Header: Depth=1
	v_mov_b32_e32 v3, s7
	v_add_co_u32_e32 v2, vcc, s6, v0
	v_addc_co_u32_e32 v3, vcc, 0, v3, vcc
	v_cmp_gt_i64_e32 vcc, s[8:9], v[2:3]
	v_cmp_gt_u64_e64 s[0:1], s[2:3], v[2:3]
	s_and_b64 s[10:11], vcc, s[0:1]
	s_waitcnt vmcnt(0)
	v_mov_b32_e32 v33, 0
	v_mov_b32_e32 v32, 0
	s_and_saveexec_b64 s[0:1], s[10:11]
	s_cbranch_execz .LBB77_11
; %bb.10:                               ;   in Loop: Header=BB77_9 Depth=1
	v_mov_b32_e32 v7, s7
	v_add_co_u32_e32 v4, vcc, s6, v10
	v_addc_co_u32_e32 v5, vcc, v11, v7, vcc
	v_add_co_u32_e32 v6, vcc, s6, v12
	v_addc_co_u32_e32 v7, vcc, v13, v7, vcc
	global_load_ubyte v32, v[4:5], off
	global_load_ubyte v33, v[6:7], off
.LBB77_11:                              ;   in Loop: Header=BB77_9 Depth=1
	s_or_b64 exec, exec, s[0:1]
	v_mov_b32_e32 v5, s7
	v_add_co_u32_e32 v4, vcc, s6, v30
	v_addc_co_u32_e32 v5, vcc, v31, v5, vcc
	v_cmp_gt_i64_e32 vcc, s[8:9], v[4:5]
	v_cmp_gt_u64_e64 s[0:1], s[2:3], v[4:5]
	s_and_b64 s[10:11], vcc, s[0:1]
	s_and_saveexec_b64 s[0:1], s[10:11]
	s_cbranch_execz .LBB77_13
; %bb.12:                               ;   in Loop: Header=BB77_9 Depth=1
	v_mov_b32_e32 v9, s7
	v_add_co_u32_e32 v6, vcc, s6, v28
	v_addc_co_u32_e32 v7, vcc, v29, v9, vcc
	v_add_co_u32_e32 v8, vcc, s6, v26
	v_addc_co_u32_e32 v9, vcc, v27, v9, vcc
	global_load_ubyte v34, v[8:9], off
	global_load_ubyte v35, v[6:7], off
	s_waitcnt vmcnt(1)
	v_lshl_or_b32 v32, v34, 8, v32
	s_waitcnt vmcnt(0)
	v_lshl_or_b32 v33, v35, 8, v33
.LBB77_13:                              ;   in Loop: Header=BB77_9 Depth=1
	s_or_b64 exec, exec, s[0:1]
	v_mov_b32_e32 v7, s7
	v_add_co_u32_e32 v6, vcc, s6, v24
	v_addc_co_u32_e32 v7, vcc, v25, v7, vcc
	v_cmp_gt_i64_e32 vcc, s[8:9], v[6:7]
	v_cmp_gt_u64_e64 s[0:1], s[2:3], v[6:7]
	s_and_b64 s[10:11], vcc, s[0:1]
	s_and_saveexec_b64 s[0:1], s[10:11]
	s_cbranch_execz .LBB77_15
; %bb.14:                               ;   in Loop: Header=BB77_9 Depth=1
	v_mov_b32_e32 v35, s7
	v_add_co_u32_e32 v8, vcc, s6, v22
	v_addc_co_u32_e32 v9, vcc, v23, v35, vcc
	v_add_co_u32_e32 v34, vcc, s6, v20
	v_addc_co_u32_e32 v35, vcc, v21, v35, vcc
	global_load_ubyte v36, v[34:35], off
	global_load_ubyte v37, v[8:9], off
	s_waitcnt vmcnt(1)
	v_lshl_or_b32 v32, v36, 16, v32
	s_waitcnt vmcnt(0)
	v_lshl_or_b32 v33, v37, 16, v33
.LBB77_15:                              ;   in Loop: Header=BB77_9 Depth=1
	s_or_b64 exec, exec, s[0:1]
	v_mov_b32_e32 v9, s7
	v_add_co_u32_e32 v8, vcc, s6, v18
	v_addc_co_u32_e32 v9, vcc, v19, v9, vcc
	v_cmp_gt_i64_e32 vcc, s[8:9], v[8:9]
	v_cmp_gt_u64_e64 s[0:1], s[2:3], v[8:9]
	s_and_b64 s[10:11], vcc, s[0:1]
	s_and_saveexec_b64 s[0:1], s[10:11]
	s_cbranch_execnz .LBB77_20
; %bb.16:                               ;   in Loop: Header=BB77_9 Depth=1
	s_or_b64 exec, exec, s[0:1]
	v_cmp_gt_u64_e32 vcc, s[4:5], v[2:3]
	s_and_saveexec_b64 s[0:1], vcc
	s_cbranch_execnz .LBB77_21
.LBB77_17:                              ;   in Loop: Header=BB77_9 Depth=1
	s_or_b64 exec, exec, s[0:1]
	v_cmp_gt_u64_e32 vcc, s[4:5], v[4:5]
	s_and_saveexec_b64 s[0:1], vcc
	s_cbranch_execnz .LBB77_22
.LBB77_18:                              ;   in Loop: Header=BB77_9 Depth=1
	s_or_b64 exec, exec, s[0:1]
	v_cmp_gt_u64_e32 vcc, s[4:5], v[6:7]
	s_and_saveexec_b64 s[0:1], vcc
	s_cbranch_execnz .LBB77_23
.LBB77_19:                              ;   in Loop: Header=BB77_9 Depth=1
	s_or_b64 exec, exec, s[0:1]
	v_cmp_gt_u64_e32 vcc, s[4:5], v[8:9]
	s_and_saveexec_b64 s[0:1], vcc
	s_cbranch_execz .LBB77_8
	s_branch .LBB77_24
.LBB77_20:                              ;   in Loop: Header=BB77_9 Depth=1
	v_mov_b32_e32 v37, s7
	v_add_co_u32_e32 v34, vcc, s6, v16
	v_addc_co_u32_e32 v35, vcc, v17, v37, vcc
	v_add_co_u32_e32 v36, vcc, s6, v14
	v_addc_co_u32_e32 v37, vcc, v15, v37, vcc
	global_load_ubyte v38, v[36:37], off
	global_load_ubyte v39, v[34:35], off
	s_waitcnt vmcnt(1)
	v_lshl_or_b32 v32, v38, 24, v32
	s_waitcnt vmcnt(0)
	v_lshl_or_b32 v33, v39, 24, v33
	s_or_b64 exec, exec, s[0:1]
	v_cmp_gt_u64_e32 vcc, s[4:5], v[2:3]
	s_and_saveexec_b64 s[0:1], vcc
	s_cbranch_execz .LBB77_17
.LBB77_21:                              ;   in Loop: Header=BB77_9 Depth=1
	s_waitcnt vmcnt(0)
	v_cvt_f32_ubyte0_e32 v34, v33
	v_rcp_iflag_f32_e32 v35, v34
	v_mov_b32_e32 v3, s7
	v_add_co_u32_e32 v2, vcc, s6, v10
	v_mul_f32_e32 v35, v1, v35
	v_trunc_f32_e32 v35, v35
	v_cvt_u32_f32_e32 v36, v35
	v_addc_co_u32_e32 v3, vcc, v11, v3, vcc
	v_mad_f32 v35, -v35, v34, v1
	v_cmp_ge_f32_e64 vcc, |v35|, v34
	s_lshr_b32 s10, s24, 16
	v_addc_co_u32_e32 v34, vcc, 0, v36, vcc
	v_mad_legacy_u16 v34, v34, s10, v32
	global_store_byte v[2:3], v34, off
	s_or_b64 exec, exec, s[0:1]
	v_cmp_gt_u64_e32 vcc, s[4:5], v[4:5]
	s_and_saveexec_b64 s[0:1], vcc
	s_cbranch_execz .LBB77_18
.LBB77_22:                              ;   in Loop: Header=BB77_9 Depth=1
	s_waitcnt vmcnt(0)
	v_cvt_f32_ubyte1_e32 v2, v33
	v_rcp_iflag_f32_e32 v3, v2
	s_lshr_b32 s10, s24, 16
	v_lshrrev_b32_e32 v4, 8, v32
	v_mov_b32_e32 v5, s7
	v_mul_f32_e32 v3, v1, v3
	v_trunc_f32_e32 v3, v3
	v_cvt_u32_f32_e32 v34, v3
	v_mad_f32 v3, -v3, v2, v1
	v_cmp_ge_f32_e64 vcc, |v3|, v2
	v_addc_co_u32_e32 v2, vcc, 0, v34, vcc
	v_mad_legacy_u16 v4, v2, s10, v4
	v_add_co_u32_e32 v2, vcc, s6, v26
	v_addc_co_u32_e32 v3, vcc, v27, v5, vcc
	global_store_byte v[2:3], v4, off
	s_or_b64 exec, exec, s[0:1]
	v_cmp_gt_u64_e32 vcc, s[4:5], v[6:7]
	s_and_saveexec_b64 s[0:1], vcc
	s_cbranch_execz .LBB77_19
.LBB77_23:                              ;   in Loop: Header=BB77_9 Depth=1
	s_waitcnt vmcnt(0)
	v_cvt_f32_ubyte2_e32 v2, v33
	v_rcp_iflag_f32_e32 v3, v2
	s_lshr_b32 s10, s24, 16
	v_lshrrev_b32_e32 v4, 16, v32
	v_mov_b32_e32 v5, s7
	v_mul_f32_e32 v3, v1, v3
	v_trunc_f32_e32 v3, v3
	v_cvt_u32_f32_e32 v6, v3
	v_mad_f32 v3, -v3, v2, v1
	v_cmp_ge_f32_e64 vcc, |v3|, v2
	v_addc_co_u32_e32 v2, vcc, 0, v6, vcc
	v_mad_legacy_u16 v4, v2, s10, v4
	v_add_co_u32_e32 v2, vcc, s6, v20
	v_addc_co_u32_e32 v3, vcc, v21, v5, vcc
	global_store_byte v[2:3], v4, off
	s_or_b64 exec, exec, s[0:1]
	v_cmp_gt_u64_e32 vcc, s[4:5], v[8:9]
	s_and_saveexec_b64 s[0:1], vcc
	s_cbranch_execz .LBB77_8
.LBB77_24:                              ;   in Loop: Header=BB77_9 Depth=1
	s_waitcnt vmcnt(0)
	v_cvt_f32_ubyte3_e32 v2, v33
	v_rcp_iflag_f32_e32 v3, v2
	s_lshr_b32 s10, s24, 16
	v_lshrrev_b32_e32 v4, 24, v32
	v_mov_b32_e32 v5, s7
	v_mul_f32_e32 v3, v1, v3
	v_trunc_f32_e32 v3, v3
	v_cvt_u32_f32_e32 v6, v3
	v_mad_f32 v3, -v3, v2, v1
	v_cmp_ge_f32_e64 vcc, |v3|, v2
	v_addc_co_u32_e32 v2, vcc, 0, v6, vcc
	v_mad_legacy_u16 v4, v2, s10, v4
	v_add_co_u32_e32 v2, vcc, s6, v14
	v_addc_co_u32_e32 v3, vcc, v15, v5, vcc
	global_store_byte v[2:3], v4, off
	s_branch .LBB77_8
.LBB77_25:
	s_endpgm
	.section	.rodata,"a",@progbits
	.p2align	6, 0x0
	.amdhsa_kernel _ZN2at6native12_GLOBAL__N_125multi_tensor_apply_kernelINS1_18TensorListMetadataILi3EEENS1_32PointwiseOpScalar0dTensorFunctorIhLi3ELi2ELi0EEEJSt7dividesIhEhEEEvT_T0_DpT1_
		.amdhsa_group_segment_fixed_size 0
		.amdhsa_private_segment_fixed_size 0
		.amdhsa_kernarg_size 3408
		.amdhsa_user_sgpr_count 6
		.amdhsa_user_sgpr_private_segment_buffer 1
		.amdhsa_user_sgpr_dispatch_ptr 0
		.amdhsa_user_sgpr_queue_ptr 0
		.amdhsa_user_sgpr_kernarg_segment_ptr 1
		.amdhsa_user_sgpr_dispatch_id 0
		.amdhsa_user_sgpr_flat_scratch_init 0
		.amdhsa_user_sgpr_kernarg_preload_length 0
		.amdhsa_user_sgpr_kernarg_preload_offset 0
		.amdhsa_user_sgpr_private_segment_size 0
		.amdhsa_uses_dynamic_stack 0
		.amdhsa_system_sgpr_private_segment_wavefront_offset 0
		.amdhsa_system_sgpr_workgroup_id_x 1
		.amdhsa_system_sgpr_workgroup_id_y 0
		.amdhsa_system_sgpr_workgroup_id_z 0
		.amdhsa_system_sgpr_workgroup_info 0
		.amdhsa_system_vgpr_workitem_id 0
		.amdhsa_next_free_vgpr 40
		.amdhsa_next_free_sgpr 28
		.amdhsa_accum_offset 40
		.amdhsa_reserve_vcc 1
		.amdhsa_reserve_flat_scratch 0
		.amdhsa_float_round_mode_32 0
		.amdhsa_float_round_mode_16_64 0
		.amdhsa_float_denorm_mode_32 3
		.amdhsa_float_denorm_mode_16_64 3
		.amdhsa_dx10_clamp 1
		.amdhsa_ieee_mode 1
		.amdhsa_fp16_overflow 0
		.amdhsa_tg_split 0
		.amdhsa_exception_fp_ieee_invalid_op 0
		.amdhsa_exception_fp_denorm_src 0
		.amdhsa_exception_fp_ieee_div_zero 0
		.amdhsa_exception_fp_ieee_overflow 0
		.amdhsa_exception_fp_ieee_underflow 0
		.amdhsa_exception_fp_ieee_inexact 0
		.amdhsa_exception_int_div_zero 0
	.end_amdhsa_kernel
	.section	.text._ZN2at6native12_GLOBAL__N_125multi_tensor_apply_kernelINS1_18TensorListMetadataILi3EEENS1_32PointwiseOpScalar0dTensorFunctorIhLi3ELi2ELi0EEEJSt7dividesIhEhEEEvT_T0_DpT1_,"axG",@progbits,_ZN2at6native12_GLOBAL__N_125multi_tensor_apply_kernelINS1_18TensorListMetadataILi3EEENS1_32PointwiseOpScalar0dTensorFunctorIhLi3ELi2ELi0EEEJSt7dividesIhEhEEEvT_T0_DpT1_,comdat
.Lfunc_end77:
	.size	_ZN2at6native12_GLOBAL__N_125multi_tensor_apply_kernelINS1_18TensorListMetadataILi3EEENS1_32PointwiseOpScalar0dTensorFunctorIhLi3ELi2ELi0EEEJSt7dividesIhEhEEEvT_T0_DpT1_, .Lfunc_end77-_ZN2at6native12_GLOBAL__N_125multi_tensor_apply_kernelINS1_18TensorListMetadataILi3EEENS1_32PointwiseOpScalar0dTensorFunctorIhLi3ELi2ELi0EEEJSt7dividesIhEhEEEvT_T0_DpT1_
                                        ; -- End function
	.section	.AMDGPU.csdata,"",@progbits
; Kernel info:
; codeLenInByte = 1820
; NumSgprs: 32
; NumVgprs: 40
; NumAgprs: 0
; TotalNumVgprs: 40
; ScratchSize: 0
; MemoryBound: 0
; FloatMode: 240
; IeeeMode: 1
; LDSByteSize: 0 bytes/workgroup (compile time only)
; SGPRBlocks: 3
; VGPRBlocks: 4
; NumSGPRsForWavesPerEU: 32
; NumVGPRsForWavesPerEU: 40
; AccumOffset: 40
; Occupancy: 8
; WaveLimiterHint : 0
; COMPUTE_PGM_RSRC2:SCRATCH_EN: 0
; COMPUTE_PGM_RSRC2:USER_SGPR: 6
; COMPUTE_PGM_RSRC2:TRAP_HANDLER: 0
; COMPUTE_PGM_RSRC2:TGID_X_EN: 1
; COMPUTE_PGM_RSRC2:TGID_Y_EN: 0
; COMPUTE_PGM_RSRC2:TGID_Z_EN: 0
; COMPUTE_PGM_RSRC2:TIDIG_COMP_CNT: 0
; COMPUTE_PGM_RSRC3_GFX90A:ACCUM_OFFSET: 9
; COMPUTE_PGM_RSRC3_GFX90A:TG_SPLIT: 0
	.section	.text._ZN2at6native12_GLOBAL__N_125multi_tensor_apply_kernelINS1_18TensorListMetadataILi3EEENS1_32PointwiseOpScalar0dTensorFunctorIaLi3ELi2ELi0EEEJSt7dividesIaEaEEEvT_T0_DpT1_,"axG",@progbits,_ZN2at6native12_GLOBAL__N_125multi_tensor_apply_kernelINS1_18TensorListMetadataILi3EEENS1_32PointwiseOpScalar0dTensorFunctorIaLi3ELi2ELi0EEEJSt7dividesIaEaEEEvT_T0_DpT1_,comdat
	.globl	_ZN2at6native12_GLOBAL__N_125multi_tensor_apply_kernelINS1_18TensorListMetadataILi3EEENS1_32PointwiseOpScalar0dTensorFunctorIaLi3ELi2ELi0EEEJSt7dividesIaEaEEEvT_T0_DpT1_ ; -- Begin function _ZN2at6native12_GLOBAL__N_125multi_tensor_apply_kernelINS1_18TensorListMetadataILi3EEENS1_32PointwiseOpScalar0dTensorFunctorIaLi3ELi2ELi0EEEJSt7dividesIaEaEEEvT_T0_DpT1_
	.p2align	8
	.type	_ZN2at6native12_GLOBAL__N_125multi_tensor_apply_kernelINS1_18TensorListMetadataILi3EEENS1_32PointwiseOpScalar0dTensorFunctorIaLi3ELi2ELi0EEEJSt7dividesIaEaEEEvT_T0_DpT1_,@function
_ZN2at6native12_GLOBAL__N_125multi_tensor_apply_kernelINS1_18TensorListMetadataILi3EEENS1_32PointwiseOpScalar0dTensorFunctorIaLi3ELi2ELi0EEEJSt7dividesIaEaEEEvT_T0_DpT1_: ; @_ZN2at6native12_GLOBAL__N_125multi_tensor_apply_kernelINS1_18TensorListMetadataILi3EEENS1_32PointwiseOpScalar0dTensorFunctorIaLi3ELi2ELi0EEEJSt7dividesIaEaEEEvT_T0_DpT1_
; %bb.0:
	v_mov_b32_e32 v1, s6
	global_load_ubyte v1, v1, s[4:5] offset:1536
	s_add_u32 s0, s4, s6
	s_addc_u32 s1, s5, 0
	s_mul_hi_u32 s2, s6, 3
	s_mul_i32 s6, s6, 3
	s_add_u32 s0, s0, s6
	s_addc_u32 s1, s1, s2
	s_load_dword s0, s[0:1], 0x740
	v_mov_b32_e32 v3, 0
	s_mov_b32 s17, 0
	s_waitcnt vmcnt(0)
	v_readfirstlane_b32 s1, v1
	s_lshl_b32 s1, s1, 3
	s_load_dwordx2 s[2:3], s[4:5], s1 offset:0x180
	s_load_dwordx2 s[8:9], s[4:5], s1 offset:0x300
	s_waitcnt lgkmcnt(0)
	global_load_ubyte v1, v3, s[2:3]
	s_load_dword s20, s[4:5], 0xc48
	s_load_dwordx2 s[10:11], s[4:5], s1 offset:0x0
	s_load_dwordx2 s[14:15], s[4:5], s1 offset:0x480
	s_ashr_i32 s1, s0, 31
	s_lshl_b64 s[12:13], s[0:1], 16
	s_waitcnt lgkmcnt(0)
	s_add_u32 s6, s10, s12
	s_addc_u32 s7, s11, s13
	s_add_u32 s0, s2, s12
	s_add_u32 s21, s8, s12
	s_addc_u32 s18, s9, s13
	s_or_b32 s0, s21, s0
	s_and_b32 s0, s0, 3
	s_cmp_lg_u32 s0, 0
	s_cselect_b64 s[0:1], -1, 0
	s_sub_u32 s2, s14, s12
	s_subb_u32 s3, s15, s13
	s_or_b64 s[14:15], s[14:15], s[6:7]
	s_and_b32 s16, s14, 3
	s_cmp_lg_u64 s[16:17], 0
	s_cselect_b64 s[14:15], -1, 0
	s_or_b64 s[0:1], s[0:1], s[14:15]
	s_andn2_b64 vcc, exec, s[0:1]
	s_mov_b64 s[0:1], -1
	s_cbranch_vccz .LBB78_5
; %bb.1:
	v_lshlrev_b32_e32 v2, 2, v0
	v_cmp_gt_i64_e32 vcc, s[2:3], v[2:3]
	s_and_saveexec_b64 s[14:15], vcc
	s_cbranch_execz .LBB78_4
; %bb.2:
	s_load_dword s0, s[4:5], 0xc5c
	s_waitcnt vmcnt(0)
	v_cvt_f32_i32_sdwa v4, sext(v1) dst_sel:DWORD dst_unused:UNUSED_PAD src0_sel:BYTE_0
	s_mov_b32 s1, 0
	s_mov_b64 s[16:17], 0
	s_lshr_b32 s22, s20, 16
	s_waitcnt lgkmcnt(0)
	s_and_b32 s0, s0, 0xffff
	s_lshl_b32 s23, s0, 2
	v_mov_b32_e32 v5, s7
	v_mov_b32_e32 v6, s18
	s_mov_b32 s7, 0x6050400
	v_mov_b32_e32 v7, s1
	s_mov_b64 s[18:19], 0xffff
.LBB78_3:                               ; =>This Inner Loop Header: Depth=1
	v_add_co_u32_e32 v8, vcc, s6, v2
	v_addc_co_u32_e32 v9, vcc, v5, v3, vcc
	v_add_co_u32_e32 v10, vcc, s21, v2
	v_addc_co_u32_e32 v11, vcc, v6, v3, vcc
	global_load_dword v12, v[10:11], off
	global_load_dword v13, v[8:9], off
	v_add_co_u32_e32 v2, vcc, s23, v2
	v_addc_co_u32_e32 v3, vcc, v7, v3, vcc
	v_cmp_le_i64_e32 vcc, s[2:3], v[2:3]
	v_cmp_lt_u64_e64 s[0:1], s[18:19], v[2:3]
	s_or_b64 s[0:1], vcc, s[0:1]
	s_and_b64 s[0:1], exec, s[0:1]
	s_or_b64 s[16:17], s[0:1], s[16:17]
	s_waitcnt vmcnt(1)
	v_bfe_i32 v10, v12, 0, 8
	v_bfe_i32 v14, v12, 8, 8
	;; [unrolled: 1-line block ×3, first 2 shown]
	v_xor_b32_sdwa v18, sext(v1), v10 dst_sel:DWORD dst_unused:UNUSED_PAD src0_sel:BYTE_0 src1_sel:DWORD
	v_cvt_f32_i32_e32 v10, v10
	v_ashrrev_i32_e32 v12, 24, v12
	v_xor_b32_sdwa v19, sext(v1), v14 dst_sel:DWORD dst_unused:UNUSED_PAD src0_sel:BYTE_0 src1_sel:DWORD
	v_cvt_f32_i32_e32 v14, v14
	v_xor_b32_sdwa v20, sext(v1), v16 dst_sel:DWORD dst_unused:UNUSED_PAD src0_sel:BYTE_0 src1_sel:DWORD
	v_cvt_f32_i32_e32 v16, v16
	;; [unrolled: 2-line block ×3, first 2 shown]
	v_rcp_iflag_f32_e32 v22, v10
	v_rcp_iflag_f32_e32 v23, v14
	;; [unrolled: 1-line block ×4, first 2 shown]
	v_mul_f32_e32 v22, v4, v22
	v_mul_f32_e32 v23, v4, v23
	;; [unrolled: 1-line block ×3, first 2 shown]
	v_trunc_f32_e32 v22, v22
	v_ashrrev_i32_e32 v18, 30, v18
	v_mul_f32_e32 v25, v4, v25
	v_trunc_f32_e32 v23, v23
	v_trunc_f32_e32 v24, v24
	v_mad_f32 v26, -v22, v10, v4
	v_ashrrev_i32_e32 v19, 30, v19
	v_or_b32_e32 v18, 1, v18
	v_trunc_f32_e32 v25, v25
	v_cvt_i32_f32_e32 v22, v22
	v_mad_f32 v27, -v23, v14, v4
	v_cvt_i32_f32_e32 v23, v23
	v_mad_f32 v28, -v24, v16, v4
	v_cvt_i32_f32_e32 v24, v24
	v_cmp_ge_f32_e64 vcc, |v26|, |v10|
	v_ashrrev_i32_e32 v20, 30, v20
	v_or_b32_e32 v19, 1, v19
	v_mad_f32 v29, -v25, v12, v4
	v_cvt_i32_f32_e32 v25, v25
	v_cndmask_b32_e32 v10, 0, v18, vcc
	v_cmp_ge_f32_e64 vcc, |v27|, |v14|
	v_ashrrev_i32_e32 v21, 30, v21
	v_or_b32_e32 v20, 1, v20
	v_cndmask_b32_e32 v14, 0, v19, vcc
	v_cmp_ge_f32_e64 vcc, |v28|, |v16|
	v_or_b32_e32 v21, 1, v21
	v_cndmask_b32_e32 v16, 0, v20, vcc
	v_cmp_ge_f32_e64 vcc, |v29|, |v12|
	s_waitcnt vmcnt(0)
	v_lshrrev_b32_e32 v11, 8, v13
	v_lshrrev_b32_e32 v15, 16, v13
	v_cndmask_b32_e32 v12, 0, v21, vcc
	v_add_u32_e32 v10, v22, v10
	v_add_u32_e32 v14, v23, v14
	;; [unrolled: 1-line block ×3, first 2 shown]
	v_lshrrev_b32_e32 v17, 24, v13
	v_add_u32_e32 v12, v25, v12
	v_mad_legacy_u16 v10, v10, s22, v13
	v_mad_legacy_u16 v11, v14, s22, v11
	;; [unrolled: 1-line block ×4, first 2 shown]
	v_and_b32_e32 v11, 0xff, v11
	v_and_b32_e32 v13, 0xff, v13
	v_lshlrev_b32_e32 v12, 24, v12
	v_perm_b32 v10, v11, v10, s7
	v_lshlrev_b32_e32 v11, 16, v13
	v_or3_b32 v10, v10, v11, v12
	global_store_dword v[8:9], v10, off
	s_andn2_b64 exec, exec, s[16:17]
	s_cbranch_execnz .LBB78_3
.LBB78_4:
	s_or_b64 exec, exec, s[14:15]
	s_mov_b64 s[0:1], 0
.LBB78_5:
	s_andn2_b64 vcc, exec, s[0:1]
	s_cbranch_vccnz .LBB78_25
; %bb.6:
	v_cmp_lt_i64_e64 s[0:1], s[2:3], 1
	s_and_b64 vcc, exec, s[0:1]
	s_cbranch_vccnz .LBB78_25
; %bb.7:
	s_load_dword s0, s[4:5], 0xc5c
	v_mov_b32_e32 v2, 0x10000
	v_mov_b32_e32 v3, 0
	v_cmp_lt_u64_e32 vcc, s[2:3], v[2:3]
	v_mov_b32_e32 v2, s13
	s_waitcnt lgkmcnt(0)
	s_and_b32 s15, s0, 0xffff
	s_and_b64 s[0:1], vcc, exec
	v_add_co_u32_e32 v3, vcc, s12, v0
	v_addc_co_u32_e32 v2, vcc, 0, v2, vcc
	v_mov_b32_e32 v4, s11
	v_add_co_u32_e32 v11, vcc, s10, v3
	s_cselect_b32 s7, s3, 0
	s_cselect_b32 s6, s2, 0x10000
	s_lshl_b32 s16, s15, 1
	s_mul_i32 s0, s15, 3
	s_lshl_b32 s14, s15, 2
	v_addc_co_u32_e32 v12, vcc, v4, v2, vcc
	v_mov_b32_e32 v5, s9
	v_add_co_u32_e32 v13, vcc, s8, v3
	s_add_u32 s1, s12, s0
	v_addc_co_u32_e32 v14, vcc, v5, v2, vcc
	s_addc_u32 s9, s13, 0
	v_mov_b32_e32 v6, s9
	v_add_co_u32_e32 v7, vcc, s1, v0
	v_addc_co_u32_e32 v6, vcc, 0, v6, vcc
	v_add_co_u32_e32 v15, vcc, s10, v7
	v_addc_co_u32_e32 v16, vcc, v4, v6, vcc
	;; [unrolled: 2-line block ×3, first 2 shown]
	v_add_co_u32_e32 v19, vcc, s0, v0
	v_addc_co_u32_e64 v20, s[0:1], 0, 0, vcc
	s_add_u32 s0, s12, s16
	s_addc_u32 s1, s13, 0
	v_mov_b32_e32 v6, s1
	v_add_co_u32_e32 v7, vcc, s0, v0
	v_addc_co_u32_e32 v6, vcc, 0, v6, vcc
	v_add_co_u32_e32 v21, vcc, s10, v7
	v_addc_co_u32_e32 v22, vcc, v4, v6, vcc
	;; [unrolled: 2-line block ×3, first 2 shown]
	v_add_co_u32_e32 v25, vcc, s16, v0
	v_addc_co_u32_e64 v26, s[0:1], 0, 0, vcc
	v_add_co_u32_e32 v3, vcc, s15, v3
	v_addc_co_u32_e32 v2, vcc, 0, v2, vcc
	v_add_co_u32_e32 v27, vcc, s10, v3
	v_addc_co_u32_e32 v28, vcc, v4, v2, vcc
	s_waitcnt vmcnt(0)
	v_cvt_f32_i32_sdwa v10, sext(v1) dst_sel:DWORD dst_unused:UNUSED_PAD src0_sel:BYTE_0
	v_add_co_u32_e32 v29, vcc, s8, v3
	v_addc_co_u32_e32 v30, vcc, v5, v2, vcc
	v_add_co_u32_e32 v31, vcc, s15, v0
	s_mov_b64 s[4:5], 0x10000
	v_addc_co_u32_e64 v32, s[0:1], 0, 0, vcc
	s_mov_b64 s[8:9], 0
	s_branch .LBB78_9
.LBB78_8:                               ;   in Loop: Header=BB78_9 Depth=1
	s_or_b64 exec, exec, s[0:1]
	s_add_u32 s8, s8, s14
	s_addc_u32 s9, s9, 0
	v_pk_mov_b32 v[2:3], s[2:3], s[2:3] op_sel:[0,1]
	v_cmp_ge_i64_e32 vcc, s[8:9], v[2:3]
	v_mov_b32_e32 v2, 0xffff
	v_mov_b32_e32 v3, 0
	v_cmp_gt_u64_e64 s[0:1], s[8:9], v[2:3]
	s_or_b64 s[0:1], vcc, s[0:1]
	s_and_b64 vcc, exec, s[0:1]
	s_cbranch_vccnz .LBB78_25
.LBB78_9:                               ; =>This Inner Loop Header: Depth=1
	v_mov_b32_e32 v2, s9
	v_add_co_u32_e32 v8, vcc, s8, v0
	v_addc_co_u32_e32 v9, vcc, 0, v2, vcc
	v_cmp_gt_i64_e32 vcc, s[2:3], v[8:9]
	v_cmp_gt_u64_e64 s[0:1], s[4:5], v[8:9]
	s_and_b64 s[10:11], vcc, s[0:1]
	s_waitcnt vmcnt(0)
	v_mov_b32_e32 v34, 0
	v_mov_b32_e32 v33, 0
	s_and_saveexec_b64 s[0:1], s[10:11]
	s_cbranch_execz .LBB78_11
; %bb.10:                               ;   in Loop: Header=BB78_9 Depth=1
	v_mov_b32_e32 v5, s9
	v_add_co_u32_e32 v2, vcc, s8, v11
	v_addc_co_u32_e32 v3, vcc, v12, v5, vcc
	v_add_co_u32_e32 v4, vcc, s8, v13
	v_addc_co_u32_e32 v5, vcc, v14, v5, vcc
	global_load_ubyte v33, v[2:3], off
	global_load_ubyte v34, v[4:5], off
.LBB78_11:                              ;   in Loop: Header=BB78_9 Depth=1
	s_or_b64 exec, exec, s[0:1]
	v_mov_b32_e32 v2, s9
	v_add_co_u32_e32 v6, vcc, s8, v31
	v_addc_co_u32_e32 v7, vcc, v32, v2, vcc
	v_cmp_gt_i64_e32 vcc, s[2:3], v[6:7]
	v_cmp_gt_u64_e64 s[0:1], s[4:5], v[6:7]
	s_and_b64 s[10:11], vcc, s[0:1]
	s_and_saveexec_b64 s[0:1], s[10:11]
	s_cbranch_execz .LBB78_13
; %bb.12:                               ;   in Loop: Header=BB78_9 Depth=1
	v_mov_b32_e32 v5, s9
	v_add_co_u32_e32 v2, vcc, s8, v29
	v_addc_co_u32_e32 v3, vcc, v30, v5, vcc
	v_add_co_u32_e32 v4, vcc, s8, v27
	v_addc_co_u32_e32 v5, vcc, v28, v5, vcc
	global_load_ubyte v35, v[4:5], off
	global_load_ubyte v36, v[2:3], off
	s_waitcnt vmcnt(1)
	v_lshl_or_b32 v33, v35, 8, v33
	s_waitcnt vmcnt(0)
	v_lshl_or_b32 v34, v36, 8, v34
.LBB78_13:                              ;   in Loop: Header=BB78_9 Depth=1
	s_or_b64 exec, exec, s[0:1]
	v_mov_b32_e32 v2, s9
	v_add_co_u32_e32 v4, vcc, s8, v25
	v_addc_co_u32_e32 v5, vcc, v26, v2, vcc
	v_cmp_gt_i64_e32 vcc, s[2:3], v[4:5]
	v_cmp_gt_u64_e64 s[0:1], s[4:5], v[4:5]
	s_and_b64 s[10:11], vcc, s[0:1]
	s_and_saveexec_b64 s[0:1], s[10:11]
	s_cbranch_execz .LBB78_15
; %bb.14:                               ;   in Loop: Header=BB78_9 Depth=1
	v_mov_b32_e32 v35, s9
	v_add_co_u32_e32 v2, vcc, s8, v23
	v_addc_co_u32_e32 v3, vcc, v24, v35, vcc
	v_add_co_u32_e32 v36, vcc, s8, v21
	v_addc_co_u32_e32 v37, vcc, v22, v35, vcc
	global_load_ubyte v35, v[36:37], off
	global_load_ubyte v38, v[2:3], off
	s_waitcnt vmcnt(1)
	v_lshl_or_b32 v33, v35, 16, v33
	s_waitcnt vmcnt(0)
	v_lshl_or_b32 v34, v38, 16, v34
.LBB78_15:                              ;   in Loop: Header=BB78_9 Depth=1
	s_or_b64 exec, exec, s[0:1]
	v_mov_b32_e32 v3, s9
	v_add_co_u32_e32 v2, vcc, s8, v19
	v_addc_co_u32_e32 v3, vcc, v20, v3, vcc
	v_cmp_gt_i64_e32 vcc, s[2:3], v[2:3]
	v_cmp_gt_u64_e64 s[0:1], s[4:5], v[2:3]
	s_and_b64 s[10:11], vcc, s[0:1]
	s_and_saveexec_b64 s[0:1], s[10:11]
	s_cbranch_execnz .LBB78_20
; %bb.16:                               ;   in Loop: Header=BB78_9 Depth=1
	s_or_b64 exec, exec, s[0:1]
	v_cmp_gt_u64_e32 vcc, s[6:7], v[8:9]
	s_and_saveexec_b64 s[0:1], vcc
	s_cbranch_execnz .LBB78_21
.LBB78_17:                              ;   in Loop: Header=BB78_9 Depth=1
	s_or_b64 exec, exec, s[0:1]
	v_cmp_gt_u64_e32 vcc, s[6:7], v[6:7]
	s_and_saveexec_b64 s[0:1], vcc
	s_cbranch_execnz .LBB78_22
.LBB78_18:                              ;   in Loop: Header=BB78_9 Depth=1
	s_or_b64 exec, exec, s[0:1]
	v_cmp_gt_u64_e32 vcc, s[6:7], v[4:5]
	s_and_saveexec_b64 s[0:1], vcc
	s_cbranch_execnz .LBB78_23
.LBB78_19:                              ;   in Loop: Header=BB78_9 Depth=1
	s_or_b64 exec, exec, s[0:1]
	v_cmp_gt_u64_e32 vcc, s[6:7], v[2:3]
	s_and_saveexec_b64 s[0:1], vcc
	s_cbranch_execz .LBB78_8
	s_branch .LBB78_24
.LBB78_20:                              ;   in Loop: Header=BB78_9 Depth=1
	v_mov_b32_e32 v35, s9
	v_add_co_u32_e32 v36, vcc, s8, v17
	v_addc_co_u32_e32 v37, vcc, v18, v35, vcc
	v_add_co_u32_e32 v38, vcc, s8, v15
	v_addc_co_u32_e32 v39, vcc, v16, v35, vcc
	global_load_ubyte v35, v[38:39], off
	global_load_ubyte v40, v[36:37], off
	s_waitcnt vmcnt(1)
	v_lshl_or_b32 v33, v35, 24, v33
	s_waitcnt vmcnt(0)
	v_lshl_or_b32 v34, v40, 24, v34
	s_or_b64 exec, exec, s[0:1]
	v_cmp_gt_u64_e32 vcc, s[6:7], v[8:9]
	s_and_saveexec_b64 s[0:1], vcc
	s_cbranch_execz .LBB78_17
.LBB78_21:                              ;   in Loop: Header=BB78_9 Depth=1
	s_waitcnt vmcnt(0)
	v_bfe_i32 v8, v34, 0, 8
	v_cvt_f32_i32_e32 v9, v8
	v_xor_b32_sdwa v8, sext(v1), v8 dst_sel:DWORD dst_unused:UNUSED_PAD src0_sel:BYTE_0 src1_sel:DWORD
	v_ashrrev_i32_e32 v8, 30, v8
	v_or_b32_e32 v8, 1, v8
	v_rcp_iflag_f32_e32 v36, v9
	s_lshr_b32 s10, s20, 16
	v_mov_b32_e32 v35, s9
	v_mul_f32_e32 v36, v10, v36
	v_trunc_f32_e32 v36, v36
	v_cvt_i32_f32_e32 v37, v36
	v_mad_f32 v36, -v36, v9, v10
	v_cmp_ge_f32_e64 vcc, |v36|, |v9|
	v_cndmask_b32_e32 v8, 0, v8, vcc
	v_add_u32_e32 v8, v37, v8
	v_mad_legacy_u16 v36, v8, s10, v33
	v_add_co_u32_e32 v8, vcc, s8, v11
	v_addc_co_u32_e32 v9, vcc, v12, v35, vcc
	global_store_byte v[8:9], v36, off
	s_or_b64 exec, exec, s[0:1]
	v_cmp_gt_u64_e32 vcc, s[6:7], v[6:7]
	s_and_saveexec_b64 s[0:1], vcc
	s_cbranch_execz .LBB78_18
.LBB78_22:                              ;   in Loop: Header=BB78_9 Depth=1
	s_waitcnt vmcnt(0)
	v_bfe_i32 v6, v34, 8, 8
	v_cvt_f32_i32_e32 v7, v6
	v_xor_b32_sdwa v6, sext(v1), v6 dst_sel:DWORD dst_unused:UNUSED_PAD src0_sel:BYTE_0 src1_sel:DWORD
	v_ashrrev_i32_e32 v6, 30, v6
	v_or_b32_e32 v6, 1, v6
	v_rcp_iflag_f32_e32 v35, v7
	s_lshr_b32 s10, s20, 16
	v_lshrrev_b32_e32 v8, 8, v33
	v_mov_b32_e32 v9, s9
	v_mul_f32_e32 v35, v10, v35
	v_trunc_f32_e32 v35, v35
	v_cvt_i32_f32_e32 v36, v35
	v_mad_f32 v35, -v35, v7, v10
	v_cmp_ge_f32_e64 vcc, |v35|, |v7|
	v_cndmask_b32_e32 v6, 0, v6, vcc
	v_add_u32_e32 v6, v36, v6
	v_mad_legacy_u16 v8, v6, s10, v8
	v_add_co_u32_e32 v6, vcc, s8, v27
	v_addc_co_u32_e32 v7, vcc, v28, v9, vcc
	global_store_byte v[6:7], v8, off
	s_or_b64 exec, exec, s[0:1]
	v_cmp_gt_u64_e32 vcc, s[6:7], v[4:5]
	s_and_saveexec_b64 s[0:1], vcc
	s_cbranch_execz .LBB78_19
.LBB78_23:                              ;   in Loop: Header=BB78_9 Depth=1
	s_waitcnt vmcnt(0)
	v_bfe_i32 v4, v34, 16, 8
	v_cvt_f32_i32_e32 v5, v4
	v_xor_b32_sdwa v4, sext(v1), v4 dst_sel:DWORD dst_unused:UNUSED_PAD src0_sel:BYTE_0 src1_sel:DWORD
	v_ashrrev_i32_e32 v4, 30, v4
	v_or_b32_e32 v4, 1, v4
	v_rcp_iflag_f32_e32 v8, v5
	s_lshr_b32 s10, s20, 16
	v_lshrrev_b32_e32 v6, 16, v33
	v_mov_b32_e32 v7, s9
	v_mul_f32_e32 v8, v10, v8
	v_trunc_f32_e32 v8, v8
	v_cvt_i32_f32_e32 v9, v8
	v_mad_f32 v8, -v8, v5, v10
	v_cmp_ge_f32_e64 vcc, |v8|, |v5|
	v_cndmask_b32_e32 v4, 0, v4, vcc
	v_add_u32_e32 v4, v9, v4
	v_mad_legacy_u16 v6, v4, s10, v6
	v_add_co_u32_e32 v4, vcc, s8, v21
	v_addc_co_u32_e32 v5, vcc, v22, v7, vcc
	global_store_byte v[4:5], v6, off
	s_or_b64 exec, exec, s[0:1]
	v_cmp_gt_u64_e32 vcc, s[6:7], v[2:3]
	s_and_saveexec_b64 s[0:1], vcc
	s_cbranch_execz .LBB78_8
.LBB78_24:                              ;   in Loop: Header=BB78_9 Depth=1
	s_waitcnt vmcnt(0)
	v_ashrrev_i32_e32 v2, 24, v34
	v_cvt_f32_i32_e32 v3, v2
	v_xor_b32_sdwa v2, sext(v1), v2 dst_sel:DWORD dst_unused:UNUSED_PAD src0_sel:BYTE_0 src1_sel:DWORD
	v_ashrrev_i32_e32 v2, 30, v2
	v_or_b32_e32 v2, 1, v2
	v_rcp_iflag_f32_e32 v6, v3
	s_lshr_b32 s10, s20, 16
	v_lshrrev_b32_e32 v4, 24, v33
	v_mov_b32_e32 v5, s9
	v_mul_f32_e32 v6, v10, v6
	v_trunc_f32_e32 v6, v6
	v_cvt_i32_f32_e32 v7, v6
	v_mad_f32 v6, -v6, v3, v10
	v_cmp_ge_f32_e64 vcc, |v6|, |v3|
	v_cndmask_b32_e32 v2, 0, v2, vcc
	v_add_u32_e32 v2, v7, v2
	v_mad_legacy_u16 v4, v2, s10, v4
	v_add_co_u32_e32 v2, vcc, s8, v15
	v_addc_co_u32_e32 v3, vcc, v16, v5, vcc
	global_store_byte v[2:3], v4, off
	s_branch .LBB78_8
.LBB78_25:
	s_endpgm
	.section	.rodata,"a",@progbits
	.p2align	6, 0x0
	.amdhsa_kernel _ZN2at6native12_GLOBAL__N_125multi_tensor_apply_kernelINS1_18TensorListMetadataILi3EEENS1_32PointwiseOpScalar0dTensorFunctorIaLi3ELi2ELi0EEEJSt7dividesIaEaEEEvT_T0_DpT1_
		.amdhsa_group_segment_fixed_size 0
		.amdhsa_private_segment_fixed_size 0
		.amdhsa_kernarg_size 3408
		.amdhsa_user_sgpr_count 6
		.amdhsa_user_sgpr_private_segment_buffer 1
		.amdhsa_user_sgpr_dispatch_ptr 0
		.amdhsa_user_sgpr_queue_ptr 0
		.amdhsa_user_sgpr_kernarg_segment_ptr 1
		.amdhsa_user_sgpr_dispatch_id 0
		.amdhsa_user_sgpr_flat_scratch_init 0
		.amdhsa_user_sgpr_kernarg_preload_length 0
		.amdhsa_user_sgpr_kernarg_preload_offset 0
		.amdhsa_user_sgpr_private_segment_size 0
		.amdhsa_uses_dynamic_stack 0
		.amdhsa_system_sgpr_private_segment_wavefront_offset 0
		.amdhsa_system_sgpr_workgroup_id_x 1
		.amdhsa_system_sgpr_workgroup_id_y 0
		.amdhsa_system_sgpr_workgroup_id_z 0
		.amdhsa_system_sgpr_workgroup_info 0
		.amdhsa_system_vgpr_workitem_id 0
		.amdhsa_next_free_vgpr 41
		.amdhsa_next_free_sgpr 24
		.amdhsa_accum_offset 44
		.amdhsa_reserve_vcc 1
		.amdhsa_reserve_flat_scratch 0
		.amdhsa_float_round_mode_32 0
		.amdhsa_float_round_mode_16_64 0
		.amdhsa_float_denorm_mode_32 3
		.amdhsa_float_denorm_mode_16_64 3
		.amdhsa_dx10_clamp 1
		.amdhsa_ieee_mode 1
		.amdhsa_fp16_overflow 0
		.amdhsa_tg_split 0
		.amdhsa_exception_fp_ieee_invalid_op 0
		.amdhsa_exception_fp_denorm_src 0
		.amdhsa_exception_fp_ieee_div_zero 0
		.amdhsa_exception_fp_ieee_overflow 0
		.amdhsa_exception_fp_ieee_underflow 0
		.amdhsa_exception_fp_ieee_inexact 0
		.amdhsa_exception_int_div_zero 0
	.end_amdhsa_kernel
	.section	.text._ZN2at6native12_GLOBAL__N_125multi_tensor_apply_kernelINS1_18TensorListMetadataILi3EEENS1_32PointwiseOpScalar0dTensorFunctorIaLi3ELi2ELi0EEEJSt7dividesIaEaEEEvT_T0_DpT1_,"axG",@progbits,_ZN2at6native12_GLOBAL__N_125multi_tensor_apply_kernelINS1_18TensorListMetadataILi3EEENS1_32PointwiseOpScalar0dTensorFunctorIaLi3ELi2ELi0EEEJSt7dividesIaEaEEEvT_T0_DpT1_,comdat
.Lfunc_end78:
	.size	_ZN2at6native12_GLOBAL__N_125multi_tensor_apply_kernelINS1_18TensorListMetadataILi3EEENS1_32PointwiseOpScalar0dTensorFunctorIaLi3ELi2ELi0EEEJSt7dividesIaEaEEEvT_T0_DpT1_, .Lfunc_end78-_ZN2at6native12_GLOBAL__N_125multi_tensor_apply_kernelINS1_18TensorListMetadataILi3EEENS1_32PointwiseOpScalar0dTensorFunctorIaLi3ELi2ELi0EEEJSt7dividesIaEaEEEvT_T0_DpT1_
                                        ; -- End function
	.section	.AMDGPU.csdata,"",@progbits
; Kernel info:
; codeLenInByte = 2032
; NumSgprs: 28
; NumVgprs: 41
; NumAgprs: 0
; TotalNumVgprs: 41
; ScratchSize: 0
; MemoryBound: 0
; FloatMode: 240
; IeeeMode: 1
; LDSByteSize: 0 bytes/workgroup (compile time only)
; SGPRBlocks: 3
; VGPRBlocks: 5
; NumSGPRsForWavesPerEU: 28
; NumVGPRsForWavesPerEU: 41
; AccumOffset: 44
; Occupancy: 8
; WaveLimiterHint : 0
; COMPUTE_PGM_RSRC2:SCRATCH_EN: 0
; COMPUTE_PGM_RSRC2:USER_SGPR: 6
; COMPUTE_PGM_RSRC2:TRAP_HANDLER: 0
; COMPUTE_PGM_RSRC2:TGID_X_EN: 1
; COMPUTE_PGM_RSRC2:TGID_Y_EN: 0
; COMPUTE_PGM_RSRC2:TGID_Z_EN: 0
; COMPUTE_PGM_RSRC2:TIDIG_COMP_CNT: 0
; COMPUTE_PGM_RSRC3_GFX90A:ACCUM_OFFSET: 10
; COMPUTE_PGM_RSRC3_GFX90A:TG_SPLIT: 0
	.section	.text._ZN2at6native12_GLOBAL__N_125multi_tensor_apply_kernelINS1_18TensorListMetadataILi3EEENS1_32PointwiseOpScalar0dTensorFunctorIiLi3ELi2ELi0EEEJSt7dividesIiEiEEEvT_T0_DpT1_,"axG",@progbits,_ZN2at6native12_GLOBAL__N_125multi_tensor_apply_kernelINS1_18TensorListMetadataILi3EEENS1_32PointwiseOpScalar0dTensorFunctorIiLi3ELi2ELi0EEEJSt7dividesIiEiEEEvT_T0_DpT1_,comdat
	.globl	_ZN2at6native12_GLOBAL__N_125multi_tensor_apply_kernelINS1_18TensorListMetadataILi3EEENS1_32PointwiseOpScalar0dTensorFunctorIiLi3ELi2ELi0EEEJSt7dividesIiEiEEEvT_T0_DpT1_ ; -- Begin function _ZN2at6native12_GLOBAL__N_125multi_tensor_apply_kernelINS1_18TensorListMetadataILi3EEENS1_32PointwiseOpScalar0dTensorFunctorIiLi3ELi2ELi0EEEJSt7dividesIiEiEEEvT_T0_DpT1_
	.p2align	8
	.type	_ZN2at6native12_GLOBAL__N_125multi_tensor_apply_kernelINS1_18TensorListMetadataILi3EEENS1_32PointwiseOpScalar0dTensorFunctorIiLi3ELi2ELi0EEEJSt7dividesIiEiEEEvT_T0_DpT1_,@function
_ZN2at6native12_GLOBAL__N_125multi_tensor_apply_kernelINS1_18TensorListMetadataILi3EEENS1_32PointwiseOpScalar0dTensorFunctorIiLi3ELi2ELi0EEEJSt7dividesIiEiEEEvT_T0_DpT1_: ; @_ZN2at6native12_GLOBAL__N_125multi_tensor_apply_kernelINS1_18TensorListMetadataILi3EEENS1_32PointwiseOpScalar0dTensorFunctorIiLi3ELi2ELi0EEEJSt7dividesIiEiEEEvT_T0_DpT1_
; %bb.0:
	v_mov_b32_e32 v1, s6
	global_load_ubyte v1, v1, s[4:5] offset:1536
	s_add_u32 s0, s4, s6
	s_mul_hi_u32 s1, s6, 3
	s_mul_i32 s6, s6, 3
	s_addc_u32 s2, s5, 0
	s_add_u32 s0, s0, s6
	s_addc_u32 s1, s2, s1
	s_load_dword s2, s[0:1], 0x740
	s_load_dword s22, s[4:5], 0xc4c
	s_mov_b32 s1, 0
	s_mov_b32 s7, s1
	s_waitcnt lgkmcnt(0)
	s_ashr_i32 s3, s2, 31
	s_lshl_b64 s[8:9], s[2:3], 18
	s_waitcnt vmcnt(0)
	v_readfirstlane_b32 s0, v1
	s_lshl_b32 s0, s0, 3
	s_load_dwordx2 s[14:15], s[4:5], s0 offset:0x0
	s_load_dwordx2 s[10:11], s[4:5], s0 offset:0x180
	;; [unrolled: 1-line block ×4, first 2 shown]
	s_waitcnt lgkmcnt(0)
	s_and_b32 s0, s14, 15
	s_add_u32 s6, s10, s8
	s_load_dword s23, s[10:11], 0x0
	s_or_b32 s6, s12, s6
	s_and_b32 s6, s6, 15
	s_cmp_lg_u32 s6, 0
	s_cselect_b64 s[18:19], -1, 0
	s_lshl_b64 s[2:3], s[2:3], 16
	s_sub_u32 s10, s16, s2
	s_subb_u32 s11, s17, s3
	s_and_b32 s6, s16, 3
	s_or_b64 s[2:3], s[0:1], s[6:7]
	s_cmp_lg_u64 s[2:3], 0
	s_cselect_b64 s[2:3], -1, 0
	s_or_b64 s[2:3], s[18:19], s[2:3]
	s_andn2_b64 vcc, exec, s[2:3]
	s_mov_b64 s[2:3], -1
	s_cbranch_vccz .LBB79_5
; %bb.1:
	v_mov_b32_e32 v3, 0
	v_lshlrev_b32_e32 v2, 2, v0
	v_cmp_gt_i64_e32 vcc, s[10:11], v[2:3]
	s_and_saveexec_b64 s[16:17], vcc
	s_cbranch_execz .LBB79_4
; %bb.2:
	s_load_dword s0, s[4:5], 0xc5c
	v_lshlrev_b32_e32 v1, 4, v0
	v_mov_b32_e32 v4, s9
	v_add_co_u32_e32 v1, vcc, s8, v1
	v_addc_co_u32_e32 v5, vcc, 0, v4, vcc
	s_waitcnt lgkmcnt(0)
	s_and_b32 s0, s0, 0xffff
	v_add_co_u32_e32 v4, vcc, 8, v1
	s_mov_b32 s24, s22
	s_ashr_i32 s25, s23, 31
	s_abs_i32 s26, s23
	v_add_lshl_u32 v2, v0, s0, 2
	s_lshl_b32 s27, s0, 2
	v_addc_co_u32_e32 v1, vcc, 0, v5, vcc
	s_lshl_b32 s28, s0, 4
	s_mov_b64 s[18:19], 0
	v_mov_b32_e32 v5, s15
	v_mov_b32_e32 v8, s13
	s_mov_b64 s[20:21], 0xffff
	v_mov_b32_e32 v9, s1
	v_mov_b32_e32 v10, s1
.LBB79_3:                               ; =>This Inner Loop Header: Depth=1
	v_add_co_u32_e32 v6, vcc, s14, v4
	v_addc_co_u32_e32 v7, vcc, v5, v1, vcc
	v_add_co_u32_e32 v20, vcc, s12, v4
	v_addc_co_u32_e32 v21, vcc, v8, v1, vcc
	global_load_dwordx4 v[12:15], v[20:21], off offset:-8
	global_load_dwordx4 v[16:19], v[6:7], off offset:-8
	v_cmp_le_i64_e32 vcc, s[10:11], v[2:3]
	v_cmp_lt_u64_e64 s[0:1], s[20:21], v[2:3]
	v_add_co_u32_e64 v2, s[2:3], s27, v2
	v_addc_co_u32_e64 v3, s[2:3], v3, v9, s[2:3]
	s_or_b64 s[0:1], vcc, s[0:1]
	v_add_co_u32_e64 v4, s[2:3], s28, v4
	s_and_b64 s[0:1], exec, s[0:1]
	v_addc_co_u32_e64 v1, s[2:3], v1, v10, s[2:3]
	s_or_b64 s[18:19], s[0:1], s[18:19]
	s_waitcnt vmcnt(1)
	v_sub_u32_e32 v21, 0, v12
	v_ashrrev_i32_e32 v11, 31, v12
	v_ashrrev_i32_e32 v23, 31, v13
	v_sub_u32_e32 v24, 0, v13
	v_ashrrev_i32_e32 v25, 31, v14
	v_max_i32_e32 v12, v12, v21
	v_sub_u32_e32 v26, 0, v14
	v_ashrrev_i32_e32 v27, 31, v15
	v_xor_b32_e32 v21, s25, v23
	v_max_i32_e32 v13, v13, v24
	v_xor_b32_e32 v23, s25, v25
	v_cvt_f32_u32_e32 v25, v12
	v_sub_u32_e32 v28, 0, v15
	v_max_i32_e32 v14, v14, v26
	v_xor_b32_e32 v24, s25, v27
	v_cvt_f32_u32_e32 v27, v13
	v_max_i32_e32 v15, v15, v28
	v_cvt_f32_u32_e32 v29, v14
	v_cvt_f32_u32_e32 v31, v15
	v_rcp_iflag_f32_e32 v25, v25
	v_rcp_iflag_f32_e32 v27, v27
	;; [unrolled: 1-line block ×4, first 2 shown]
	v_mul_f32_e32 v25, 0x4f7ffffe, v25
	v_mul_f32_e32 v27, 0x4f7ffffe, v27
	v_cvt_u32_f32_e32 v25, v25
	v_mul_f32_e32 v29, 0x4f7ffffe, v29
	v_cvt_u32_f32_e32 v27, v27
	;; [unrolled: 2-line block ×3, first 2 shown]
	v_sub_u32_e32 v26, 0, v12
	v_cvt_u32_f32_e32 v31, v31
	v_sub_u32_e32 v28, 0, v13
	v_mul_lo_u32 v26, v26, v25
	v_sub_u32_e32 v30, 0, v14
	v_mul_lo_u32 v28, v28, v27
	v_mul_hi_u32 v26, v25, v26
	v_sub_u32_e32 v32, 0, v15
	v_mul_lo_u32 v30, v30, v29
	v_mul_hi_u32 v28, v27, v28
	v_add_u32_e32 v25, v25, v26
	v_mul_lo_u32 v32, v32, v31
	v_mul_hi_u32 v30, v29, v30
	v_add_u32_e32 v26, v27, v28
	v_mul_hi_u32 v25, s26, v25
	v_mul_hi_u32 v32, v31, v32
	v_add_u32_e32 v27, v29, v30
	v_mul_hi_u32 v26, s26, v26
	v_mul_lo_u32 v29, v25, v12
	v_add_u32_e32 v28, v31, v32
	v_mul_hi_u32 v27, s26, v27
	v_mul_lo_u32 v31, v26, v13
	v_sub_u32_e32 v29, s26, v29
	v_mul_hi_u32 v28, s26, v28
	v_add_u32_e32 v30, 1, v25
	v_mul_lo_u32 v33, v27, v14
	v_sub_u32_e32 v31, s26, v31
	v_cmp_ge_u32_e32 vcc, v29, v12
	v_add_u32_e32 v32, 1, v26
	v_mul_lo_u32 v35, v28, v15
	v_sub_u32_e32 v33, s26, v33
	v_cndmask_b32_e32 v25, v25, v30, vcc
	v_sub_u32_e32 v30, v29, v12
	v_cmp_ge_u32_e64 s[0:1], v31, v13
	v_add_u32_e32 v34, 1, v27
	v_sub_u32_e32 v35, s26, v35
	v_cndmask_b32_e64 v26, v26, v32, s[0:1]
	v_sub_u32_e32 v32, v31, v13
	v_cmp_ge_u32_e64 s[2:3], v33, v14
	v_cndmask_b32_e32 v29, v29, v30, vcc
	v_add_u32_e32 v36, 1, v28
	v_cndmask_b32_e64 v27, v27, v34, s[2:3]
	v_sub_u32_e32 v34, v33, v14
	v_cmp_ge_u32_e64 s[6:7], v35, v15
	v_add_u32_e32 v30, 1, v25
	v_cndmask_b32_e64 v31, v31, v32, s[0:1]
	v_cmp_ge_u32_e32 vcc, v29, v12
	v_cndmask_b32_e64 v28, v28, v36, s[6:7]
	v_sub_u32_e32 v36, v35, v15
	v_add_u32_e32 v32, 1, v26
	v_cndmask_b32_e64 v33, v33, v34, s[2:3]
	v_cndmask_b32_e32 v12, v25, v30, vcc
	v_cmp_ge_u32_e32 vcc, v31, v13
	v_add_u32_e32 v34, 1, v27
	v_cndmask_b32_e64 v35, v35, v36, s[6:7]
	v_cndmask_b32_e32 v13, v26, v32, vcc
	v_cmp_ge_u32_e32 vcc, v33, v14
	v_add_u32_e32 v36, 1, v28
	v_cndmask_b32_e32 v14, v27, v34, vcc
	v_cmp_ge_u32_e32 vcc, v35, v15
	v_xor_b32_e32 v11, s25, v11
	v_cndmask_b32_e32 v15, v28, v36, vcc
	v_xor_b32_e32 v12, v12, v11
	v_xor_b32_e32 v13, v13, v21
	v_xor_b32_e32 v14, v14, v23
	v_xor_b32_e32 v15, v15, v24
	s_waitcnt vmcnt(0)
	v_mov_b32_e32 v20, v17
	v_mov_b32_e32 v22, v19
	v_sub_u32_e32 v11, v12, v11
	v_sub_u32_e32 v12, v13, v21
	;; [unrolled: 1-line block ×4, first 2 shown]
	v_mad_u64_u32 v[20:21], s[0:1], v12, s24, v[20:21]
	v_mad_u64_u32 v[12:13], s[0:1], v11, s22, v[16:17]
	;; [unrolled: 1-line block ×4, first 2 shown]
	v_mov_b32_e32 v13, v20
	v_mov_b32_e32 v15, v16
	global_store_dwordx4 v[6:7], v[12:15], off offset:-8
	s_andn2_b64 exec, exec, s[18:19]
	s_cbranch_execnz .LBB79_3
.LBB79_4:
	s_or_b64 exec, exec, s[16:17]
	s_mov_b64 s[2:3], 0
.LBB79_5:
	s_andn2_b64 vcc, exec, s[2:3]
	s_cbranch_vccnz .LBB79_25
; %bb.6:
	v_cmp_lt_i64_e64 s[0:1], s[10:11], 1
	s_and_b64 vcc, exec, s[0:1]
	s_cbranch_vccnz .LBB79_25
; %bb.7:
	s_load_dword s0, s[4:5], 0xc5c
	v_mov_b32_e32 v2, 0x10000
	v_mov_b32_e32 v3, 0
	v_cmp_lt_u64_e32 vcc, s[10:11], v[2:3]
	v_lshlrev_b32_e32 v10, 2, v0
	s_waitcnt lgkmcnt(0)
	s_and_b32 s16, s0, 0xffff
	s_and_b64 s[0:1], vcc, exec
	v_mov_b32_e32 v15, s15
	v_add_co_u32_e32 v2, vcc, s14, v10
	v_mov_b32_e32 v1, 0
	v_addc_co_u32_e32 v3, vcc, 0, v15, vcc
	v_mov_b32_e32 v11, v1
	v_mov_b32_e32 v17, s13
	v_add_co_u32_e32 v4, vcc, s12, v10
	v_addc_co_u32_e32 v5, vcc, 0, v17, vcc
	v_mad_u64_u32 v[8:9], s[0:1], s16, 12, v[10:11]
	v_add_co_u32_e32 v6, vcc, s14, v8
	v_addc_co_u32_e32 v7, vcc, v15, v9, vcc
	v_add_co_u32_e32 v8, vcc, s12, v8
	s_cselect_b32 s5, s11, 0
	s_cselect_b32 s4, s10, 0x10000
	v_addc_co_u32_e32 v9, vcc, v17, v9, vcc
	s_lshl_b32 s0, s16, 3
	v_add_co_u32_e32 v12, vcc, s0, v10
	v_addc_co_u32_e64 v13, s[0:1], 0, 0, vcc
	v_add_co_u32_e32 v10, vcc, s14, v12
	v_addc_co_u32_e32 v11, vcc, v15, v13, vcc
	v_add_co_u32_e32 v12, vcc, s12, v12
	v_addc_co_u32_e32 v13, vcc, v17, v13, vcc
	v_add_lshl_u32 v16, v0, s16, 2
	v_add_co_u32_e32 v14, vcc, s14, v16
	s_mov_b32 s25, 0
	v_addc_co_u32_e32 v15, vcc, 0, v15, vcc
	s_lshl_b32 s6, s16, 2
	s_mov_b32 s7, s25
	v_add_co_u32_e32 v16, vcc, s12, v16
	s_mov_b64 s[2:3], 0x10000
	s_lshl_b32 s17, s16, 1
	s_mov_b32 s18, s25
	s_mul_i32 s19, s16, 3
	s_mov_b32 s20, s25
	s_ashr_i32 s21, s23, 31
	s_abs_i32 s23, s23
	s_lshl_b32 s15, s16, 4
	s_mov_b32 s24, s25
	v_addc_co_u32_e32 v17, vcc, 0, v17, vcc
	v_mov_b32_e32 v19, s25
	s_mov_b64 s[12:13], s[6:7]
	s_branch .LBB79_9
.LBB79_8:                               ;   in Loop: Header=BB79_9 Depth=1
	s_or_b64 exec, exec, s[0:1]
	s_waitcnt vmcnt(0)
	v_pk_mov_b32 v[20:21], s[10:11], s[10:11] op_sel:[0,1]
	v_cmp_ge_i64_e32 vcc, s[12:13], v[20:21]
	v_mov_b32_e32 v20, 0xffff
	v_mov_b32_e32 v21, 0
	v_cmp_gt_u64_e64 s[0:1], s[12:13], v[20:21]
	s_or_b64 s[0:1], vcc, s[0:1]
	v_mov_b32_e32 v18, s24
	v_add_co_u32_e32 v2, vcc, s15, v2
	v_addc_co_u32_e32 v3, vcc, v3, v18, vcc
	v_add_co_u32_e32 v4, vcc, s15, v4
	v_addc_co_u32_e32 v5, vcc, v5, v18, vcc
	v_mov_b32_e32 v20, s7
	v_add_co_u32_e32 v0, vcc, s6, v0
	v_addc_co_u32_e32 v1, vcc, v1, v20, vcc
	v_add_co_u32_e32 v6, vcc, s15, v6
	v_addc_co_u32_e32 v7, vcc, v7, v18, vcc
	;; [unrolled: 2-line block ×6, first 2 shown]
	v_add_co_u32_e32 v16, vcc, s15, v16
	s_add_u32 s12, s12, s6
	v_addc_co_u32_e32 v17, vcc, v17, v18, vcc
	s_addc_u32 s13, s13, 0
	s_and_b64 vcc, exec, s[0:1]
	s_cbranch_vccnz .LBB79_25
.LBB79_9:                               ; =>This Inner Loop Header: Depth=1
	v_cmp_gt_i64_e32 vcc, s[10:11], v[0:1]
	v_cmp_gt_u64_e64 s[0:1], s[2:3], v[0:1]
	s_and_b64 s[26:27], vcc, s[0:1]
	v_mov_b32_e32 v32, 0
	v_mov_b32_e32 v26, 0
	s_and_saveexec_b64 s[0:1], s[26:27]
	s_cbranch_execz .LBB79_11
; %bb.10:                               ;   in Loop: Header=BB79_9 Depth=1
	v_mov_b32_e32 v18, s9
	v_add_co_u32_e32 v20, vcc, s8, v2
	v_addc_co_u32_e32 v21, vcc, v3, v18, vcc
	v_add_co_u32_e32 v22, vcc, s8, v4
	v_addc_co_u32_e32 v23, vcc, v5, v18, vcc
	global_load_dword v26, v[20:21], off
	global_load_dword v32, v[22:23], off
.LBB79_11:                              ;   in Loop: Header=BB79_9 Depth=1
	s_or_b64 exec, exec, s[0:1]
	v_add_co_u32_e32 v30, vcc, s16, v0
	v_addc_co_u32_e32 v31, vcc, v19, v1, vcc
	v_cmp_gt_i64_e32 vcc, s[10:11], v[30:31]
	v_cmp_gt_u64_e64 s[0:1], s[2:3], v[30:31]
	s_and_b64 s[26:27], vcc, s[0:1]
	v_mov_b32_e32 v21, 0
	v_mov_b32_e32 v27, 0
	;; [unrolled: 1-line block ×3, first 2 shown]
	s_and_saveexec_b64 s[0:1], s[26:27]
	s_cbranch_execz .LBB79_13
; %bb.12:                               ;   in Loop: Header=BB79_9 Depth=1
	v_mov_b32_e32 v18, s9
	v_add_co_u32_e32 v22, vcc, s8, v14
	v_addc_co_u32_e32 v23, vcc, v15, v18, vcc
	v_add_co_u32_e32 v28, vcc, s8, v16
	v_addc_co_u32_e32 v29, vcc, v17, v18, vcc
	global_load_dword v24, v[22:23], off
	global_load_dword v27, v[28:29], off
.LBB79_13:                              ;   in Loop: Header=BB79_9 Depth=1
	s_or_b64 exec, exec, s[0:1]
	v_mov_b32_e32 v18, s18
	v_add_co_u32_e32 v28, vcc, s17, v0
	v_addc_co_u32_e32 v29, vcc, v18, v1, vcc
	v_cmp_gt_i64_e32 vcc, s[10:11], v[28:29]
	v_cmp_gt_u64_e64 s[0:1], s[2:3], v[28:29]
	s_and_b64 s[26:27], vcc, s[0:1]
	v_mov_b32_e32 v20, 0
	s_and_saveexec_b64 s[0:1], s[26:27]
	s_cbranch_execz .LBB79_15
; %bb.14:                               ;   in Loop: Header=BB79_9 Depth=1
	v_mov_b32_e32 v18, s9
	v_add_co_u32_e32 v22, vcc, s8, v10
	v_addc_co_u32_e32 v23, vcc, v11, v18, vcc
	v_add_co_u32_e32 v34, vcc, s8, v12
	v_addc_co_u32_e32 v35, vcc, v13, v18, vcc
	global_load_dword v20, v[22:23], off
	global_load_dword v21, v[34:35], off
.LBB79_15:                              ;   in Loop: Header=BB79_9 Depth=1
	s_or_b64 exec, exec, s[0:1]
	v_mov_b32_e32 v18, s20
	v_add_co_u32_e32 v22, vcc, s19, v0
	v_addc_co_u32_e32 v23, vcc, v18, v1, vcc
	v_cmp_gt_i64_e32 vcc, s[10:11], v[22:23]
	v_cmp_gt_u64_e64 s[0:1], s[2:3], v[22:23]
	s_and_b64 s[26:27], vcc, s[0:1]
	v_mov_b32_e32 v25, 0
	v_mov_b32_e32 v18, 0
	s_and_saveexec_b64 s[0:1], s[26:27]
	s_cbranch_execnz .LBB79_20
; %bb.16:                               ;   in Loop: Header=BB79_9 Depth=1
	s_or_b64 exec, exec, s[0:1]
	v_cmp_gt_u64_e32 vcc, s[4:5], v[0:1]
	s_and_saveexec_b64 s[0:1], vcc
	s_cbranch_execnz .LBB79_21
.LBB79_17:                              ;   in Loop: Header=BB79_9 Depth=1
	s_or_b64 exec, exec, s[0:1]
	v_cmp_gt_u64_e32 vcc, s[4:5], v[30:31]
	s_and_saveexec_b64 s[0:1], vcc
	s_cbranch_execnz .LBB79_22
.LBB79_18:                              ;   in Loop: Header=BB79_9 Depth=1
	s_or_b64 exec, exec, s[0:1]
	v_cmp_gt_u64_e32 vcc, s[4:5], v[28:29]
	s_and_saveexec_b64 s[0:1], vcc
	s_cbranch_execnz .LBB79_23
.LBB79_19:                              ;   in Loop: Header=BB79_9 Depth=1
	s_or_b64 exec, exec, s[0:1]
	v_cmp_gt_u64_e32 vcc, s[4:5], v[22:23]
	s_and_saveexec_b64 s[0:1], vcc
	s_cbranch_execz .LBB79_8
	s_branch .LBB79_24
.LBB79_20:                              ;   in Loop: Header=BB79_9 Depth=1
	v_mov_b32_e32 v18, s9
	v_add_co_u32_e32 v34, vcc, s8, v6
	v_addc_co_u32_e32 v35, vcc, v7, v18, vcc
	v_add_co_u32_e32 v36, vcc, s8, v8
	v_addc_co_u32_e32 v37, vcc, v9, v18, vcc
	global_load_dword v18, v[34:35], off
	global_load_dword v25, v[36:37], off
	s_or_b64 exec, exec, s[0:1]
	v_cmp_gt_u64_e32 vcc, s[4:5], v[0:1]
	s_and_saveexec_b64 s[0:1], vcc
	s_cbranch_execz .LBB79_17
.LBB79_21:                              ;   in Loop: Header=BB79_9 Depth=1
	s_waitcnt vmcnt(0)
	v_sub_u32_e32 v33, 0, v32
	v_max_i32_e32 v34, v32, v33
	v_cvt_f32_u32_e32 v33, v34
	v_ashrrev_i32_e32 v36, 31, v32
	v_mov_b32_e32 v35, s9
	v_rcp_iflag_f32_e32 v33, v33
	v_mul_f32_e32 v32, 0x4f7ffffe, v33
	v_cvt_u32_f32_e32 v37, v32
	v_add_co_u32_e32 v32, vcc, s8, v2
	v_addc_co_u32_e32 v33, vcc, v3, v35, vcc
	v_xor_b32_e32 v35, s21, v36
	v_sub_u32_e32 v36, 0, v34
	v_mul_lo_u32 v36, v36, v37
	v_mul_hi_u32 v36, v37, v36
	v_add_u32_e32 v36, v37, v36
	v_mul_hi_u32 v36, s23, v36
	v_mul_lo_u32 v37, v36, v34
	v_sub_u32_e32 v37, s23, v37
	v_add_u32_e32 v38, 1, v36
	v_cmp_ge_u32_e32 vcc, v37, v34
	v_cndmask_b32_e32 v36, v36, v38, vcc
	v_sub_u32_e32 v38, v37, v34
	v_cndmask_b32_e32 v37, v37, v38, vcc
	v_add_u32_e32 v38, 1, v36
	v_cmp_ge_u32_e32 vcc, v37, v34
	v_cndmask_b32_e32 v34, v36, v38, vcc
	v_xor_b32_e32 v34, v34, v35
	v_sub_u32_e32 v34, v34, v35
	v_mad_u64_u32 v[34:35], s[26:27], v34, s22, v[26:27]
	global_store_dword v[32:33], v34, off
	s_or_b64 exec, exec, s[0:1]
	v_cmp_gt_u64_e32 vcc, s[4:5], v[30:31]
	s_and_saveexec_b64 s[0:1], vcc
	s_cbranch_execz .LBB79_18
.LBB79_22:                              ;   in Loop: Header=BB79_9 Depth=1
	s_waitcnt vmcnt(0)
	v_sub_u32_e32 v26, 0, v27
	v_max_i32_e32 v26, v27, v26
	v_cvt_f32_u32_e32 v30, v26
	v_sub_u32_e32 v31, 0, v26
	v_ashrrev_i32_e32 v27, 31, v27
	v_xor_b32_e32 v27, s21, v27
	v_rcp_iflag_f32_e32 v30, v30
	v_mul_f32_e32 v30, 0x4f7ffffe, v30
	v_cvt_u32_f32_e32 v30, v30
	v_mul_lo_u32 v31, v31, v30
	v_mul_hi_u32 v31, v30, v31
	v_add_u32_e32 v30, v30, v31
	v_mul_hi_u32 v30, s23, v30
	v_mul_lo_u32 v31, v30, v26
	v_sub_u32_e32 v31, s23, v31
	v_add_u32_e32 v32, 1, v30
	v_cmp_ge_u32_e32 vcc, v31, v26
	v_cndmask_b32_e32 v30, v30, v32, vcc
	v_sub_u32_e32 v32, v31, v26
	v_cndmask_b32_e32 v31, v31, v32, vcc
	v_add_u32_e32 v32, 1, v30
	v_cmp_ge_u32_e32 vcc, v31, v26
	v_cndmask_b32_e32 v26, v30, v32, vcc
	v_xor_b32_e32 v26, v26, v27
	v_sub_u32_e32 v26, v26, v27
	v_mad_u64_u32 v[26:27], s[26:27], v26, s22, v[24:25]
	v_mov_b32_e32 v24, s9
	v_add_co_u32_e32 v30, vcc, s8, v14
	v_addc_co_u32_e32 v31, vcc, v15, v24, vcc
	global_store_dword v[30:31], v26, off
	s_or_b64 exec, exec, s[0:1]
	v_cmp_gt_u64_e32 vcc, s[4:5], v[28:29]
	s_and_saveexec_b64 s[0:1], vcc
	s_cbranch_execz .LBB79_19
.LBB79_23:                              ;   in Loop: Header=BB79_9 Depth=1
	s_waitcnt vmcnt(0)
	v_sub_u32_e32 v24, 0, v21
	v_max_i32_e32 v24, v21, v24
	v_cvt_f32_u32_e32 v26, v24
	v_sub_u32_e32 v27, 0, v24
	v_ashrrev_i32_e32 v21, 31, v21
	v_xor_b32_e32 v21, s21, v21
	v_rcp_iflag_f32_e32 v26, v26
	v_mul_f32_e32 v26, 0x4f7ffffe, v26
	v_cvt_u32_f32_e32 v26, v26
	v_mul_lo_u32 v27, v27, v26
	v_mul_hi_u32 v27, v26, v27
	v_add_u32_e32 v26, v26, v27
	v_mul_hi_u32 v26, s23, v26
	v_mul_lo_u32 v27, v26, v24
	v_sub_u32_e32 v27, s23, v27
	v_add_u32_e32 v28, 1, v26
	v_cmp_ge_u32_e32 vcc, v27, v24
	v_cndmask_b32_e32 v26, v26, v28, vcc
	v_sub_u32_e32 v28, v27, v24
	v_cndmask_b32_e32 v27, v27, v28, vcc
	v_add_u32_e32 v28, 1, v26
	v_cmp_ge_u32_e32 vcc, v27, v24
	v_cndmask_b32_e32 v24, v26, v28, vcc
	v_xor_b32_e32 v24, v24, v21
	v_sub_u32_e32 v21, v24, v21
	v_mad_u64_u32 v[20:21], s[26:27], v21, s22, v[20:21]
	v_mov_b32_e32 v21, s9
	v_add_co_u32_e32 v26, vcc, s8, v10
	v_addc_co_u32_e32 v27, vcc, v11, v21, vcc
	global_store_dword v[26:27], v20, off
	s_or_b64 exec, exec, s[0:1]
	v_cmp_gt_u64_e32 vcc, s[4:5], v[22:23]
	s_and_saveexec_b64 s[0:1], vcc
	s_cbranch_execz .LBB79_8
.LBB79_24:                              ;   in Loop: Header=BB79_9 Depth=1
	s_waitcnt vmcnt(0)
	v_sub_u32_e32 v20, 0, v25
	v_max_i32_e32 v20, v25, v20
	v_cvt_f32_u32_e32 v21, v20
	v_sub_u32_e32 v23, 0, v20
	v_ashrrev_i32_e32 v22, 31, v25
	v_xor_b32_e32 v22, s21, v22
	v_rcp_iflag_f32_e32 v21, v21
	v_mul_f32_e32 v21, 0x4f7ffffe, v21
	v_cvt_u32_f32_e32 v21, v21
	v_mul_lo_u32 v23, v23, v21
	v_mul_hi_u32 v23, v21, v23
	v_add_u32_e32 v21, v21, v23
	v_mul_hi_u32 v21, s23, v21
	v_mul_lo_u32 v23, v21, v20
	v_sub_u32_e32 v23, s23, v23
	v_add_u32_e32 v24, 1, v21
	v_cmp_ge_u32_e32 vcc, v23, v20
	v_cndmask_b32_e32 v21, v21, v24, vcc
	v_sub_u32_e32 v24, v23, v20
	v_cndmask_b32_e32 v23, v23, v24, vcc
	v_add_u32_e32 v24, 1, v21
	v_cmp_ge_u32_e32 vcc, v23, v20
	v_cndmask_b32_e32 v20, v21, v24, vcc
	v_xor_b32_e32 v20, v20, v22
	v_sub_u32_e32 v20, v20, v22
	v_mad_u64_u32 v[20:21], s[26:27], v20, s22, v[18:19]
	v_mov_b32_e32 v18, s9
	v_add_co_u32_e32 v22, vcc, s8, v6
	v_addc_co_u32_e32 v23, vcc, v7, v18, vcc
	global_store_dword v[22:23], v20, off
	s_branch .LBB79_8
.LBB79_25:
	s_endpgm
	.section	.rodata,"a",@progbits
	.p2align	6, 0x0
	.amdhsa_kernel _ZN2at6native12_GLOBAL__N_125multi_tensor_apply_kernelINS1_18TensorListMetadataILi3EEENS1_32PointwiseOpScalar0dTensorFunctorIiLi3ELi2ELi0EEEJSt7dividesIiEiEEEvT_T0_DpT1_
		.amdhsa_group_segment_fixed_size 0
		.amdhsa_private_segment_fixed_size 0
		.amdhsa_kernarg_size 3408
		.amdhsa_user_sgpr_count 6
		.amdhsa_user_sgpr_private_segment_buffer 1
		.amdhsa_user_sgpr_dispatch_ptr 0
		.amdhsa_user_sgpr_queue_ptr 0
		.amdhsa_user_sgpr_kernarg_segment_ptr 1
		.amdhsa_user_sgpr_dispatch_id 0
		.amdhsa_user_sgpr_flat_scratch_init 0
		.amdhsa_user_sgpr_kernarg_preload_length 0
		.amdhsa_user_sgpr_kernarg_preload_offset 0
		.amdhsa_user_sgpr_private_segment_size 0
		.amdhsa_uses_dynamic_stack 0
		.amdhsa_system_sgpr_private_segment_wavefront_offset 0
		.amdhsa_system_sgpr_workgroup_id_x 1
		.amdhsa_system_sgpr_workgroup_id_y 0
		.amdhsa_system_sgpr_workgroup_id_z 0
		.amdhsa_system_sgpr_workgroup_info 0
		.amdhsa_system_vgpr_workitem_id 0
		.amdhsa_next_free_vgpr 39
		.amdhsa_next_free_sgpr 29
		.amdhsa_accum_offset 40
		.amdhsa_reserve_vcc 1
		.amdhsa_reserve_flat_scratch 0
		.amdhsa_float_round_mode_32 0
		.amdhsa_float_round_mode_16_64 0
		.amdhsa_float_denorm_mode_32 3
		.amdhsa_float_denorm_mode_16_64 3
		.amdhsa_dx10_clamp 1
		.amdhsa_ieee_mode 1
		.amdhsa_fp16_overflow 0
		.amdhsa_tg_split 0
		.amdhsa_exception_fp_ieee_invalid_op 0
		.amdhsa_exception_fp_denorm_src 0
		.amdhsa_exception_fp_ieee_div_zero 0
		.amdhsa_exception_fp_ieee_overflow 0
		.amdhsa_exception_fp_ieee_underflow 0
		.amdhsa_exception_fp_ieee_inexact 0
		.amdhsa_exception_int_div_zero 0
	.end_amdhsa_kernel
	.section	.text._ZN2at6native12_GLOBAL__N_125multi_tensor_apply_kernelINS1_18TensorListMetadataILi3EEENS1_32PointwiseOpScalar0dTensorFunctorIiLi3ELi2ELi0EEEJSt7dividesIiEiEEEvT_T0_DpT1_,"axG",@progbits,_ZN2at6native12_GLOBAL__N_125multi_tensor_apply_kernelINS1_18TensorListMetadataILi3EEENS1_32PointwiseOpScalar0dTensorFunctorIiLi3ELi2ELi0EEEJSt7dividesIiEiEEEvT_T0_DpT1_,comdat
.Lfunc_end79:
	.size	_ZN2at6native12_GLOBAL__N_125multi_tensor_apply_kernelINS1_18TensorListMetadataILi3EEENS1_32PointwiseOpScalar0dTensorFunctorIiLi3ELi2ELi0EEEJSt7dividesIiEiEEEvT_T0_DpT1_, .Lfunc_end79-_ZN2at6native12_GLOBAL__N_125multi_tensor_apply_kernelINS1_18TensorListMetadataILi3EEENS1_32PointwiseOpScalar0dTensorFunctorIiLi3ELi2ELi0EEEJSt7dividesIiEiEEEvT_T0_DpT1_
                                        ; -- End function
	.section	.AMDGPU.csdata,"",@progbits
; Kernel info:
; codeLenInByte = 2460
; NumSgprs: 33
; NumVgprs: 39
; NumAgprs: 0
; TotalNumVgprs: 39
; ScratchSize: 0
; MemoryBound: 0
; FloatMode: 240
; IeeeMode: 1
; LDSByteSize: 0 bytes/workgroup (compile time only)
; SGPRBlocks: 4
; VGPRBlocks: 4
; NumSGPRsForWavesPerEU: 33
; NumVGPRsForWavesPerEU: 39
; AccumOffset: 40
; Occupancy: 8
; WaveLimiterHint : 0
; COMPUTE_PGM_RSRC2:SCRATCH_EN: 0
; COMPUTE_PGM_RSRC2:USER_SGPR: 6
; COMPUTE_PGM_RSRC2:TRAP_HANDLER: 0
; COMPUTE_PGM_RSRC2:TGID_X_EN: 1
; COMPUTE_PGM_RSRC2:TGID_Y_EN: 0
; COMPUTE_PGM_RSRC2:TGID_Z_EN: 0
; COMPUTE_PGM_RSRC2:TIDIG_COMP_CNT: 0
; COMPUTE_PGM_RSRC3_GFX90A:ACCUM_OFFSET: 9
; COMPUTE_PGM_RSRC3_GFX90A:TG_SPLIT: 0
	.section	.text._ZN2at6native12_GLOBAL__N_125multi_tensor_apply_kernelINS1_18TensorListMetadataILi3EEENS1_32PointwiseOpScalar0dTensorFunctorIlLi3ELi2ELi0EEEJSt7dividesIlElEEEvT_T0_DpT1_,"axG",@progbits,_ZN2at6native12_GLOBAL__N_125multi_tensor_apply_kernelINS1_18TensorListMetadataILi3EEENS1_32PointwiseOpScalar0dTensorFunctorIlLi3ELi2ELi0EEEJSt7dividesIlElEEEvT_T0_DpT1_,comdat
	.globl	_ZN2at6native12_GLOBAL__N_125multi_tensor_apply_kernelINS1_18TensorListMetadataILi3EEENS1_32PointwiseOpScalar0dTensorFunctorIlLi3ELi2ELi0EEEJSt7dividesIlElEEEvT_T0_DpT1_ ; -- Begin function _ZN2at6native12_GLOBAL__N_125multi_tensor_apply_kernelINS1_18TensorListMetadataILi3EEENS1_32PointwiseOpScalar0dTensorFunctorIlLi3ELi2ELi0EEEJSt7dividesIlElEEEvT_T0_DpT1_
	.p2align	8
	.type	_ZN2at6native12_GLOBAL__N_125multi_tensor_apply_kernelINS1_18TensorListMetadataILi3EEENS1_32PointwiseOpScalar0dTensorFunctorIlLi3ELi2ELi0EEEJSt7dividesIlElEEEvT_T0_DpT1_,@function
_ZN2at6native12_GLOBAL__N_125multi_tensor_apply_kernelINS1_18TensorListMetadataILi3EEENS1_32PointwiseOpScalar0dTensorFunctorIlLi3ELi2ELi0EEEJSt7dividesIlElEEEvT_T0_DpT1_: ; @_ZN2at6native12_GLOBAL__N_125multi_tensor_apply_kernelINS1_18TensorListMetadataILi3EEENS1_32PointwiseOpScalar0dTensorFunctorIlLi3ELi2ELi0EEEJSt7dividesIlElEEEvT_T0_DpT1_
; %bb.0:
	v_mov_b32_e32 v1, s6
	global_load_ubyte v1, v1, s[4:5] offset:1536
	s_add_u32 s0, s4, s6
	s_mul_hi_u32 s1, s6, 3
	s_mul_i32 s6, s6, 3
	s_addc_u32 s2, s5, 0
	s_add_u32 s0, s0, s6
	s_addc_u32 s1, s2, s1
	s_load_dword s10, s[0:1], 0x740
	s_load_dwordx2 s[2:3], s[4:5], 0xc50
	s_mov_b32 s13, 0
	s_mov_b32 s1, s13
	s_waitcnt lgkmcnt(0)
	s_ashr_i32 s11, s10, 31
	s_lshl_b64 s[6:7], s[10:11], 19
	s_waitcnt vmcnt(0)
	v_readfirstlane_b32 s0, v1
	s_lshl_b32 s0, s0, 3
	s_load_dwordx2 s[16:17], s[4:5], s0 offset:0x0
	s_load_dwordx2 s[14:15], s[4:5], s0 offset:0x180
	;; [unrolled: 1-line block ×4, first 2 shown]
	s_waitcnt lgkmcnt(0)
	s_add_u32 s28, s16, s6
	s_addc_u32 s29, s17, s7
	s_and_b32 s12, s28, 31
	s_add_u32 s0, s14, s6
	s_add_u32 s30, s18, s6
	s_addc_u32 s31, s19, s7
	s_or_b32 s0, s30, s0
	s_and_b32 s0, s0, 31
	s_cmp_lg_u32 s0, 0
	s_load_dwordx2 s[8:9], s[14:15], 0x0
	s_cselect_b64 s[14:15], -1, 0
	s_lshl_b64 s[10:11], s[10:11], 16
	s_sub_u32 s10, s20, s10
	s_subb_u32 s11, s21, s11
	s_and_b32 s0, s20, 3
	s_or_b64 s[0:1], s[12:13], s[0:1]
	s_cmp_lg_u64 s[0:1], 0
	s_cselect_b64 s[0:1], -1, 0
	s_or_b64 s[0:1], s[14:15], s[0:1]
	s_andn2_b64 vcc, exec, s[0:1]
	s_mov_b64 s[0:1], -1
	s_cbranch_vccz .LBB80_21
; %bb.1:
	v_mov_b32_e32 v18, 0
	v_lshlrev_b32_e32 v2, 2, v0
	v_mov_b32_e32 v3, v18
	v_cmp_gt_i64_e32 vcc, s[10:11], v[2:3]
	s_and_saveexec_b64 s[14:15], vcc
	s_cbranch_execz .LBB80_20
; %bb.2:
	s_load_dword s0, s[4:5], 0xc64
	v_mov_b32_e32 v21, v18
	v_lshlrev_b32_e32 v22, 5, v0
	s_mov_b64 s[20:21], 0
	s_waitcnt lgkmcnt(0)
	s_ashr_i32 s22, s9, 31
	s_and_b32 s0, s0, 0xffff
	v_add_lshl_u32 v20, v0, s0, 2
	s_lshl_b32 s12, s0, 2
	s_lshl_b32 s33, s0, 5
	s_mov_b64 s[24:25], 0xffff
	s_branch .LBB80_4
.LBB80_3:                               ;   in Loop: Header=BB80_4 Depth=1
	s_or_b64 exec, exec, s[0:1]
	s_waitcnt vmcnt(1)
	v_mad_u64_u32 v[2:3], s[0:1], v16, s2, v[2:3]
	s_waitcnt vmcnt(0)
	v_mad_u64_u32 v[8:9], s[0:1], v14, s2, v[8:9]
	v_mad_u64_u32 v[6:7], s[0:1], v26, s2, v[6:7]
	;; [unrolled: 1-line block ×3, first 2 shown]
	v_cmp_le_i64_e32 vcc, s[10:11], v[20:21]
	v_cmp_lt_u64_e64 s[0:1], s[24:25], v[20:21]
	s_or_b64 s[0:1], vcc, s[0:1]
	v_mul_lo_u32 v1, v16, s3
	v_mul_lo_u32 v12, v17, s2
	s_add_u32 s28, s28, s33
	v_add3_u32 v3, v12, v3, v1
	v_mul_lo_u32 v1, v14, s3
	v_mul_lo_u32 v12, v15, s2
	s_addc_u32 s29, s29, 0
	v_add3_u32 v9, v12, v9, v1
	v_mul_lo_u32 v1, v26, s3
	v_mul_lo_u32 v12, v27, s2
	s_add_u32 s30, s30, s33
	v_add3_u32 v7, v12, v7, v1
	v_mul_lo_u32 v1, v10, s3
	v_mul_lo_u32 v11, v11, s2
	s_addc_u32 s31, s31, 0
	v_add3_u32 v5, v11, v5, v1
	v_mov_b32_e32 v1, s13
	s_and_b64 s[0:1], exec, s[0:1]
	v_add_co_u32_e32 v20, vcc, s12, v20
	s_or_b64 s[20:21], s[0:1], s[20:21]
	v_addc_co_u32_e32 v21, vcc, v21, v1, vcc
	global_store_dwordx4 v[24:25], v[6:9], off
	global_store_dwordx4 v[24:25], v[2:5], off offset:16
	s_andn2_b64 exec, exec, s[20:21]
	s_cbranch_execz .LBB80_20
.LBB80_4:                               ; =>This Inner Loop Header: Depth=1
	v_mov_b32_e32 v1, s29
	v_add_co_u32_e32 v24, vcc, s28, v22
	v_addc_co_u32_e32 v25, vcc, 0, v1, vcc
	v_mov_b32_e32 v1, s31
	v_add_co_u32_e32 v26, vcc, s30, v22
	v_addc_co_u32_e32 v27, vcc, 0, v1, vcc
	global_load_dwordx4 v[10:13], v[26:27], off offset:16
	global_load_dwordx4 v[14:17], v[26:27], off
	global_load_dwordx4 v[2:5], v[24:25], off offset:16
	global_load_dwordx4 v[6:9], v[24:25], off
                                        ; implicit-def: $vgpr26_vgpr27
	s_waitcnt vmcnt(2)
	v_or_b32_e32 v19, s9, v15
	v_cmp_ne_u64_e32 vcc, 0, v[18:19]
	s_and_saveexec_b64 s[0:1], vcc
	s_xor_b64 s[26:27], exec, s[0:1]
	s_cbranch_execz .LBB80_6
; %bb.5:                                ;   in Loop: Header=BB80_4 Depth=1
	v_ashrrev_i32_e32 v1, 31, v15
	v_add_co_u32_e32 v19, vcc, v14, v1
	v_addc_co_u32_e32 v15, vcc, v15, v1, vcc
	v_xor_b32_e32 v15, v15, v1
	v_xor_b32_e32 v19, v19, v1
	v_cvt_f32_u32_e32 v23, v19
	v_cvt_f32_u32_e32 v26, v15
	v_sub_co_u32_e32 v30, vcc, 0, v19
	v_subb_co_u32_e32 v31, vcc, 0, v15, vcc
	v_mac_f32_e32 v23, 0x4f800000, v26
	v_rcp_f32_e32 v23, v23
	s_mov_b32 s23, s22
	v_xor_b32_e32 v1, s22, v1
	v_mul_f32_e32 v23, 0x5f7ffffc, v23
	v_mul_f32_e32 v26, 0x2f800000, v23
	v_trunc_f32_e32 v26, v26
	v_mac_f32_e32 v23, 0xcf800000, v26
	v_cvt_u32_f32_e32 v23, v23
	v_cvt_u32_f32_e32 v32, v26
	v_mul_lo_u32 v28, v31, v23
	v_mad_u64_u32 v[26:27], s[0:1], v30, v23, 0
	v_mul_lo_u32 v29, v30, v32
	v_add3_u32 v27, v27, v29, v28
	v_mad_u64_u32 v[28:29], s[0:1], v23, v27, 0
	v_mul_hi_u32 v33, v23, v26
	v_add_co_u32_e32 v33, vcc, v33, v28
	v_addc_co_u32_e32 v34, vcc, 0, v29, vcc
	v_mad_u64_u32 v[28:29], s[0:1], v32, v27, 0
	v_mad_u64_u32 v[26:27], s[0:1], v32, v26, 0
	v_add_co_u32_e32 v26, vcc, v33, v26
	v_addc_co_u32_e32 v26, vcc, v34, v27, vcc
	v_addc_co_u32_e32 v27, vcc, 0, v29, vcc
	v_add_co_u32_e32 v26, vcc, v26, v28
	v_addc_co_u32_e32 v27, vcc, 0, v27, vcc
	v_add_co_u32_e32 v23, vcc, v23, v26
	v_addc_co_u32_e32 v34, vcc, v32, v27, vcc
	v_mul_lo_u32 v28, v30, v34
	v_mul_lo_u32 v29, v31, v23
	v_mad_u64_u32 v[26:27], s[0:1], v30, v23, 0
	v_add3_u32 v27, v27, v28, v29
	v_mad_u64_u32 v[30:31], s[0:1], v34, v26, 0
	v_mad_u64_u32 v[32:33], s[0:1], v23, v27, 0
	v_mul_hi_u32 v26, v23, v26
	v_add_co_u32_e32 v26, vcc, v26, v32
	v_mad_u64_u32 v[28:29], s[0:1], v34, v27, 0
	v_addc_co_u32_e32 v27, vcc, 0, v33, vcc
	v_add_co_u32_e32 v26, vcc, v26, v30
	v_addc_co_u32_e32 v26, vcc, v27, v31, vcc
	v_addc_co_u32_e32 v27, vcc, 0, v29, vcc
	v_add_co_u32_e32 v26, vcc, v26, v28
	v_addc_co_u32_e32 v27, vcc, 0, v27, vcc
	s_add_u32 s0, s8, s22
	v_add_co_u32_e32 v23, vcc, v23, v26
	s_addc_u32 s1, s9, s22
	v_addc_co_u32_e32 v28, vcc, v34, v27, vcc
	s_xor_b64 s[34:35], s[0:1], s[22:23]
	v_mad_u64_u32 v[26:27], s[0:1], s34, v28, 0
	v_mul_hi_u32 v29, s34, v23
	v_add_co_u32_e32 v30, vcc, v29, v26
	v_addc_co_u32_e32 v31, vcc, 0, v27, vcc
	v_mad_u64_u32 v[26:27], s[0:1], s35, v28, 0
	v_mad_u64_u32 v[28:29], s[0:1], s35, v23, 0
	v_add_co_u32_e32 v23, vcc, v30, v28
	v_addc_co_u32_e32 v23, vcc, v31, v29, vcc
	v_addc_co_u32_e32 v27, vcc, 0, v27, vcc
	v_add_co_u32_e32 v23, vcc, v23, v26
	v_addc_co_u32_e32 v28, vcc, 0, v27, vcc
	v_mul_lo_u32 v29, v15, v23
	v_mul_lo_u32 v30, v19, v28
	v_mad_u64_u32 v[26:27], s[0:1], v19, v23, 0
	v_add3_u32 v27, v27, v30, v29
	v_sub_u32_e32 v29, s35, v27
	v_sub_co_u32_e32 v26, vcc, s34, v26
	v_subb_co_u32_e64 v29, s[0:1], v29, v15, vcc
	v_sub_co_u32_e64 v30, s[0:1], v26, v19
	v_subbrev_co_u32_e64 v29, s[0:1], 0, v29, s[0:1]
	v_cmp_ge_u32_e64 s[0:1], v29, v15
	v_cndmask_b32_e64 v31, 0, -1, s[0:1]
	v_cmp_ge_u32_e64 s[0:1], v30, v19
	v_cndmask_b32_e64 v30, 0, -1, s[0:1]
	v_cmp_eq_u32_e64 s[0:1], v29, v15
	v_cndmask_b32_e64 v29, v31, v30, s[0:1]
	v_add_co_u32_e64 v30, s[0:1], 2, v23
	v_addc_co_u32_e64 v31, s[0:1], 0, v28, s[0:1]
	v_add_co_u32_e64 v32, s[0:1], 1, v23
	v_addc_co_u32_e64 v33, s[0:1], 0, v28, s[0:1]
	v_cmp_ne_u32_e64 s[0:1], 0, v29
	v_cndmask_b32_e64 v29, v33, v31, s[0:1]
	v_mov_b32_e32 v31, s35
	v_subb_co_u32_e32 v27, vcc, v31, v27, vcc
	v_cmp_ge_u32_e32 vcc, v27, v15
	v_cndmask_b32_e64 v31, 0, -1, vcc
	v_cmp_ge_u32_e32 vcc, v26, v19
	v_cndmask_b32_e64 v19, 0, -1, vcc
	v_cmp_eq_u32_e32 vcc, v27, v15
	v_cndmask_b32_e32 v15, v31, v19, vcc
	v_cmp_ne_u32_e32 vcc, 0, v15
	v_cndmask_b32_e64 v19, v32, v30, s[0:1]
	v_cndmask_b32_e32 v19, v23, v19, vcc
	v_cndmask_b32_e32 v15, v28, v29, vcc
	v_xor_b32_e32 v19, v19, v1
	v_xor_b32_e32 v15, v15, v1
	v_sub_co_u32_e32 v26, vcc, v19, v1
	v_subb_co_u32_e32 v27, vcc, v15, v1, vcc
.LBB80_6:                               ;   in Loop: Header=BB80_4 Depth=1
	s_andn2_saveexec_b64 s[0:1], s[26:27]
	s_cbranch_execz .LBB80_8
; %bb.7:                                ;   in Loop: Header=BB80_4 Depth=1
	v_cvt_f32_u32_e32 v1, v14
	v_sub_u32_e32 v15, 0, v14
	v_mov_b32_e32 v27, v18
	v_rcp_iflag_f32_e32 v1, v1
	v_mul_f32_e32 v1, 0x4f7ffffe, v1
	v_cvt_u32_f32_e32 v1, v1
	v_mul_lo_u32 v15, v15, v1
	v_mul_hi_u32 v15, v1, v15
	v_add_u32_e32 v1, v1, v15
	v_mul_hi_u32 v1, s8, v1
	v_mul_lo_u32 v15, v1, v14
	v_sub_u32_e32 v15, s8, v15
	v_add_u32_e32 v19, 1, v1
	v_sub_u32_e32 v23, v15, v14
	v_cmp_ge_u32_e32 vcc, v15, v14
	v_cndmask_b32_e32 v15, v15, v23, vcc
	v_cndmask_b32_e32 v1, v1, v19, vcc
	v_add_u32_e32 v19, 1, v1
	v_cmp_ge_u32_e32 vcc, v15, v14
	v_cndmask_b32_e32 v26, v1, v19, vcc
.LBB80_8:                               ;   in Loop: Header=BB80_4 Depth=1
	s_or_b64 exec, exec, s[0:1]
	v_or_b32_e32 v19, s9, v17
	v_cmp_ne_u64_e32 vcc, 0, v[18:19]
                                        ; implicit-def: $vgpr14_vgpr15
	s_and_saveexec_b64 s[0:1], vcc
	s_xor_b64 s[26:27], exec, s[0:1]
	s_cbranch_execz .LBB80_10
; %bb.9:                                ;   in Loop: Header=BB80_4 Depth=1
	v_ashrrev_i32_e32 v1, 31, v17
	v_add_co_u32_e32 v14, vcc, v16, v1
	v_addc_co_u32_e32 v15, vcc, v17, v1, vcc
	v_xor_b32_e32 v19, v15, v1
	v_xor_b32_e32 v23, v14, v1
	v_cvt_f32_u32_e32 v14, v23
	v_cvt_f32_u32_e32 v15, v19
	v_sub_co_u32_e32 v29, vcc, 0, v23
	v_subb_co_u32_e32 v30, vcc, 0, v19, vcc
	v_mac_f32_e32 v14, 0x4f800000, v15
	v_rcp_f32_e32 v14, v14
	s_mov_b32 s23, s22
	v_xor_b32_e32 v1, s22, v1
	v_mul_f32_e32 v14, 0x5f7ffffc, v14
	v_mul_f32_e32 v15, 0x2f800000, v14
	v_trunc_f32_e32 v15, v15
	v_mac_f32_e32 v14, 0xcf800000, v15
	v_cvt_u32_f32_e32 v28, v14
	v_cvt_u32_f32_e32 v31, v15
	v_mul_lo_u32 v16, v30, v28
	v_mad_u64_u32 v[14:15], s[0:1], v29, v28, 0
	v_mul_lo_u32 v17, v29, v31
	v_add3_u32 v15, v15, v17, v16
	v_mad_u64_u32 v[16:17], s[0:1], v28, v15, 0
	v_mul_hi_u32 v32, v28, v14
	v_add_co_u32_e32 v32, vcc, v32, v16
	v_addc_co_u32_e32 v33, vcc, 0, v17, vcc
	v_mad_u64_u32 v[16:17], s[0:1], v31, v15, 0
	v_mad_u64_u32 v[14:15], s[0:1], v31, v14, 0
	v_add_co_u32_e32 v14, vcc, v32, v14
	v_addc_co_u32_e32 v14, vcc, v33, v15, vcc
	v_addc_co_u32_e32 v15, vcc, 0, v17, vcc
	v_add_co_u32_e32 v14, vcc, v14, v16
	v_addc_co_u32_e32 v15, vcc, 0, v15, vcc
	v_add_co_u32_e32 v32, vcc, v28, v14
	v_addc_co_u32_e32 v33, vcc, v31, v15, vcc
	v_mul_lo_u32 v16, v29, v33
	v_mul_lo_u32 v17, v30, v32
	v_mad_u64_u32 v[14:15], s[0:1], v29, v32, 0
	v_add3_u32 v15, v15, v16, v17
	v_mad_u64_u32 v[28:29], s[0:1], v33, v14, 0
	v_mad_u64_u32 v[30:31], s[0:1], v32, v15, 0
	v_mul_hi_u32 v14, v32, v14
	v_add_co_u32_e32 v14, vcc, v14, v30
	v_mad_u64_u32 v[16:17], s[0:1], v33, v15, 0
	v_addc_co_u32_e32 v15, vcc, 0, v31, vcc
	v_add_co_u32_e32 v14, vcc, v14, v28
	v_addc_co_u32_e32 v14, vcc, v15, v29, vcc
	v_addc_co_u32_e32 v15, vcc, 0, v17, vcc
	v_add_co_u32_e32 v14, vcc, v14, v16
	v_addc_co_u32_e32 v15, vcc, 0, v15, vcc
	s_add_u32 s0, s8, s22
	v_add_co_u32_e32 v16, vcc, v32, v14
	s_addc_u32 s1, s9, s22
	v_addc_co_u32_e32 v17, vcc, v33, v15, vcc
	s_xor_b64 s[34:35], s[0:1], s[22:23]
	v_mad_u64_u32 v[14:15], s[0:1], s34, v17, 0
	v_mul_hi_u32 v28, s34, v16
	v_add_co_u32_e32 v28, vcc, v28, v14
	v_addc_co_u32_e32 v29, vcc, 0, v15, vcc
	v_mad_u64_u32 v[14:15], s[0:1], s35, v17, 0
	v_mad_u64_u32 v[16:17], s[0:1], s35, v16, 0
	v_add_co_u32_e32 v16, vcc, v28, v16
	v_addc_co_u32_e32 v16, vcc, v29, v17, vcc
	v_addc_co_u32_e32 v15, vcc, 0, v15, vcc
	v_add_co_u32_e32 v16, vcc, v16, v14
	v_addc_co_u32_e32 v17, vcc, 0, v15, vcc
	v_mul_lo_u32 v28, v19, v16
	v_mul_lo_u32 v29, v23, v17
	v_mad_u64_u32 v[14:15], s[0:1], v23, v16, 0
	v_add3_u32 v15, v15, v29, v28
	v_sub_u32_e32 v28, s35, v15
	v_sub_co_u32_e32 v14, vcc, s34, v14
	v_subb_co_u32_e64 v28, s[0:1], v28, v19, vcc
	v_sub_co_u32_e64 v29, s[0:1], v14, v23
	v_subbrev_co_u32_e64 v28, s[0:1], 0, v28, s[0:1]
	v_cmp_ge_u32_e64 s[0:1], v28, v19
	v_cndmask_b32_e64 v30, 0, -1, s[0:1]
	v_cmp_ge_u32_e64 s[0:1], v29, v23
	v_cndmask_b32_e64 v29, 0, -1, s[0:1]
	v_cmp_eq_u32_e64 s[0:1], v28, v19
	v_cndmask_b32_e64 v28, v30, v29, s[0:1]
	v_add_co_u32_e64 v29, s[0:1], 2, v16
	v_addc_co_u32_e64 v30, s[0:1], 0, v17, s[0:1]
	v_add_co_u32_e64 v31, s[0:1], 1, v16
	v_addc_co_u32_e64 v32, s[0:1], 0, v17, s[0:1]
	v_cmp_ne_u32_e64 s[0:1], 0, v28
	v_cndmask_b32_e64 v28, v32, v30, s[0:1]
	v_mov_b32_e32 v30, s35
	v_subb_co_u32_e32 v15, vcc, v30, v15, vcc
	v_cmp_ge_u32_e32 vcc, v15, v19
	v_cndmask_b32_e64 v30, 0, -1, vcc
	v_cmp_ge_u32_e32 vcc, v14, v23
	v_cndmask_b32_e64 v14, 0, -1, vcc
	v_cmp_eq_u32_e32 vcc, v15, v19
	v_cndmask_b32_e32 v14, v30, v14, vcc
	v_cmp_ne_u32_e32 vcc, 0, v14
	v_cndmask_b32_e64 v15, v31, v29, s[0:1]
	v_cndmask_b32_e32 v14, v17, v28, vcc
	v_cndmask_b32_e32 v15, v16, v15, vcc
	v_xor_b32_e32 v16, v14, v1
	v_xor_b32_e32 v14, v15, v1
	v_sub_co_u32_e32 v14, vcc, v14, v1
	v_subb_co_u32_e32 v15, vcc, v16, v1, vcc
                                        ; implicit-def: $vgpr16_vgpr17
.LBB80_10:                              ;   in Loop: Header=BB80_4 Depth=1
	s_andn2_saveexec_b64 s[0:1], s[26:27]
	s_cbranch_execz .LBB80_12
; %bb.11:                               ;   in Loop: Header=BB80_4 Depth=1
	v_cvt_f32_u32_e32 v1, v16
	v_sub_u32_e32 v14, 0, v16
	v_rcp_iflag_f32_e32 v1, v1
	v_mul_f32_e32 v1, 0x4f7ffffe, v1
	v_cvt_u32_f32_e32 v1, v1
	v_mul_lo_u32 v14, v14, v1
	v_mul_hi_u32 v14, v1, v14
	v_add_u32_e32 v1, v1, v14
	v_mul_hi_u32 v1, s8, v1
	v_mul_lo_u32 v14, v1, v16
	v_sub_u32_e32 v14, s8, v14
	v_add_u32_e32 v15, 1, v1
	v_sub_u32_e32 v17, v14, v16
	v_cmp_ge_u32_e32 vcc, v14, v16
	v_cndmask_b32_e32 v14, v14, v17, vcc
	v_cndmask_b32_e32 v1, v1, v15, vcc
	v_add_u32_e32 v15, 1, v1
	v_cmp_ge_u32_e32 vcc, v14, v16
	v_cndmask_b32_e32 v14, v1, v15, vcc
	v_mov_b32_e32 v15, v18
.LBB80_12:                              ;   in Loop: Header=BB80_4 Depth=1
	s_or_b64 exec, exec, s[0:1]
	v_or_b32_e32 v19, s9, v11
	v_cmp_ne_u64_e32 vcc, 0, v[18:19]
                                        ; implicit-def: $vgpr16_vgpr17
	s_and_saveexec_b64 s[0:1], vcc
	s_xor_b64 s[26:27], exec, s[0:1]
	s_cbranch_execz .LBB80_14
; %bb.13:                               ;   in Loop: Header=BB80_4 Depth=1
	v_ashrrev_i32_e32 v1, 31, v11
	v_add_co_u32_e32 v16, vcc, v10, v1
	v_addc_co_u32_e32 v11, vcc, v11, v1, vcc
	v_xor_b32_e32 v11, v11, v1
	v_xor_b32_e32 v19, v16, v1
	v_cvt_f32_u32_e32 v16, v19
	v_cvt_f32_u32_e32 v17, v11
	v_sub_co_u32_e32 v30, vcc, 0, v19
	v_subb_co_u32_e32 v31, vcc, 0, v11, vcc
	v_mac_f32_e32 v16, 0x4f800000, v17
	v_rcp_f32_e32 v16, v16
	s_mov_b32 s23, s22
	v_xor_b32_e32 v1, s22, v1
	v_mul_f32_e32 v16, 0x5f7ffffc, v16
	v_mul_f32_e32 v17, 0x2f800000, v16
	v_trunc_f32_e32 v17, v17
	v_mac_f32_e32 v16, 0xcf800000, v17
	v_cvt_u32_f32_e32 v23, v16
	v_cvt_u32_f32_e32 v32, v17
	v_mul_lo_u32 v28, v31, v23
	v_mad_u64_u32 v[16:17], s[0:1], v30, v23, 0
	v_mul_lo_u32 v29, v30, v32
	v_add3_u32 v17, v17, v29, v28
	v_mad_u64_u32 v[28:29], s[0:1], v23, v17, 0
	v_mul_hi_u32 v33, v23, v16
	v_add_co_u32_e32 v33, vcc, v33, v28
	v_addc_co_u32_e32 v34, vcc, 0, v29, vcc
	v_mad_u64_u32 v[28:29], s[0:1], v32, v17, 0
	v_mad_u64_u32 v[16:17], s[0:1], v32, v16, 0
	v_add_co_u32_e32 v16, vcc, v33, v16
	v_addc_co_u32_e32 v16, vcc, v34, v17, vcc
	v_addc_co_u32_e32 v17, vcc, 0, v29, vcc
	v_add_co_u32_e32 v16, vcc, v16, v28
	v_addc_co_u32_e32 v17, vcc, 0, v17, vcc
	v_add_co_u32_e32 v23, vcc, v23, v16
	v_addc_co_u32_e32 v34, vcc, v32, v17, vcc
	v_mul_lo_u32 v28, v30, v34
	v_mul_lo_u32 v29, v31, v23
	v_mad_u64_u32 v[16:17], s[0:1], v30, v23, 0
	v_add3_u32 v17, v17, v28, v29
	v_mad_u64_u32 v[30:31], s[0:1], v34, v16, 0
	v_mad_u64_u32 v[32:33], s[0:1], v23, v17, 0
	v_mul_hi_u32 v16, v23, v16
	v_add_co_u32_e32 v16, vcc, v16, v32
	v_mad_u64_u32 v[28:29], s[0:1], v34, v17, 0
	v_addc_co_u32_e32 v17, vcc, 0, v33, vcc
	v_add_co_u32_e32 v16, vcc, v16, v30
	v_addc_co_u32_e32 v16, vcc, v17, v31, vcc
	v_addc_co_u32_e32 v17, vcc, 0, v29, vcc
	v_add_co_u32_e32 v16, vcc, v16, v28
	v_addc_co_u32_e32 v17, vcc, 0, v17, vcc
	s_add_u32 s0, s8, s22
	v_add_co_u32_e32 v23, vcc, v23, v16
	s_addc_u32 s1, s9, s22
	v_addc_co_u32_e32 v28, vcc, v34, v17, vcc
	s_xor_b64 s[34:35], s[0:1], s[22:23]
	v_mad_u64_u32 v[16:17], s[0:1], s34, v28, 0
	v_mul_hi_u32 v29, s34, v23
	v_add_co_u32_e32 v30, vcc, v29, v16
	v_addc_co_u32_e32 v31, vcc, 0, v17, vcc
	v_mad_u64_u32 v[16:17], s[0:1], s35, v28, 0
	v_mad_u64_u32 v[28:29], s[0:1], s35, v23, 0
	v_add_co_u32_e32 v23, vcc, v30, v28
	v_addc_co_u32_e32 v23, vcc, v31, v29, vcc
	v_addc_co_u32_e32 v17, vcc, 0, v17, vcc
	v_add_co_u32_e32 v23, vcc, v23, v16
	v_addc_co_u32_e32 v28, vcc, 0, v17, vcc
	v_mul_lo_u32 v29, v11, v23
	v_mul_lo_u32 v30, v19, v28
	v_mad_u64_u32 v[16:17], s[0:1], v19, v23, 0
	v_add3_u32 v17, v17, v30, v29
	v_sub_u32_e32 v29, s35, v17
	v_sub_co_u32_e32 v16, vcc, s34, v16
	v_subb_co_u32_e64 v29, s[0:1], v29, v11, vcc
	v_sub_co_u32_e64 v30, s[0:1], v16, v19
	v_subbrev_co_u32_e64 v29, s[0:1], 0, v29, s[0:1]
	v_cmp_ge_u32_e64 s[0:1], v29, v11
	v_cndmask_b32_e64 v31, 0, -1, s[0:1]
	v_cmp_ge_u32_e64 s[0:1], v30, v19
	v_cndmask_b32_e64 v30, 0, -1, s[0:1]
	v_cmp_eq_u32_e64 s[0:1], v29, v11
	v_cndmask_b32_e64 v29, v31, v30, s[0:1]
	v_add_co_u32_e64 v30, s[0:1], 2, v23
	v_addc_co_u32_e64 v31, s[0:1], 0, v28, s[0:1]
	v_add_co_u32_e64 v32, s[0:1], 1, v23
	v_addc_co_u32_e64 v33, s[0:1], 0, v28, s[0:1]
	v_cmp_ne_u32_e64 s[0:1], 0, v29
	v_cndmask_b32_e64 v29, v33, v31, s[0:1]
	v_mov_b32_e32 v31, s35
	v_subb_co_u32_e32 v17, vcc, v31, v17, vcc
	v_cmp_ge_u32_e32 vcc, v17, v11
	v_cndmask_b32_e64 v31, 0, -1, vcc
	v_cmp_ge_u32_e32 vcc, v16, v19
	v_cndmask_b32_e64 v16, 0, -1, vcc
	v_cmp_eq_u32_e32 vcc, v17, v11
	v_cndmask_b32_e32 v11, v31, v16, vcc
	v_cmp_ne_u32_e32 vcc, 0, v11
	v_cndmask_b32_e64 v16, v32, v30, s[0:1]
	v_cndmask_b32_e32 v16, v23, v16, vcc
	v_cndmask_b32_e32 v11, v28, v29, vcc
	v_xor_b32_e32 v16, v16, v1
	v_xor_b32_e32 v11, v11, v1
	v_sub_co_u32_e32 v16, vcc, v16, v1
	v_subb_co_u32_e32 v17, vcc, v11, v1, vcc
.LBB80_14:                              ;   in Loop: Header=BB80_4 Depth=1
	s_andn2_saveexec_b64 s[0:1], s[26:27]
	s_cbranch_execz .LBB80_16
; %bb.15:                               ;   in Loop: Header=BB80_4 Depth=1
	v_cvt_f32_u32_e32 v1, v10
	v_sub_u32_e32 v11, 0, v10
	v_rcp_iflag_f32_e32 v1, v1
	v_mul_f32_e32 v1, 0x4f7ffffe, v1
	v_cvt_u32_f32_e32 v1, v1
	v_mul_lo_u32 v11, v11, v1
	v_mul_hi_u32 v11, v1, v11
	v_add_u32_e32 v1, v1, v11
	v_mul_hi_u32 v1, s8, v1
	v_mul_lo_u32 v11, v1, v10
	v_sub_u32_e32 v11, s8, v11
	v_add_u32_e32 v16, 1, v1
	v_sub_u32_e32 v17, v11, v10
	v_cmp_ge_u32_e32 vcc, v11, v10
	v_cndmask_b32_e32 v11, v11, v17, vcc
	v_cndmask_b32_e32 v1, v1, v16, vcc
	v_add_u32_e32 v16, 1, v1
	v_cmp_ge_u32_e32 vcc, v11, v10
	v_cndmask_b32_e32 v16, v1, v16, vcc
	v_mov_b32_e32 v17, v18
.LBB80_16:                              ;   in Loop: Header=BB80_4 Depth=1
	s_or_b64 exec, exec, s[0:1]
	v_or_b32_e32 v19, s9, v13
	v_cmp_ne_u64_e32 vcc, 0, v[18:19]
                                        ; implicit-def: $vgpr10_vgpr11
	s_and_saveexec_b64 s[0:1], vcc
	s_xor_b64 s[26:27], exec, s[0:1]
	s_cbranch_execz .LBB80_18
; %bb.17:                               ;   in Loop: Header=BB80_4 Depth=1
	v_ashrrev_i32_e32 v1, 31, v13
	v_add_co_u32_e32 v10, vcc, v12, v1
	v_addc_co_u32_e32 v11, vcc, v13, v1, vcc
	v_xor_b32_e32 v19, v11, v1
	v_xor_b32_e32 v23, v10, v1
	v_cvt_f32_u32_e32 v10, v23
	v_cvt_f32_u32_e32 v11, v19
	v_sub_co_u32_e32 v29, vcc, 0, v23
	v_subb_co_u32_e32 v30, vcc, 0, v19, vcc
	v_mac_f32_e32 v10, 0x4f800000, v11
	v_rcp_f32_e32 v10, v10
	s_mov_b32 s23, s22
	v_xor_b32_e32 v1, s22, v1
	v_mul_f32_e32 v10, 0x5f7ffffc, v10
	v_mul_f32_e32 v11, 0x2f800000, v10
	v_trunc_f32_e32 v11, v11
	v_mac_f32_e32 v10, 0xcf800000, v11
	v_cvt_u32_f32_e32 v28, v10
	v_cvt_u32_f32_e32 v31, v11
	v_mul_lo_u32 v12, v30, v28
	v_mad_u64_u32 v[10:11], s[0:1], v29, v28, 0
	v_mul_lo_u32 v13, v29, v31
	v_add3_u32 v11, v11, v13, v12
	v_mad_u64_u32 v[12:13], s[0:1], v28, v11, 0
	v_mul_hi_u32 v32, v28, v10
	v_add_co_u32_e32 v32, vcc, v32, v12
	v_addc_co_u32_e32 v33, vcc, 0, v13, vcc
	v_mad_u64_u32 v[12:13], s[0:1], v31, v11, 0
	v_mad_u64_u32 v[10:11], s[0:1], v31, v10, 0
	v_add_co_u32_e32 v10, vcc, v32, v10
	v_addc_co_u32_e32 v10, vcc, v33, v11, vcc
	v_addc_co_u32_e32 v11, vcc, 0, v13, vcc
	v_add_co_u32_e32 v10, vcc, v10, v12
	v_addc_co_u32_e32 v11, vcc, 0, v11, vcc
	v_add_co_u32_e32 v32, vcc, v28, v10
	v_addc_co_u32_e32 v33, vcc, v31, v11, vcc
	v_mul_lo_u32 v12, v29, v33
	v_mul_lo_u32 v13, v30, v32
	v_mad_u64_u32 v[10:11], s[0:1], v29, v32, 0
	v_add3_u32 v11, v11, v12, v13
	v_mad_u64_u32 v[28:29], s[0:1], v33, v10, 0
	v_mad_u64_u32 v[30:31], s[0:1], v32, v11, 0
	v_mul_hi_u32 v10, v32, v10
	v_add_co_u32_e32 v10, vcc, v10, v30
	v_mad_u64_u32 v[12:13], s[0:1], v33, v11, 0
	v_addc_co_u32_e32 v11, vcc, 0, v31, vcc
	v_add_co_u32_e32 v10, vcc, v10, v28
	v_addc_co_u32_e32 v10, vcc, v11, v29, vcc
	v_addc_co_u32_e32 v11, vcc, 0, v13, vcc
	v_add_co_u32_e32 v10, vcc, v10, v12
	v_addc_co_u32_e32 v11, vcc, 0, v11, vcc
	s_add_u32 s0, s8, s22
	v_add_co_u32_e32 v12, vcc, v32, v10
	s_addc_u32 s1, s9, s22
	v_addc_co_u32_e32 v13, vcc, v33, v11, vcc
	s_xor_b64 s[34:35], s[0:1], s[22:23]
	v_mad_u64_u32 v[10:11], s[0:1], s34, v13, 0
	v_mul_hi_u32 v28, s34, v12
	v_add_co_u32_e32 v28, vcc, v28, v10
	v_addc_co_u32_e32 v29, vcc, 0, v11, vcc
	v_mad_u64_u32 v[10:11], s[0:1], s35, v13, 0
	v_mad_u64_u32 v[12:13], s[0:1], s35, v12, 0
	v_add_co_u32_e32 v12, vcc, v28, v12
	v_addc_co_u32_e32 v12, vcc, v29, v13, vcc
	v_addc_co_u32_e32 v11, vcc, 0, v11, vcc
	v_add_co_u32_e32 v12, vcc, v12, v10
	v_addc_co_u32_e32 v13, vcc, 0, v11, vcc
	v_mul_lo_u32 v28, v19, v12
	v_mul_lo_u32 v29, v23, v13
	v_mad_u64_u32 v[10:11], s[0:1], v23, v12, 0
	v_add3_u32 v11, v11, v29, v28
	v_sub_u32_e32 v28, s35, v11
	v_sub_co_u32_e32 v10, vcc, s34, v10
	v_subb_co_u32_e64 v28, s[0:1], v28, v19, vcc
	v_sub_co_u32_e64 v29, s[0:1], v10, v23
	v_subbrev_co_u32_e64 v28, s[0:1], 0, v28, s[0:1]
	v_cmp_ge_u32_e64 s[0:1], v28, v19
	v_cndmask_b32_e64 v30, 0, -1, s[0:1]
	v_cmp_ge_u32_e64 s[0:1], v29, v23
	v_cndmask_b32_e64 v29, 0, -1, s[0:1]
	v_cmp_eq_u32_e64 s[0:1], v28, v19
	v_cndmask_b32_e64 v28, v30, v29, s[0:1]
	v_add_co_u32_e64 v29, s[0:1], 2, v12
	v_addc_co_u32_e64 v30, s[0:1], 0, v13, s[0:1]
	v_add_co_u32_e64 v31, s[0:1], 1, v12
	v_addc_co_u32_e64 v32, s[0:1], 0, v13, s[0:1]
	v_cmp_ne_u32_e64 s[0:1], 0, v28
	v_cndmask_b32_e64 v28, v32, v30, s[0:1]
	v_mov_b32_e32 v30, s35
	v_subb_co_u32_e32 v11, vcc, v30, v11, vcc
	v_cmp_ge_u32_e32 vcc, v11, v19
	v_cndmask_b32_e64 v30, 0, -1, vcc
	v_cmp_ge_u32_e32 vcc, v10, v23
	v_cndmask_b32_e64 v10, 0, -1, vcc
	v_cmp_eq_u32_e32 vcc, v11, v19
	v_cndmask_b32_e32 v10, v30, v10, vcc
	v_cmp_ne_u32_e32 vcc, 0, v10
	v_cndmask_b32_e64 v11, v31, v29, s[0:1]
	v_cndmask_b32_e32 v10, v13, v28, vcc
	v_cndmask_b32_e32 v11, v12, v11, vcc
	v_xor_b32_e32 v12, v10, v1
	v_xor_b32_e32 v10, v11, v1
	v_sub_co_u32_e32 v10, vcc, v10, v1
	v_subb_co_u32_e32 v11, vcc, v12, v1, vcc
                                        ; implicit-def: $vgpr12_vgpr13
.LBB80_18:                              ;   in Loop: Header=BB80_4 Depth=1
	s_andn2_saveexec_b64 s[0:1], s[26:27]
	s_cbranch_execz .LBB80_3
; %bb.19:                               ;   in Loop: Header=BB80_4 Depth=1
	v_cvt_f32_u32_e32 v1, v12
	v_sub_u32_e32 v10, 0, v12
	v_rcp_iflag_f32_e32 v1, v1
	v_mul_f32_e32 v1, 0x4f7ffffe, v1
	v_cvt_u32_f32_e32 v1, v1
	v_mul_lo_u32 v10, v10, v1
	v_mul_hi_u32 v10, v1, v10
	v_add_u32_e32 v1, v1, v10
	v_mul_hi_u32 v1, s8, v1
	v_mul_lo_u32 v10, v1, v12
	v_sub_u32_e32 v10, s8, v10
	v_add_u32_e32 v11, 1, v1
	v_sub_u32_e32 v13, v10, v12
	v_cmp_ge_u32_e32 vcc, v10, v12
	v_cndmask_b32_e32 v10, v10, v13, vcc
	v_cndmask_b32_e32 v1, v1, v11, vcc
	v_add_u32_e32 v11, 1, v1
	v_cmp_ge_u32_e32 vcc, v10, v12
	v_cndmask_b32_e32 v10, v1, v11, vcc
	v_mov_b32_e32 v11, v18
	s_branch .LBB80_3
.LBB80_20:
	s_or_b64 exec, exec, s[14:15]
	s_mov_b64 s[0:1], 0
.LBB80_21:
	s_andn2_b64 vcc, exec, s[0:1]
	s_cbranch_vccnz .LBB80_57
; %bb.22:
	v_cmp_lt_i64_e64 s[0:1], s[10:11], 1
	s_and_b64 vcc, exec, s[0:1]
	s_cbranch_vccnz .LBB80_57
; %bb.23:
	s_load_dword s0, s[4:5], 0xc64
	v_mov_b32_e32 v4, 0x10000
	v_mov_b32_e32 v5, 0
	v_cmp_lt_u64_e32 vcc, s[10:11], v[4:5]
	v_lshlrev_b32_e32 v12, 3, v0
	s_waitcnt lgkmcnt(0)
	s_and_b32 s23, s0, 0xffff
	s_and_b64 s[0:1], vcc, exec
	v_mov_b32_e32 v3, s17
	v_add_co_u32_e32 v4, vcc, s16, v12
	v_mov_b32_e32 v2, 0
	v_addc_co_u32_e32 v5, vcc, 0, v3, vcc
	v_mov_b32_e32 v13, v2
	v_mov_b32_e32 v19, s19
	v_add_co_u32_e32 v6, vcc, s18, v12
	v_addc_co_u32_e32 v7, vcc, 0, v19, vcc
	v_mad_u64_u32 v[10:11], s[0:1], s23, 24, v[12:13]
	v_add_co_u32_e32 v8, vcc, s16, v10
	v_addc_co_u32_e32 v9, vcc, v3, v11, vcc
	v_add_co_u32_e32 v10, vcc, s18, v10
	s_cselect_b32 s13, s11, 0
	s_cselect_b32 s12, s10, 0x10000
	v_addc_co_u32_e32 v11, vcc, v19, v11, vcc
	s_lshl_b32 s0, s23, 4
	v_add_co_u32_e32 v14, vcc, s0, v12
	v_addc_co_u32_e64 v15, s[0:1], 0, 0, vcc
	v_add_co_u32_e32 v12, vcc, s16, v14
	v_addc_co_u32_e32 v13, vcc, v3, v15, vcc
	v_add_co_u32_e32 v14, vcc, s18, v14
	v_addc_co_u32_e32 v15, vcc, v19, v15, vcc
	v_add_lshl_u32 v18, v0, s23, 3
	v_add_co_u32_e32 v16, vcc, s16, v18
	s_mov_b32 s22, 0
	v_addc_co_u32_e32 v17, vcc, 0, v3, vcc
	s_lshl_b32 s14, s23, 2
	s_mov_b32 s15, s22
	v_add_co_u32_e32 v18, vcc, s18, v18
	v_mov_b32_e32 v1, v2
	s_mov_b64 s[4:5], 0x10000
	s_lshl_b32 s24, s23, 1
	s_mov_b32 s25, s22
	s_mul_i32 s26, s23, 3
	s_mov_b32 s27, s22
	s_lshl_b32 s28, s23, 5
	s_mov_b32 s29, s22
	v_addc_co_u32_e32 v19, vcc, 0, v19, vcc
	s_mov_b64 s[16:17], s[14:15]
	s_branch .LBB80_25
.LBB80_24:                              ;   in Loop: Header=BB80_25 Depth=1
	s_or_b64 exec, exec, s[0:1]
	v_pk_mov_b32 v[20:21], s[10:11], s[10:11] op_sel:[0,1]
	v_cmp_ge_i64_e32 vcc, s[16:17], v[20:21]
	v_mov_b32_e32 v20, 0xffff
	v_mov_b32_e32 v21, 0
	v_cmp_gt_u64_e64 s[0:1], s[16:17], v[20:21]
	s_or_b64 s[0:1], vcc, s[0:1]
	v_mov_b32_e32 v3, s29
	v_add_co_u32_e32 v4, vcc, s28, v4
	v_addc_co_u32_e32 v5, vcc, v5, v3, vcc
	v_add_co_u32_e32 v6, vcc, s28, v6
	v_addc_co_u32_e32 v7, vcc, v7, v3, vcc
	v_mov_b32_e32 v20, s15
	v_add_co_u32_e32 v0, vcc, s14, v0
	v_addc_co_u32_e32 v1, vcc, v1, v20, vcc
	v_add_co_u32_e32 v8, vcc, s28, v8
	v_addc_co_u32_e32 v9, vcc, v9, v3, vcc
	;; [unrolled: 2-line block ×6, first 2 shown]
	v_add_co_u32_e32 v18, vcc, s28, v18
	s_add_u32 s16, s16, s14
	v_addc_co_u32_e32 v19, vcc, v19, v3, vcc
	s_addc_u32 s17, s17, 0
	s_and_b64 vcc, exec, s[0:1]
	s_cbranch_vccnz .LBB80_57
.LBB80_25:                              ; =>This Inner Loop Header: Depth=1
	v_cmp_gt_i64_e32 vcc, s[10:11], v[0:1]
	v_cmp_gt_u64_e64 s[0:1], s[4:5], v[0:1]
	v_pk_mov_b32 v[40:41], 0, 0
	s_and_b64 s[18:19], vcc, s[0:1]
	v_pk_mov_b32 v[34:35], v[40:41], v[40:41] op_sel:[0,1]
	v_pk_mov_b32 v[20:21], v[40:41], v[40:41] op_sel:[0,1]
	s_and_saveexec_b64 s[0:1], s[18:19]
	s_cbranch_execz .LBB80_27
; %bb.26:                               ;   in Loop: Header=BB80_25 Depth=1
	v_mov_b32_e32 v3, s7
	v_add_co_u32_e32 v22, vcc, s6, v4
	v_addc_co_u32_e32 v23, vcc, v5, v3, vcc
	v_add_co_u32_e32 v24, vcc, s6, v6
	v_addc_co_u32_e32 v25, vcc, v7, v3, vcc
	global_load_dwordx2 v[20:21], v[22:23], off
	global_load_dwordx2 v[34:35], v[24:25], off
.LBB80_27:                              ;   in Loop: Header=BB80_25 Depth=1
	s_or_b64 exec, exec, s[0:1]
	v_mov_b32_e32 v3, s22
	v_add_co_u32_e32 v22, vcc, s23, v0
	v_addc_co_u32_e32 v23, vcc, v3, v1, vcc
	v_cmp_gt_i64_e32 vcc, s[10:11], v[22:23]
	v_cmp_gt_u64_e64 s[0:1], s[4:5], v[22:23]
	s_and_b64 s[18:19], vcc, s[0:1]
	v_pk_mov_b32 v[24:25], v[40:41], v[40:41] op_sel:[0,1]
	s_and_saveexec_b64 s[0:1], s[18:19]
	s_cbranch_execz .LBB80_29
; %bb.28:                               ;   in Loop: Header=BB80_25 Depth=1
	v_mov_b32_e32 v3, s7
	v_add_co_u32_e32 v26, vcc, s6, v16
	v_addc_co_u32_e32 v27, vcc, v17, v3, vcc
	v_add_co_u32_e32 v28, vcc, s6, v18
	v_addc_co_u32_e32 v29, vcc, v19, v3, vcc
	global_load_dwordx2 v[24:25], v[26:27], off
	global_load_dwordx2 v[40:41], v[28:29], off
.LBB80_29:                              ;   in Loop: Header=BB80_25 Depth=1
	s_or_b64 exec, exec, s[0:1]
	v_mov_b32_e32 v3, s25
	v_add_co_u32_e32 v26, vcc, s24, v0
	v_addc_co_u32_e32 v27, vcc, v3, v1, vcc
	v_cmp_gt_i64_e32 vcc, s[10:11], v[26:27]
	v_cmp_gt_u64_e64 s[0:1], s[4:5], v[26:27]
	v_pk_mov_b32 v[38:39], 0, 0
	s_and_b64 s[18:19], vcc, s[0:1]
	v_pk_mov_b32 v[42:43], v[38:39], v[38:39] op_sel:[0,1]
	v_pk_mov_b32 v[28:29], v[38:39], v[38:39] op_sel:[0,1]
	s_and_saveexec_b64 s[0:1], s[18:19]
	s_cbranch_execz .LBB80_31
; %bb.30:                               ;   in Loop: Header=BB80_25 Depth=1
	v_mov_b32_e32 v3, s7
	v_add_co_u32_e32 v30, vcc, s6, v12
	v_addc_co_u32_e32 v31, vcc, v13, v3, vcc
	v_add_co_u32_e32 v32, vcc, s6, v14
	v_addc_co_u32_e32 v33, vcc, v15, v3, vcc
	global_load_dwordx2 v[28:29], v[30:31], off
	global_load_dwordx2 v[42:43], v[32:33], off
.LBB80_31:                              ;   in Loop: Header=BB80_25 Depth=1
	s_or_b64 exec, exec, s[0:1]
	v_mov_b32_e32 v3, s27
	v_add_co_u32_e32 v30, vcc, s26, v0
	v_addc_co_u32_e32 v31, vcc, v3, v1, vcc
	v_cmp_gt_i64_e32 vcc, s[10:11], v[30:31]
	v_cmp_gt_u64_e64 s[0:1], s[4:5], v[30:31]
	s_and_b64 s[18:19], vcc, s[0:1]
	v_pk_mov_b32 v[32:33], v[38:39], v[38:39] op_sel:[0,1]
	s_and_saveexec_b64 s[0:1], s[18:19]
	s_cbranch_execz .LBB80_33
; %bb.32:                               ;   in Loop: Header=BB80_25 Depth=1
	v_mov_b32_e32 v3, s7
	v_add_co_u32_e32 v36, vcc, s6, v8
	v_addc_co_u32_e32 v37, vcc, v9, v3, vcc
	v_add_co_u32_e32 v44, vcc, s6, v10
	v_addc_co_u32_e32 v45, vcc, v11, v3, vcc
	global_load_dwordx2 v[32:33], v[36:37], off
	global_load_dwordx2 v[38:39], v[44:45], off
.LBB80_33:                              ;   in Loop: Header=BB80_25 Depth=1
	s_or_b64 exec, exec, s[0:1]
	s_waitcnt vmcnt(0)
	v_or_b32_e32 v3, s9, v41
	v_cmp_ne_u64_e32 vcc, 0, v[2:3]
                                        ; implicit-def: $vgpr36_vgpr37
	s_and_saveexec_b64 s[0:1], vcc
	s_xor_b64 s[18:19], exec, s[0:1]
	s_cbranch_execz .LBB80_35
; %bb.34:                               ;   in Loop: Header=BB80_25 Depth=1
	v_ashrrev_i32_e32 v3, 31, v41
	v_add_co_u32_e32 v36, vcc, v40, v3
	v_addc_co_u32_e32 v37, vcc, v41, v3, vcc
	v_xor_b32_e32 v48, v37, v3
	v_xor_b32_e32 v49, v36, v3
	v_cvt_f32_u32_e32 v36, v49
	v_cvt_f32_u32_e32 v37, v48
	v_sub_co_u32_e32 v45, vcc, 0, v49
	v_subb_co_u32_e32 v46, vcc, 0, v48, vcc
	v_mac_f32_e32 v36, 0x4f800000, v37
	v_rcp_f32_e32 v36, v36
	s_ashr_i32 s20, s9, 31
	s_mov_b32 s21, s20
	v_xor_b32_e32 v3, s20, v3
	v_mul_f32_e32 v36, 0x5f7ffffc, v36
	v_mul_f32_e32 v37, 0x2f800000, v36
	v_trunc_f32_e32 v37, v37
	v_mac_f32_e32 v36, 0xcf800000, v37
	v_cvt_u32_f32_e32 v44, v36
	v_cvt_u32_f32_e32 v47, v37
	v_mul_lo_u32 v40, v46, v44
	v_mad_u64_u32 v[36:37], s[0:1], v45, v44, 0
	v_mul_lo_u32 v41, v45, v47
	v_add3_u32 v37, v37, v41, v40
	v_mad_u64_u32 v[40:41], s[0:1], v44, v37, 0
	v_mul_hi_u32 v50, v44, v36
	v_add_co_u32_e32 v50, vcc, v50, v40
	v_addc_co_u32_e32 v51, vcc, 0, v41, vcc
	v_mad_u64_u32 v[40:41], s[0:1], v47, v37, 0
	v_mad_u64_u32 v[36:37], s[0:1], v47, v36, 0
	v_add_co_u32_e32 v36, vcc, v50, v36
	v_addc_co_u32_e32 v36, vcc, v51, v37, vcc
	v_addc_co_u32_e32 v37, vcc, 0, v41, vcc
	v_add_co_u32_e32 v36, vcc, v36, v40
	v_addc_co_u32_e32 v37, vcc, 0, v37, vcc
	v_add_co_u32_e32 v50, vcc, v44, v36
	v_addc_co_u32_e32 v51, vcc, v47, v37, vcc
	v_mul_lo_u32 v40, v45, v51
	v_mul_lo_u32 v41, v46, v50
	v_mad_u64_u32 v[36:37], s[0:1], v45, v50, 0
	v_add3_u32 v37, v37, v40, v41
	v_mad_u64_u32 v[44:45], s[0:1], v51, v36, 0
	v_mad_u64_u32 v[46:47], s[0:1], v50, v37, 0
	v_mul_hi_u32 v36, v50, v36
	v_add_co_u32_e32 v36, vcc, v36, v46
	v_mad_u64_u32 v[40:41], s[0:1], v51, v37, 0
	v_addc_co_u32_e32 v37, vcc, 0, v47, vcc
	v_add_co_u32_e32 v36, vcc, v36, v44
	v_addc_co_u32_e32 v36, vcc, v37, v45, vcc
	v_addc_co_u32_e32 v37, vcc, 0, v41, vcc
	v_add_co_u32_e32 v36, vcc, v36, v40
	v_addc_co_u32_e32 v37, vcc, 0, v37, vcc
	s_add_u32 s0, s8, s20
	v_add_co_u32_e32 v40, vcc, v50, v36
	s_addc_u32 s1, s9, s20
	v_addc_co_u32_e32 v41, vcc, v51, v37, vcc
	s_xor_b64 s[30:31], s[0:1], s[20:21]
	v_mad_u64_u32 v[36:37], s[0:1], s30, v41, 0
	v_mul_hi_u32 v44, s30, v40
	v_add_co_u32_e32 v44, vcc, v44, v36
	v_addc_co_u32_e32 v45, vcc, 0, v37, vcc
	v_mad_u64_u32 v[36:37], s[0:1], s31, v41, 0
	v_mad_u64_u32 v[40:41], s[0:1], s31, v40, 0
	v_add_co_u32_e32 v40, vcc, v44, v40
	v_addc_co_u32_e32 v40, vcc, v45, v41, vcc
	v_addc_co_u32_e32 v37, vcc, 0, v37, vcc
	v_add_co_u32_e32 v40, vcc, v40, v36
	v_addc_co_u32_e32 v41, vcc, 0, v37, vcc
	v_mul_lo_u32 v44, v48, v40
	v_mul_lo_u32 v45, v49, v41
	v_mad_u64_u32 v[36:37], s[0:1], v49, v40, 0
	v_add3_u32 v37, v37, v45, v44
	v_sub_u32_e32 v44, s31, v37
	v_sub_co_u32_e32 v36, vcc, s30, v36
	v_subb_co_u32_e64 v44, s[0:1], v44, v48, vcc
	v_sub_co_u32_e64 v45, s[0:1], v36, v49
	v_subbrev_co_u32_e64 v44, s[0:1], 0, v44, s[0:1]
	v_cmp_ge_u32_e64 s[0:1], v44, v48
	v_cndmask_b32_e64 v46, 0, -1, s[0:1]
	v_cmp_ge_u32_e64 s[0:1], v45, v49
	v_cndmask_b32_e64 v45, 0, -1, s[0:1]
	v_cmp_eq_u32_e64 s[0:1], v44, v48
	v_cndmask_b32_e64 v44, v46, v45, s[0:1]
	v_add_co_u32_e64 v45, s[0:1], 2, v40
	v_addc_co_u32_e64 v46, s[0:1], 0, v41, s[0:1]
	v_add_co_u32_e64 v47, s[0:1], 1, v40
	v_addc_co_u32_e64 v50, s[0:1], 0, v41, s[0:1]
	v_cmp_ne_u32_e64 s[0:1], 0, v44
	v_cndmask_b32_e64 v44, v50, v46, s[0:1]
	v_mov_b32_e32 v46, s31
	v_subb_co_u32_e32 v37, vcc, v46, v37, vcc
	v_cmp_ge_u32_e32 vcc, v37, v48
	v_cndmask_b32_e64 v46, 0, -1, vcc
	v_cmp_ge_u32_e32 vcc, v36, v49
	v_cndmask_b32_e64 v36, 0, -1, vcc
	v_cmp_eq_u32_e32 vcc, v37, v48
	v_cndmask_b32_e32 v36, v46, v36, vcc
	v_cmp_ne_u32_e32 vcc, 0, v36
	v_cndmask_b32_e64 v37, v47, v45, s[0:1]
	v_cndmask_b32_e32 v36, v41, v44, vcc
	v_cndmask_b32_e32 v37, v40, v37, vcc
	v_xor_b32_e32 v40, v36, v3
	v_xor_b32_e32 v36, v37, v3
	v_sub_co_u32_e32 v36, vcc, v36, v3
	v_subb_co_u32_e32 v37, vcc, v40, v3, vcc
                                        ; implicit-def: $vgpr40_vgpr41
.LBB80_35:                              ;   in Loop: Header=BB80_25 Depth=1
	s_andn2_saveexec_b64 s[0:1], s[18:19]
	s_cbranch_execz .LBB80_37
; %bb.36:                               ;   in Loop: Header=BB80_25 Depth=1
	v_cvt_f32_u32_e32 v3, v40
	v_sub_u32_e32 v36, 0, v40
	v_rcp_iflag_f32_e32 v3, v3
	v_mul_f32_e32 v3, 0x4f7ffffe, v3
	v_cvt_u32_f32_e32 v3, v3
	v_mul_lo_u32 v36, v36, v3
	v_mul_hi_u32 v36, v3, v36
	v_add_u32_e32 v3, v3, v36
	v_mul_hi_u32 v3, s8, v3
	v_mul_lo_u32 v36, v3, v40
	v_sub_u32_e32 v36, s8, v36
	v_add_u32_e32 v37, 1, v3
	v_sub_u32_e32 v41, v36, v40
	v_cmp_ge_u32_e32 vcc, v36, v40
	v_cndmask_b32_e32 v36, v36, v41, vcc
	v_cndmask_b32_e32 v3, v3, v37, vcc
	v_add_u32_e32 v37, 1, v3
	v_cmp_ge_u32_e32 vcc, v36, v40
	v_cndmask_b32_e32 v36, v3, v37, vcc
	v_mov_b32_e32 v37, v2
.LBB80_37:                              ;   in Loop: Header=BB80_25 Depth=1
	s_or_b64 exec, exec, s[0:1]
	v_or_b32_e32 v3, s9, v43
	v_cmp_ne_u64_e32 vcc, 0, v[2:3]
                                        ; implicit-def: $vgpr40_vgpr41
	s_and_saveexec_b64 s[0:1], vcc
	s_xor_b64 s[18:19], exec, s[0:1]
	s_cbranch_execz .LBB80_39
; %bb.38:                               ;   in Loop: Header=BB80_25 Depth=1
	v_ashrrev_i32_e32 v3, 31, v43
	v_add_co_u32_e32 v40, vcc, v42, v3
	v_addc_co_u32_e32 v41, vcc, v43, v3, vcc
	v_xor_b32_e32 v48, v41, v3
	v_xor_b32_e32 v49, v40, v3
	v_cvt_f32_u32_e32 v40, v49
	v_cvt_f32_u32_e32 v41, v48
	v_sub_co_u32_e32 v45, vcc, 0, v49
	v_subb_co_u32_e32 v46, vcc, 0, v48, vcc
	v_mac_f32_e32 v40, 0x4f800000, v41
	v_rcp_f32_e32 v40, v40
	s_ashr_i32 s20, s9, 31
	s_mov_b32 s21, s20
	v_xor_b32_e32 v3, s20, v3
	v_mul_f32_e32 v40, 0x5f7ffffc, v40
	v_mul_f32_e32 v41, 0x2f800000, v40
	v_trunc_f32_e32 v41, v41
	v_mac_f32_e32 v40, 0xcf800000, v41
	v_cvt_u32_f32_e32 v44, v40
	v_cvt_u32_f32_e32 v47, v41
	v_mul_lo_u32 v42, v46, v44
	v_mad_u64_u32 v[40:41], s[0:1], v45, v44, 0
	v_mul_lo_u32 v43, v45, v47
	v_add3_u32 v41, v41, v43, v42
	v_mad_u64_u32 v[42:43], s[0:1], v44, v41, 0
	v_mul_hi_u32 v50, v44, v40
	v_add_co_u32_e32 v50, vcc, v50, v42
	v_addc_co_u32_e32 v51, vcc, 0, v43, vcc
	v_mad_u64_u32 v[42:43], s[0:1], v47, v41, 0
	v_mad_u64_u32 v[40:41], s[0:1], v47, v40, 0
	v_add_co_u32_e32 v40, vcc, v50, v40
	v_addc_co_u32_e32 v40, vcc, v51, v41, vcc
	v_addc_co_u32_e32 v41, vcc, 0, v43, vcc
	v_add_co_u32_e32 v40, vcc, v40, v42
	v_addc_co_u32_e32 v41, vcc, 0, v41, vcc
	v_add_co_u32_e32 v50, vcc, v44, v40
	v_addc_co_u32_e32 v51, vcc, v47, v41, vcc
	v_mul_lo_u32 v42, v45, v51
	v_mul_lo_u32 v43, v46, v50
	v_mad_u64_u32 v[40:41], s[0:1], v45, v50, 0
	v_add3_u32 v41, v41, v42, v43
	v_mad_u64_u32 v[44:45], s[0:1], v51, v40, 0
	v_mad_u64_u32 v[46:47], s[0:1], v50, v41, 0
	v_mul_hi_u32 v40, v50, v40
	v_add_co_u32_e32 v40, vcc, v40, v46
	v_mad_u64_u32 v[42:43], s[0:1], v51, v41, 0
	v_addc_co_u32_e32 v41, vcc, 0, v47, vcc
	v_add_co_u32_e32 v40, vcc, v40, v44
	v_addc_co_u32_e32 v40, vcc, v41, v45, vcc
	v_addc_co_u32_e32 v41, vcc, 0, v43, vcc
	v_add_co_u32_e32 v40, vcc, v40, v42
	v_addc_co_u32_e32 v41, vcc, 0, v41, vcc
	s_add_u32 s0, s8, s20
	v_add_co_u32_e32 v42, vcc, v50, v40
	s_addc_u32 s1, s9, s20
	v_addc_co_u32_e32 v43, vcc, v51, v41, vcc
	s_xor_b64 s[30:31], s[0:1], s[20:21]
	v_mad_u64_u32 v[40:41], s[0:1], s30, v43, 0
	v_mul_hi_u32 v44, s30, v42
	v_add_co_u32_e32 v44, vcc, v44, v40
	v_addc_co_u32_e32 v45, vcc, 0, v41, vcc
	v_mad_u64_u32 v[40:41], s[0:1], s31, v43, 0
	v_mad_u64_u32 v[42:43], s[0:1], s31, v42, 0
	v_add_co_u32_e32 v42, vcc, v44, v42
	v_addc_co_u32_e32 v42, vcc, v45, v43, vcc
	v_addc_co_u32_e32 v41, vcc, 0, v41, vcc
	v_add_co_u32_e32 v42, vcc, v42, v40
	v_addc_co_u32_e32 v43, vcc, 0, v41, vcc
	v_mul_lo_u32 v44, v48, v42
	v_mul_lo_u32 v45, v49, v43
	v_mad_u64_u32 v[40:41], s[0:1], v49, v42, 0
	v_add3_u32 v41, v41, v45, v44
	v_sub_u32_e32 v44, s31, v41
	v_sub_co_u32_e32 v40, vcc, s30, v40
	v_subb_co_u32_e64 v44, s[0:1], v44, v48, vcc
	v_sub_co_u32_e64 v45, s[0:1], v40, v49
	v_subbrev_co_u32_e64 v44, s[0:1], 0, v44, s[0:1]
	v_cmp_ge_u32_e64 s[0:1], v44, v48
	v_cndmask_b32_e64 v46, 0, -1, s[0:1]
	v_cmp_ge_u32_e64 s[0:1], v45, v49
	v_cndmask_b32_e64 v45, 0, -1, s[0:1]
	v_cmp_eq_u32_e64 s[0:1], v44, v48
	v_cndmask_b32_e64 v44, v46, v45, s[0:1]
	v_add_co_u32_e64 v45, s[0:1], 2, v42
	v_addc_co_u32_e64 v46, s[0:1], 0, v43, s[0:1]
	v_add_co_u32_e64 v47, s[0:1], 1, v42
	v_addc_co_u32_e64 v50, s[0:1], 0, v43, s[0:1]
	v_cmp_ne_u32_e64 s[0:1], 0, v44
	v_cndmask_b32_e64 v44, v50, v46, s[0:1]
	v_mov_b32_e32 v46, s31
	v_subb_co_u32_e32 v41, vcc, v46, v41, vcc
	v_cmp_ge_u32_e32 vcc, v41, v48
	v_cndmask_b32_e64 v46, 0, -1, vcc
	v_cmp_ge_u32_e32 vcc, v40, v49
	v_cndmask_b32_e64 v40, 0, -1, vcc
	v_cmp_eq_u32_e32 vcc, v41, v48
	v_cndmask_b32_e32 v40, v46, v40, vcc
	v_cmp_ne_u32_e32 vcc, 0, v40
	v_cndmask_b32_e64 v41, v47, v45, s[0:1]
	v_cndmask_b32_e32 v40, v43, v44, vcc
	v_cndmask_b32_e32 v41, v42, v41, vcc
	v_xor_b32_e32 v42, v40, v3
	v_xor_b32_e32 v40, v41, v3
	v_sub_co_u32_e32 v40, vcc, v40, v3
	v_subb_co_u32_e32 v41, vcc, v42, v3, vcc
                                        ; implicit-def: $vgpr42_vgpr43
.LBB80_39:                              ;   in Loop: Header=BB80_25 Depth=1
	s_andn2_saveexec_b64 s[0:1], s[18:19]
	s_cbranch_execz .LBB80_41
; %bb.40:                               ;   in Loop: Header=BB80_25 Depth=1
	v_cvt_f32_u32_e32 v3, v42
	v_sub_u32_e32 v40, 0, v42
	v_rcp_iflag_f32_e32 v3, v3
	v_mul_f32_e32 v3, 0x4f7ffffe, v3
	v_cvt_u32_f32_e32 v3, v3
	v_mul_lo_u32 v40, v40, v3
	v_mul_hi_u32 v40, v3, v40
	v_add_u32_e32 v3, v3, v40
	v_mul_hi_u32 v3, s8, v3
	v_mul_lo_u32 v40, v3, v42
	v_sub_u32_e32 v40, s8, v40
	v_add_u32_e32 v41, 1, v3
	v_sub_u32_e32 v43, v40, v42
	v_cmp_ge_u32_e32 vcc, v40, v42
	v_cndmask_b32_e32 v40, v40, v43, vcc
	v_cndmask_b32_e32 v3, v3, v41, vcc
	v_add_u32_e32 v41, 1, v3
	v_cmp_ge_u32_e32 vcc, v40, v42
	v_cndmask_b32_e32 v40, v3, v41, vcc
	v_mov_b32_e32 v41, v2
.LBB80_41:                              ;   in Loop: Header=BB80_25 Depth=1
	s_or_b64 exec, exec, s[0:1]
	v_or_b32_e32 v3, s9, v39
	v_cmp_ne_u64_e32 vcc, 0, v[2:3]
                                        ; implicit-def: $vgpr42_vgpr43
	s_and_saveexec_b64 s[0:1], vcc
	s_xor_b64 s[18:19], exec, s[0:1]
	s_cbranch_execnz .LBB80_47
; %bb.42:                               ;   in Loop: Header=BB80_25 Depth=1
	s_andn2_saveexec_b64 s[0:1], s[18:19]
	s_cbranch_execnz .LBB80_48
.LBB80_43:                              ;   in Loop: Header=BB80_25 Depth=1
	s_or_b64 exec, exec, s[0:1]
	v_cmp_gt_u64_e32 vcc, s[12:13], v[0:1]
	s_and_saveexec_b64 s[18:19], vcc
	s_cbranch_execnz .LBB80_49
.LBB80_44:                              ;   in Loop: Header=BB80_25 Depth=1
	s_or_b64 exec, exec, s[18:19]
	v_cmp_gt_u64_e32 vcc, s[12:13], v[22:23]
	s_and_saveexec_b64 s[0:1], vcc
	s_cbranch_execnz .LBB80_54
.LBB80_45:                              ;   in Loop: Header=BB80_25 Depth=1
	s_or_b64 exec, exec, s[0:1]
	v_cmp_gt_u64_e32 vcc, s[12:13], v[26:27]
	s_and_saveexec_b64 s[0:1], vcc
	s_cbranch_execnz .LBB80_55
.LBB80_46:                              ;   in Loop: Header=BB80_25 Depth=1
	s_or_b64 exec, exec, s[0:1]
	v_cmp_gt_u64_e32 vcc, s[12:13], v[30:31]
	s_and_saveexec_b64 s[0:1], vcc
	s_cbranch_execz .LBB80_24
	s_branch .LBB80_56
.LBB80_47:                              ;   in Loop: Header=BB80_25 Depth=1
	v_ashrrev_i32_e32 v3, 31, v39
	v_add_co_u32_e32 v38, vcc, v38, v3
	v_addc_co_u32_e32 v39, vcc, v39, v3, vcc
	v_xor_b32_e32 v48, v39, v3
	v_xor_b32_e32 v49, v38, v3
	v_cvt_f32_u32_e32 v38, v49
	v_cvt_f32_u32_e32 v39, v48
	v_sub_co_u32_e32 v45, vcc, 0, v49
	v_subb_co_u32_e32 v46, vcc, 0, v48, vcc
	v_mac_f32_e32 v38, 0x4f800000, v39
	v_rcp_f32_e32 v38, v38
	s_ashr_i32 s20, s9, 31
	s_mov_b32 s21, s20
	v_xor_b32_e32 v3, s20, v3
	v_mul_f32_e32 v38, 0x5f7ffffc, v38
	v_mul_f32_e32 v39, 0x2f800000, v38
	v_trunc_f32_e32 v39, v39
	v_mac_f32_e32 v38, 0xcf800000, v39
	v_cvt_u32_f32_e32 v44, v38
	v_cvt_u32_f32_e32 v47, v39
	v_mul_lo_u32 v42, v46, v44
	v_mad_u64_u32 v[38:39], s[0:1], v45, v44, 0
	v_mul_lo_u32 v43, v45, v47
	v_add3_u32 v39, v39, v43, v42
	v_mad_u64_u32 v[42:43], s[0:1], v44, v39, 0
	v_mul_hi_u32 v50, v44, v38
	v_add_co_u32_e32 v50, vcc, v50, v42
	v_addc_co_u32_e32 v51, vcc, 0, v43, vcc
	v_mad_u64_u32 v[42:43], s[0:1], v47, v39, 0
	v_mad_u64_u32 v[38:39], s[0:1], v47, v38, 0
	v_add_co_u32_e32 v38, vcc, v50, v38
	v_addc_co_u32_e32 v38, vcc, v51, v39, vcc
	v_addc_co_u32_e32 v39, vcc, 0, v43, vcc
	v_add_co_u32_e32 v38, vcc, v38, v42
	v_addc_co_u32_e32 v39, vcc, 0, v39, vcc
	v_add_co_u32_e32 v50, vcc, v44, v38
	v_addc_co_u32_e32 v51, vcc, v47, v39, vcc
	v_mul_lo_u32 v42, v45, v51
	v_mul_lo_u32 v43, v46, v50
	v_mad_u64_u32 v[38:39], s[0:1], v45, v50, 0
	v_add3_u32 v39, v39, v42, v43
	v_mad_u64_u32 v[44:45], s[0:1], v51, v38, 0
	v_mad_u64_u32 v[46:47], s[0:1], v50, v39, 0
	v_mul_hi_u32 v38, v50, v38
	v_add_co_u32_e32 v38, vcc, v38, v46
	v_mad_u64_u32 v[42:43], s[0:1], v51, v39, 0
	v_addc_co_u32_e32 v39, vcc, 0, v47, vcc
	v_add_co_u32_e32 v38, vcc, v38, v44
	v_addc_co_u32_e32 v38, vcc, v39, v45, vcc
	v_addc_co_u32_e32 v39, vcc, 0, v43, vcc
	v_add_co_u32_e32 v38, vcc, v38, v42
	v_addc_co_u32_e32 v39, vcc, 0, v39, vcc
	s_add_u32 s0, s8, s20
	v_add_co_u32_e32 v42, vcc, v50, v38
	s_addc_u32 s1, s9, s20
	v_addc_co_u32_e32 v43, vcc, v51, v39, vcc
	s_xor_b64 s[30:31], s[0:1], s[20:21]
	v_mad_u64_u32 v[38:39], s[0:1], s30, v43, 0
	v_mul_hi_u32 v44, s30, v42
	v_add_co_u32_e32 v44, vcc, v44, v38
	v_addc_co_u32_e32 v45, vcc, 0, v39, vcc
	v_mad_u64_u32 v[38:39], s[0:1], s31, v43, 0
	v_mad_u64_u32 v[42:43], s[0:1], s31, v42, 0
	v_add_co_u32_e32 v42, vcc, v44, v42
	v_addc_co_u32_e32 v42, vcc, v45, v43, vcc
	v_addc_co_u32_e32 v39, vcc, 0, v39, vcc
	v_add_co_u32_e32 v42, vcc, v42, v38
	v_addc_co_u32_e32 v43, vcc, 0, v39, vcc
	v_mul_lo_u32 v44, v48, v42
	v_mul_lo_u32 v45, v49, v43
	v_mad_u64_u32 v[38:39], s[0:1], v49, v42, 0
	v_add3_u32 v39, v39, v45, v44
	v_sub_u32_e32 v44, s31, v39
	v_sub_co_u32_e32 v38, vcc, s30, v38
	v_subb_co_u32_e64 v44, s[0:1], v44, v48, vcc
	v_sub_co_u32_e64 v45, s[0:1], v38, v49
	v_subbrev_co_u32_e64 v44, s[0:1], 0, v44, s[0:1]
	v_cmp_ge_u32_e64 s[0:1], v44, v48
	v_cndmask_b32_e64 v46, 0, -1, s[0:1]
	v_cmp_ge_u32_e64 s[0:1], v45, v49
	v_cndmask_b32_e64 v45, 0, -1, s[0:1]
	v_cmp_eq_u32_e64 s[0:1], v44, v48
	v_cndmask_b32_e64 v44, v46, v45, s[0:1]
	v_add_co_u32_e64 v45, s[0:1], 2, v42
	v_addc_co_u32_e64 v46, s[0:1], 0, v43, s[0:1]
	v_add_co_u32_e64 v47, s[0:1], 1, v42
	v_addc_co_u32_e64 v50, s[0:1], 0, v43, s[0:1]
	v_cmp_ne_u32_e64 s[0:1], 0, v44
	v_cndmask_b32_e64 v44, v50, v46, s[0:1]
	v_mov_b32_e32 v46, s31
	v_subb_co_u32_e32 v39, vcc, v46, v39, vcc
	v_cmp_ge_u32_e32 vcc, v39, v48
	v_cndmask_b32_e64 v46, 0, -1, vcc
	v_cmp_ge_u32_e32 vcc, v38, v49
	v_cndmask_b32_e64 v38, 0, -1, vcc
	v_cmp_eq_u32_e32 vcc, v39, v48
	v_cndmask_b32_e32 v38, v46, v38, vcc
	v_cmp_ne_u32_e32 vcc, 0, v38
	v_cndmask_b32_e64 v39, v47, v45, s[0:1]
	v_cndmask_b32_e32 v39, v42, v39, vcc
	v_cndmask_b32_e32 v38, v43, v44, vcc
	v_xor_b32_e32 v39, v39, v3
	v_xor_b32_e32 v38, v38, v3
	v_sub_co_u32_e32 v42, vcc, v39, v3
	v_subb_co_u32_e32 v43, vcc, v38, v3, vcc
                                        ; implicit-def: $vgpr38_vgpr39
	s_andn2_saveexec_b64 s[0:1], s[18:19]
	s_cbranch_execz .LBB80_43
.LBB80_48:                              ;   in Loop: Header=BB80_25 Depth=1
	v_cvt_f32_u32_e32 v3, v38
	v_sub_u32_e32 v39, 0, v38
	v_rcp_iflag_f32_e32 v3, v3
	v_mul_f32_e32 v3, 0x4f7ffffe, v3
	v_cvt_u32_f32_e32 v3, v3
	v_mul_lo_u32 v39, v39, v3
	v_mul_hi_u32 v39, v3, v39
	v_add_u32_e32 v3, v3, v39
	v_mul_hi_u32 v3, s8, v3
	v_mul_lo_u32 v39, v3, v38
	v_sub_u32_e32 v39, s8, v39
	v_add_u32_e32 v42, 1, v3
	v_sub_u32_e32 v43, v39, v38
	v_cmp_ge_u32_e32 vcc, v39, v38
	v_cndmask_b32_e32 v39, v39, v43, vcc
	v_cndmask_b32_e32 v3, v3, v42, vcc
	v_add_u32_e32 v42, 1, v3
	v_cmp_ge_u32_e32 vcc, v39, v38
	v_cndmask_b32_e32 v42, v3, v42, vcc
	v_mov_b32_e32 v43, v2
	s_or_b64 exec, exec, s[0:1]
	v_cmp_gt_u64_e32 vcc, s[12:13], v[0:1]
	s_and_saveexec_b64 s[18:19], vcc
	s_cbranch_execz .LBB80_44
.LBB80_49:                              ;   in Loop: Header=BB80_25 Depth=1
	v_or_b32_e32 v3, s9, v35
	v_cmp_ne_u64_e32 vcc, 0, v[2:3]
                                        ; implicit-def: $vgpr38_vgpr39
	s_and_saveexec_b64 s[0:1], vcc
	s_xor_b64 s[20:21], exec, s[0:1]
	s_cbranch_execz .LBB80_51
; %bb.50:                               ;   in Loop: Header=BB80_25 Depth=1
	v_ashrrev_i32_e32 v3, 31, v35
	v_add_co_u32_e32 v34, vcc, v34, v3
	v_addc_co_u32_e32 v35, vcc, v35, v3, vcc
	v_xor_b32_e32 v48, v35, v3
	v_xor_b32_e32 v49, v34, v3
	v_cvt_f32_u32_e32 v34, v49
	v_cvt_f32_u32_e32 v35, v48
	v_sub_co_u32_e32 v45, vcc, 0, v49
	v_subb_co_u32_e32 v46, vcc, 0, v48, vcc
	v_mac_f32_e32 v34, 0x4f800000, v35
	v_rcp_f32_e32 v34, v34
	s_ashr_i32 s30, s9, 31
	s_mov_b32 s31, s30
	v_xor_b32_e32 v3, s30, v3
	v_mul_f32_e32 v34, 0x5f7ffffc, v34
	v_mul_f32_e32 v35, 0x2f800000, v34
	v_trunc_f32_e32 v35, v35
	v_mac_f32_e32 v34, 0xcf800000, v35
	v_cvt_u32_f32_e32 v44, v34
	v_cvt_u32_f32_e32 v47, v35
	v_mul_lo_u32 v38, v46, v44
	v_mad_u64_u32 v[34:35], s[0:1], v45, v44, 0
	v_mul_lo_u32 v39, v45, v47
	v_add3_u32 v35, v35, v39, v38
	v_mad_u64_u32 v[38:39], s[0:1], v44, v35, 0
	v_mul_hi_u32 v50, v44, v34
	v_add_co_u32_e32 v50, vcc, v50, v38
	v_addc_co_u32_e32 v51, vcc, 0, v39, vcc
	v_mad_u64_u32 v[38:39], s[0:1], v47, v35, 0
	v_mad_u64_u32 v[34:35], s[0:1], v47, v34, 0
	v_add_co_u32_e32 v34, vcc, v50, v34
	v_addc_co_u32_e32 v34, vcc, v51, v35, vcc
	v_addc_co_u32_e32 v35, vcc, 0, v39, vcc
	v_add_co_u32_e32 v34, vcc, v34, v38
	v_addc_co_u32_e32 v35, vcc, 0, v35, vcc
	v_add_co_u32_e32 v50, vcc, v44, v34
	v_addc_co_u32_e32 v51, vcc, v47, v35, vcc
	v_mul_lo_u32 v38, v45, v51
	v_mul_lo_u32 v39, v46, v50
	v_mad_u64_u32 v[34:35], s[0:1], v45, v50, 0
	v_add3_u32 v35, v35, v38, v39
	v_mad_u64_u32 v[44:45], s[0:1], v51, v34, 0
	v_mad_u64_u32 v[46:47], s[0:1], v50, v35, 0
	v_mul_hi_u32 v34, v50, v34
	v_add_co_u32_e32 v34, vcc, v34, v46
	v_mad_u64_u32 v[38:39], s[0:1], v51, v35, 0
	v_addc_co_u32_e32 v35, vcc, 0, v47, vcc
	v_add_co_u32_e32 v34, vcc, v34, v44
	v_addc_co_u32_e32 v34, vcc, v35, v45, vcc
	v_addc_co_u32_e32 v35, vcc, 0, v39, vcc
	v_add_co_u32_e32 v34, vcc, v34, v38
	v_addc_co_u32_e32 v35, vcc, 0, v35, vcc
	s_add_u32 s0, s8, s30
	v_add_co_u32_e32 v38, vcc, v50, v34
	s_addc_u32 s1, s9, s30
	v_addc_co_u32_e32 v39, vcc, v51, v35, vcc
	s_xor_b64 s[34:35], s[0:1], s[30:31]
	v_mad_u64_u32 v[34:35], s[0:1], s34, v39, 0
	v_mul_hi_u32 v44, s34, v38
	v_add_co_u32_e32 v44, vcc, v44, v34
	v_addc_co_u32_e32 v45, vcc, 0, v35, vcc
	v_mad_u64_u32 v[34:35], s[0:1], s35, v39, 0
	v_mad_u64_u32 v[38:39], s[0:1], s35, v38, 0
	v_add_co_u32_e32 v38, vcc, v44, v38
	v_addc_co_u32_e32 v38, vcc, v45, v39, vcc
	v_addc_co_u32_e32 v35, vcc, 0, v35, vcc
	v_add_co_u32_e32 v38, vcc, v38, v34
	v_addc_co_u32_e32 v39, vcc, 0, v35, vcc
	v_mul_lo_u32 v44, v48, v38
	v_mul_lo_u32 v45, v49, v39
	v_mad_u64_u32 v[34:35], s[0:1], v49, v38, 0
	v_add3_u32 v35, v35, v45, v44
	v_sub_u32_e32 v44, s35, v35
	v_sub_co_u32_e32 v34, vcc, s34, v34
	v_subb_co_u32_e64 v44, s[0:1], v44, v48, vcc
	v_sub_co_u32_e64 v45, s[0:1], v34, v49
	v_subbrev_co_u32_e64 v44, s[0:1], 0, v44, s[0:1]
	v_cmp_ge_u32_e64 s[0:1], v44, v48
	v_cndmask_b32_e64 v46, 0, -1, s[0:1]
	v_cmp_ge_u32_e64 s[0:1], v45, v49
	v_cndmask_b32_e64 v45, 0, -1, s[0:1]
	v_cmp_eq_u32_e64 s[0:1], v44, v48
	v_cndmask_b32_e64 v44, v46, v45, s[0:1]
	v_add_co_u32_e64 v45, s[0:1], 2, v38
	v_addc_co_u32_e64 v46, s[0:1], 0, v39, s[0:1]
	v_add_co_u32_e64 v47, s[0:1], 1, v38
	v_addc_co_u32_e64 v50, s[0:1], 0, v39, s[0:1]
	v_cmp_ne_u32_e64 s[0:1], 0, v44
	v_cndmask_b32_e64 v44, v50, v46, s[0:1]
	v_mov_b32_e32 v46, s35
	v_subb_co_u32_e32 v35, vcc, v46, v35, vcc
	v_cmp_ge_u32_e32 vcc, v35, v48
	v_cndmask_b32_e64 v46, 0, -1, vcc
	v_cmp_ge_u32_e32 vcc, v34, v49
	v_cndmask_b32_e64 v34, 0, -1, vcc
	v_cmp_eq_u32_e32 vcc, v35, v48
	v_cndmask_b32_e32 v34, v46, v34, vcc
	v_cmp_ne_u32_e32 vcc, 0, v34
	v_cndmask_b32_e64 v35, v47, v45, s[0:1]
	v_cndmask_b32_e32 v35, v38, v35, vcc
	v_cndmask_b32_e32 v34, v39, v44, vcc
	v_xor_b32_e32 v35, v35, v3
	v_xor_b32_e32 v34, v34, v3
	v_sub_co_u32_e32 v38, vcc, v35, v3
	v_subb_co_u32_e32 v39, vcc, v34, v3, vcc
                                        ; implicit-def: $vgpr34_vgpr35
.LBB80_51:                              ;   in Loop: Header=BB80_25 Depth=1
	s_andn2_saveexec_b64 s[0:1], s[20:21]
	s_cbranch_execz .LBB80_53
; %bb.52:                               ;   in Loop: Header=BB80_25 Depth=1
	v_cvt_f32_u32_e32 v3, v34
	v_sub_u32_e32 v35, 0, v34
	v_rcp_iflag_f32_e32 v3, v3
	v_mul_f32_e32 v3, 0x4f7ffffe, v3
	v_cvt_u32_f32_e32 v3, v3
	v_mul_lo_u32 v35, v35, v3
	v_mul_hi_u32 v35, v3, v35
	v_add_u32_e32 v3, v3, v35
	v_mul_hi_u32 v3, s8, v3
	v_mul_lo_u32 v35, v3, v34
	v_sub_u32_e32 v35, s8, v35
	v_add_u32_e32 v38, 1, v3
	v_sub_u32_e32 v39, v35, v34
	v_cmp_ge_u32_e32 vcc, v35, v34
	v_cndmask_b32_e32 v35, v35, v39, vcc
	v_cndmask_b32_e32 v3, v3, v38, vcc
	v_add_u32_e32 v38, 1, v3
	v_cmp_ge_u32_e32 vcc, v35, v34
	v_cndmask_b32_e32 v38, v3, v38, vcc
	v_mov_b32_e32 v39, v2
.LBB80_53:                              ;   in Loop: Header=BB80_25 Depth=1
	s_or_b64 exec, exec, s[0:1]
	v_mov_b32_e32 v3, s7
	v_add_co_u32_e32 v34, vcc, s6, v4
	v_addc_co_u32_e32 v35, vcc, v5, v3, vcc
	v_mad_u64_u32 v[20:21], s[0:1], v38, s2, v[20:21]
	v_mul_lo_u32 v3, v38, s3
	v_mul_lo_u32 v38, v39, s2
	v_add3_u32 v21, v38, v21, v3
	global_store_dwordx2 v[34:35], v[20:21], off
	s_or_b64 exec, exec, s[18:19]
	v_cmp_gt_u64_e32 vcc, s[12:13], v[22:23]
	s_and_saveexec_b64 s[0:1], vcc
	s_cbranch_execz .LBB80_45
.LBB80_54:                              ;   in Loop: Header=BB80_25 Depth=1
	v_mad_u64_u32 v[20:21], s[18:19], v36, s2, v[24:25]
	v_mul_lo_u32 v3, v36, s3
	v_mul_lo_u32 v22, v37, s2
	v_add3_u32 v21, v22, v21, v3
	v_mov_b32_e32 v3, s7
	v_add_co_u32_e32 v22, vcc, s6, v16
	v_addc_co_u32_e32 v23, vcc, v17, v3, vcc
	global_store_dwordx2 v[22:23], v[20:21], off
	s_or_b64 exec, exec, s[0:1]
	v_cmp_gt_u64_e32 vcc, s[12:13], v[26:27]
	s_and_saveexec_b64 s[0:1], vcc
	s_cbranch_execz .LBB80_46
.LBB80_55:                              ;   in Loop: Header=BB80_25 Depth=1
	v_mad_u64_u32 v[20:21], s[18:19], v40, s2, v[28:29]
	v_mul_lo_u32 v3, v40, s3
	v_mul_lo_u32 v22, v41, s2
	v_add3_u32 v21, v22, v21, v3
	v_mov_b32_e32 v3, s7
	v_add_co_u32_e32 v22, vcc, s6, v12
	v_addc_co_u32_e32 v23, vcc, v13, v3, vcc
	global_store_dwordx2 v[22:23], v[20:21], off
	s_or_b64 exec, exec, s[0:1]
	v_cmp_gt_u64_e32 vcc, s[12:13], v[30:31]
	s_and_saveexec_b64 s[0:1], vcc
	s_cbranch_execz .LBB80_24
.LBB80_56:                              ;   in Loop: Header=BB80_25 Depth=1
	v_mad_u64_u32 v[20:21], s[18:19], v42, s2, v[32:33]
	v_mul_lo_u32 v3, v42, s3
	v_mul_lo_u32 v22, v43, s2
	v_add3_u32 v21, v22, v21, v3
	v_mov_b32_e32 v3, s7
	v_add_co_u32_e32 v22, vcc, s6, v8
	v_addc_co_u32_e32 v23, vcc, v9, v3, vcc
	global_store_dwordx2 v[22:23], v[20:21], off
	s_branch .LBB80_24
.LBB80_57:
	s_endpgm
	.section	.rodata,"a",@progbits
	.p2align	6, 0x0
	.amdhsa_kernel _ZN2at6native12_GLOBAL__N_125multi_tensor_apply_kernelINS1_18TensorListMetadataILi3EEENS1_32PointwiseOpScalar0dTensorFunctorIlLi3ELi2ELi0EEEJSt7dividesIlElEEEvT_T0_DpT1_
		.amdhsa_group_segment_fixed_size 0
		.amdhsa_private_segment_fixed_size 0
		.amdhsa_kernarg_size 3416
		.amdhsa_user_sgpr_count 6
		.amdhsa_user_sgpr_private_segment_buffer 1
		.amdhsa_user_sgpr_dispatch_ptr 0
		.amdhsa_user_sgpr_queue_ptr 0
		.amdhsa_user_sgpr_kernarg_segment_ptr 1
		.amdhsa_user_sgpr_dispatch_id 0
		.amdhsa_user_sgpr_flat_scratch_init 0
		.amdhsa_user_sgpr_kernarg_preload_length 0
		.amdhsa_user_sgpr_kernarg_preload_offset 0
		.amdhsa_user_sgpr_private_segment_size 0
		.amdhsa_uses_dynamic_stack 0
		.amdhsa_system_sgpr_private_segment_wavefront_offset 0
		.amdhsa_system_sgpr_workgroup_id_x 1
		.amdhsa_system_sgpr_workgroup_id_y 0
		.amdhsa_system_sgpr_workgroup_id_z 0
		.amdhsa_system_sgpr_workgroup_info 0
		.amdhsa_system_vgpr_workitem_id 0
		.amdhsa_next_free_vgpr 52
		.amdhsa_next_free_sgpr 36
		.amdhsa_accum_offset 52
		.amdhsa_reserve_vcc 1
		.amdhsa_reserve_flat_scratch 0
		.amdhsa_float_round_mode_32 0
		.amdhsa_float_round_mode_16_64 0
		.amdhsa_float_denorm_mode_32 3
		.amdhsa_float_denorm_mode_16_64 3
		.amdhsa_dx10_clamp 1
		.amdhsa_ieee_mode 1
		.amdhsa_fp16_overflow 0
		.amdhsa_tg_split 0
		.amdhsa_exception_fp_ieee_invalid_op 0
		.amdhsa_exception_fp_denorm_src 0
		.amdhsa_exception_fp_ieee_div_zero 0
		.amdhsa_exception_fp_ieee_overflow 0
		.amdhsa_exception_fp_ieee_underflow 0
		.amdhsa_exception_fp_ieee_inexact 0
		.amdhsa_exception_int_div_zero 0
	.end_amdhsa_kernel
	.section	.text._ZN2at6native12_GLOBAL__N_125multi_tensor_apply_kernelINS1_18TensorListMetadataILi3EEENS1_32PointwiseOpScalar0dTensorFunctorIlLi3ELi2ELi0EEEJSt7dividesIlElEEEvT_T0_DpT1_,"axG",@progbits,_ZN2at6native12_GLOBAL__N_125multi_tensor_apply_kernelINS1_18TensorListMetadataILi3EEENS1_32PointwiseOpScalar0dTensorFunctorIlLi3ELi2ELi0EEEJSt7dividesIlElEEEvT_T0_DpT1_,comdat
.Lfunc_end80:
	.size	_ZN2at6native12_GLOBAL__N_125multi_tensor_apply_kernelINS1_18TensorListMetadataILi3EEENS1_32PointwiseOpScalar0dTensorFunctorIlLi3ELi2ELi0EEEJSt7dividesIlElEEEvT_T0_DpT1_, .Lfunc_end80-_ZN2at6native12_GLOBAL__N_125multi_tensor_apply_kernelINS1_18TensorListMetadataILi3EEENS1_32PointwiseOpScalar0dTensorFunctorIlLi3ELi2ELi0EEEJSt7dividesIlElEEEvT_T0_DpT1_
                                        ; -- End function
	.section	.AMDGPU.csdata,"",@progbits
; Kernel info:
; codeLenInByte = 7552
; NumSgprs: 40
; NumVgprs: 52
; NumAgprs: 0
; TotalNumVgprs: 52
; ScratchSize: 0
; MemoryBound: 0
; FloatMode: 240
; IeeeMode: 1
; LDSByteSize: 0 bytes/workgroup (compile time only)
; SGPRBlocks: 4
; VGPRBlocks: 6
; NumSGPRsForWavesPerEU: 40
; NumVGPRsForWavesPerEU: 52
; AccumOffset: 52
; Occupancy: 8
; WaveLimiterHint : 0
; COMPUTE_PGM_RSRC2:SCRATCH_EN: 0
; COMPUTE_PGM_RSRC2:USER_SGPR: 6
; COMPUTE_PGM_RSRC2:TRAP_HANDLER: 0
; COMPUTE_PGM_RSRC2:TGID_X_EN: 1
; COMPUTE_PGM_RSRC2:TGID_Y_EN: 0
; COMPUTE_PGM_RSRC2:TGID_Z_EN: 0
; COMPUTE_PGM_RSRC2:TIDIG_COMP_CNT: 0
; COMPUTE_PGM_RSRC3_GFX90A:ACCUM_OFFSET: 12
; COMPUTE_PGM_RSRC3_GFX90A:TG_SPLIT: 0
	.section	.text._ZN2at6native12_GLOBAL__N_125multi_tensor_apply_kernelINS1_18TensorListMetadataILi3EEENS1_32PointwiseOpScalar0dTensorFunctorIsLi3ELi2ELi0EEEJSt7dividesIsEsEEEvT_T0_DpT1_,"axG",@progbits,_ZN2at6native12_GLOBAL__N_125multi_tensor_apply_kernelINS1_18TensorListMetadataILi3EEENS1_32PointwiseOpScalar0dTensorFunctorIsLi3ELi2ELi0EEEJSt7dividesIsEsEEEvT_T0_DpT1_,comdat
	.globl	_ZN2at6native12_GLOBAL__N_125multi_tensor_apply_kernelINS1_18TensorListMetadataILi3EEENS1_32PointwiseOpScalar0dTensorFunctorIsLi3ELi2ELi0EEEJSt7dividesIsEsEEEvT_T0_DpT1_ ; -- Begin function _ZN2at6native12_GLOBAL__N_125multi_tensor_apply_kernelINS1_18TensorListMetadataILi3EEENS1_32PointwiseOpScalar0dTensorFunctorIsLi3ELi2ELi0EEEJSt7dividesIsEsEEEvT_T0_DpT1_
	.p2align	8
	.type	_ZN2at6native12_GLOBAL__N_125multi_tensor_apply_kernelINS1_18TensorListMetadataILi3EEENS1_32PointwiseOpScalar0dTensorFunctorIsLi3ELi2ELi0EEEJSt7dividesIsEsEEEvT_T0_DpT1_,@function
_ZN2at6native12_GLOBAL__N_125multi_tensor_apply_kernelINS1_18TensorListMetadataILi3EEENS1_32PointwiseOpScalar0dTensorFunctorIsLi3ELi2ELi0EEEJSt7dividesIsEsEEEvT_T0_DpT1_: ; @_ZN2at6native12_GLOBAL__N_125multi_tensor_apply_kernelINS1_18TensorListMetadataILi3EEENS1_32PointwiseOpScalar0dTensorFunctorIsLi3ELi2ELi0EEEJSt7dividesIsEsEEEvT_T0_DpT1_
; %bb.0:
	v_mov_b32_e32 v1, s6
	global_load_ubyte v1, v1, s[4:5] offset:1536
	s_load_dword s0, s[4:5], 0xc48
	s_mul_hi_u32 s2, s6, 3
	v_mov_b32_e32 v3, 0
	s_waitcnt lgkmcnt(0)
	s_lshr_b32 s20, s0, 16
	s_add_u32 s0, s4, s6
	s_addc_u32 s1, s5, 0
	s_mul_i32 s6, s6, 3
	s_add_u32 s0, s0, s6
	s_addc_u32 s1, s1, s2
	s_waitcnt vmcnt(0)
	v_readfirstlane_b32 s2, v1
	s_lshl_b32 s6, s2, 3
	s_load_dwordx2 s[2:3], s[4:5], s6 offset:0x180
	s_load_dwordx2 s[12:13], s[4:5], s6 offset:0x300
	s_waitcnt lgkmcnt(0)
	s_nop 0
	global_load_sshort v28, v3, s[2:3]
	s_load_dword s8, s[0:1], 0x740
	s_load_dwordx2 s[14:15], s[4:5], s6 offset:0x0
	s_load_dwordx2 s[10:11], s[4:5], s6 offset:0x480
	s_mov_b32 s1, 0
	s_waitcnt lgkmcnt(0)
	s_ashr_i32 s9, s8, 31
	s_lshl_b64 s[6:7], s[8:9], 17
	s_add_u32 s2, s2, s6
	s_or_b32 s2, s12, s2
	s_and_b32 s0, s14, 7
	s_and_b32 s2, s2, 7
	s_cmp_lg_u32 s2, 0
	s_cselect_b64 s[2:3], -1, 0
	s_lshl_b64 s[8:9], s[8:9], 16
	s_sub_u32 s8, s10, s8
	s_subb_u32 s9, s11, s9
	s_and_b32 s10, s10, 3
	s_mov_b32 s11, s1
	s_or_b64 s[10:11], s[0:1], s[10:11]
	s_cmp_lg_u64 s[10:11], 0
	s_cselect_b64 s[10:11], -1, 0
	s_or_b64 s[2:3], s[2:3], s[10:11]
	s_andn2_b64 vcc, exec, s[2:3]
	s_mov_b64 s[2:3], -1
	s_cbranch_vccz .LBB81_5
; %bb.1:
	v_lshlrev_b32_e32 v2, 2, v0
	v_cmp_gt_i64_e32 vcc, s[8:9], v[2:3]
	s_and_saveexec_b64 s[10:11], vcc
	s_cbranch_execz .LBB81_4
; %bb.2:
	s_load_dword s0, s[4:5], 0xc5c
	s_waitcnt vmcnt(0)
	v_cvt_f32_i32_e32 v5, v28
	v_lshlrev_b32_e32 v1, 3, v0
	v_mov_b32_e32 v2, s7
	v_add_co_u32_e32 v4, vcc, s6, v1
	s_waitcnt lgkmcnt(0)
	s_and_b32 s0, s0, 0xffff
	v_mov_b32_e32 v3, 0
	v_addc_co_u32_e32 v1, vcc, 0, v2, vcc
	s_lshl_b32 s21, s0, 3
	v_add_lshl_u32 v2, v0, s0, 2
	s_lshl_b32 s22, s0, 2
	s_mov_b64 s[16:17], 0
	v_mov_b32_e32 v6, s15
	v_mov_b32_e32 v7, s13
	s_mov_b64 s[18:19], 0xffff
	v_mov_b32_e32 v8, s1
	v_mov_b32_e32 v9, s1
.LBB81_3:                               ; =>This Inner Loop Header: Depth=1
	v_add_co_u32_e32 v10, vcc, s14, v4
	v_addc_co_u32_e32 v11, vcc, v6, v1, vcc
	v_add_co_u32_e32 v12, vcc, s12, v4
	v_addc_co_u32_e32 v13, vcc, v7, v1, vcc
	global_load_dwordx2 v[14:15], v[12:13], off
	global_load_dwordx2 v[16:17], v[10:11], off
	v_cmp_le_i64_e32 vcc, s[8:9], v[2:3]
	v_cmp_lt_u64_e64 s[0:1], s[18:19], v[2:3]
	s_or_b64 s[0:1], vcc, s[0:1]
	v_add_co_u32_e64 v4, s[2:3], s21, v4
	v_addc_co_u32_e64 v1, s[2:3], v1, v8, s[2:3]
	v_add_co_u32_e64 v2, s[2:3], s22, v2
	s_and_b64 s[0:1], exec, s[0:1]
	v_addc_co_u32_e64 v3, s[2:3], v3, v9, s[2:3]
	s_or_b64 s[16:17], s[0:1], s[16:17]
	s_waitcnt vmcnt(1)
	v_cvt_f32_i32_sdwa v13, sext(v14) dst_sel:DWORD dst_unused:UNUSED_PAD src0_sel:WORD_0
	v_cvt_f32_i32_sdwa v20, sext(v14) dst_sel:DWORD dst_unused:UNUSED_PAD src0_sel:WORD_1
	v_xor_b32_sdwa v12, v28, sext(v14) dst_sel:DWORD dst_unused:UNUSED_PAD src0_sel:DWORD src1_sel:WORD_0
	v_xor_b32_sdwa v19, v28, sext(v14) dst_sel:DWORD dst_unused:UNUSED_PAD src0_sel:DWORD src1_sel:WORD_1
	v_alignbit_b32 v14, v15, v14, 16
	v_xor_b32_sdwa v22, v28, sext(v15) dst_sel:DWORD dst_unused:UNUSED_PAD src0_sel:DWORD src1_sel:WORD_1
	v_cvt_f32_i32_sdwa v15, sext(v15) dst_sel:DWORD dst_unused:UNUSED_PAD src0_sel:WORD_1
	v_xor_b32_sdwa v23, v28, sext(v14) dst_sel:DWORD dst_unused:UNUSED_PAD src0_sel:DWORD src1_sel:WORD_1
	v_cvt_f32_i32_sdwa v14, sext(v14) dst_sel:DWORD dst_unused:UNUSED_PAD src0_sel:WORD_1
	v_rcp_iflag_f32_e32 v24, v13
	v_rcp_iflag_f32_e32 v25, v20
	;; [unrolled: 1-line block ×4, first 2 shown]
	v_mul_f32_e32 v24, v5, v24
	v_mul_f32_e32 v25, v5, v25
	;; [unrolled: 1-line block ×3, first 2 shown]
	v_trunc_f32_e32 v24, v24
	v_trunc_f32_e32 v25, v25
	v_ashrrev_i32_e32 v12, 30, v12
	v_mul_f32_e32 v27, v5, v27
	v_trunc_f32_e32 v26, v26
	v_mad_f32 v29, -v24, v13, v5
	v_cvt_i32_f32_e32 v24, v24
	v_mad_f32 v30, -v25, v20, v5
	v_cvt_i32_f32_e32 v25, v25
	v_ashrrev_i32_e32 v19, 30, v19
	v_or_b32_e32 v12, 1, v12
	v_trunc_f32_e32 v27, v27
	v_mad_f32 v31, -v26, v15, v5
	v_cvt_i32_f32_e32 v26, v26
	v_cmp_ge_f32_e64 vcc, |v29|, |v13|
	v_ashrrev_i32_e32 v22, 30, v22
	v_or_b32_e32 v19, 1, v19
	v_cndmask_b32_e32 v12, 0, v12, vcc
	v_cmp_ge_f32_e64 vcc, |v30|, |v20|
	v_cvt_i32_f32_e32 v20, v27
	v_ashrrev_i32_e32 v23, 30, v23
	v_or_b32_e32 v22, 1, v22
	v_cndmask_b32_e32 v13, 0, v19, vcc
	v_mad_f32 v19, -v27, v14, v5
	v_cmp_ge_f32_e64 vcc, |v31|, |v15|
	s_waitcnt vmcnt(0)
	v_lshrrev_b32_e32 v18, 16, v16
	v_or_b32_e32 v23, 1, v23
	v_cndmask_b32_e32 v15, 0, v22, vcc
	v_cmp_ge_f32_e64 vcc, |v19|, |v14|
	v_add_u32_e32 v12, v24, v12
	v_add_u32_e32 v13, v25, v13
	v_lshrrev_b32_e32 v21, 16, v17
	v_cndmask_b32_e32 v14, 0, v23, vcc
	v_add_u32_e32 v15, v26, v15
	v_mul_lo_u16_e32 v12, s20, v12
	v_mad_legacy_u16 v13, v13, s20, v18
	v_add_u32_e32 v14, v20, v14
	v_mad_legacy_u16 v15, v15, s20, v21
	v_add_u16_e32 v12, v12, v16
	v_lshlrev_b32_e32 v13, 16, v13
	v_mad_legacy_u16 v14, v14, s20, v17
	v_lshlrev_b32_e32 v15, 16, v15
	v_or_b32_e32 v12, v13, v12
	v_or3_b32 v13, 0, v14, v15
	v_or3_b32 v12, v12, 0, 0
	global_store_dwordx2 v[10:11], v[12:13], off
	s_andn2_b64 exec, exec, s[16:17]
	s_cbranch_execnz .LBB81_3
.LBB81_4:
	s_or_b64 exec, exec, s[10:11]
	s_mov_b64 s[2:3], 0
.LBB81_5:
	s_andn2_b64 vcc, exec, s[2:3]
	s_cbranch_vccnz .LBB81_25
; %bb.6:
	v_cmp_lt_i64_e64 s[0:1], s[8:9], 1
	s_and_b64 vcc, exec, s[0:1]
	s_cbranch_vccnz .LBB81_25
; %bb.7:
	s_load_dword s0, s[4:5], 0xc5c
	v_mov_b32_e32 v2, 0x10000
	v_mov_b32_e32 v3, 0
	v_cmp_lt_u64_e32 vcc, s[8:9], v[2:3]
	v_lshlrev_b32_e32 v10, 1, v0
	s_waitcnt lgkmcnt(0)
	s_and_b32 s17, s0, 0xffff
	s_and_b64 s[0:1], vcc, exec
	v_mov_b32_e32 v15, s15
	v_add_co_u32_e32 v2, vcc, s14, v10
	v_mov_b32_e32 v1, 0
	v_addc_co_u32_e32 v3, vcc, 0, v15, vcc
	v_mov_b32_e32 v11, v1
	v_mov_b32_e32 v17, s13
	v_add_co_u32_e32 v4, vcc, s12, v10
	v_addc_co_u32_e32 v5, vcc, 0, v17, vcc
	v_mad_u64_u32 v[8:9], s[0:1], s17, 6, v[10:11]
	v_add_co_u32_e32 v6, vcc, s14, v8
	v_addc_co_u32_e32 v7, vcc, v15, v9, vcc
	v_add_co_u32_e32 v8, vcc, s12, v8
	s_cselect_b32 s5, s9, 0
	s_cselect_b32 s4, s8, 0x10000
	s_lshl_b32 s10, s17, 2
	v_addc_co_u32_e32 v9, vcc, v17, v9, vcc
	v_add_co_u32_e32 v12, vcc, s10, v10
	v_addc_co_u32_e64 v13, s[0:1], 0, 0, vcc
	v_add_co_u32_e32 v10, vcc, s14, v12
	v_addc_co_u32_e32 v11, vcc, v15, v13, vcc
	v_add_co_u32_e32 v12, vcc, s12, v12
	v_addc_co_u32_e32 v13, vcc, v17, v13, vcc
	v_add_lshl_u32 v16, v0, s17, 1
	s_waitcnt vmcnt(0)
	v_cvt_f32_i32_e32 v29, v28
	v_add_co_u32_e32 v14, vcc, s14, v16
	s_mov_b32 s16, 0
	v_addc_co_u32_e32 v15, vcc, 0, v15, vcc
	s_mov_b32 s11, s16
	v_add_co_u32_e32 v16, vcc, s12, v16
	s_mov_b64 s[2:3], 0x10000
	s_lshl_b32 s18, s17, 1
	s_mov_b32 s19, s16
	s_mul_i32 s21, s17, 3
	s_mov_b32 s22, s16
	s_lshl_b32 s15, s17, 3
	s_mov_b32 s23, s16
	v_addc_co_u32_e32 v17, vcc, 0, v17, vcc
	s_mov_b64 s[12:13], s[10:11]
	s_branch .LBB81_9
.LBB81_8:                               ;   in Loop: Header=BB81_9 Depth=1
	s_or_b64 exec, exec, s[0:1]
	v_pk_mov_b32 v[18:19], s[8:9], s[8:9] op_sel:[0,1]
	v_cmp_ge_i64_e32 vcc, s[12:13], v[18:19]
	v_mov_b32_e32 v18, 0xffff
	v_mov_b32_e32 v19, 0
	v_cmp_gt_u64_e64 s[0:1], s[12:13], v[18:19]
	s_or_b64 s[0:1], vcc, s[0:1]
	v_mov_b32_e32 v18, s23
	v_add_co_u32_e32 v2, vcc, s15, v2
	v_addc_co_u32_e32 v3, vcc, v3, v18, vcc
	v_add_co_u32_e32 v4, vcc, s15, v4
	v_addc_co_u32_e32 v5, vcc, v5, v18, vcc
	v_mov_b32_e32 v19, s11
	v_add_co_u32_e32 v0, vcc, s10, v0
	v_addc_co_u32_e32 v1, vcc, v1, v19, vcc
	v_add_co_u32_e32 v6, vcc, s15, v6
	v_addc_co_u32_e32 v7, vcc, v7, v18, vcc
	;; [unrolled: 2-line block ×6, first 2 shown]
	v_add_co_u32_e32 v16, vcc, s15, v16
	s_add_u32 s12, s12, s10
	v_addc_co_u32_e32 v17, vcc, v17, v18, vcc
	s_addc_u32 s13, s13, 0
	s_and_b64 vcc, exec, s[0:1]
	s_cbranch_vccnz .LBB81_25
.LBB81_9:                               ; =>This Inner Loop Header: Depth=1
	v_cmp_gt_i64_e32 vcc, s[8:9], v[0:1]
	v_cmp_gt_u64_e64 s[0:1], s[2:3], v[0:1]
	v_pk_mov_b32 v[20:21], 0, 0
	s_and_b64 s[24:25], vcc, s[0:1]
	v_pk_mov_b32 v[18:19], v[20:21], v[20:21] op_sel:[0,1]
	s_and_saveexec_b64 s[0:1], s[24:25]
	s_cbranch_execz .LBB81_11
; %bb.10:                               ;   in Loop: Header=BB81_9 Depth=1
	v_mov_b32_e32 v21, s7
	v_add_co_u32_e32 v18, vcc, s6, v2
	v_addc_co_u32_e32 v19, vcc, v3, v21, vcc
	v_add_co_u32_e32 v20, vcc, s6, v4
	v_addc_co_u32_e32 v21, vcc, v5, v21, vcc
	global_load_ushort v22, v[18:19], off
	global_load_ushort v23, v[20:21], off
	v_mov_b32_e32 v19, s16
	v_mov_b32_e32 v21, s16
	s_waitcnt vmcnt(1)
	v_and_b32_e32 v18, 0xffff, v22
	s_waitcnt vmcnt(0)
	v_and_b32_e32 v20, 0xffff, v23
.LBB81_11:                              ;   in Loop: Header=BB81_9 Depth=1
	s_or_b64 exec, exec, s[0:1]
	v_mov_b32_e32 v23, s16
	v_add_co_u32_e32 v22, vcc, s17, v0
	v_addc_co_u32_e32 v23, vcc, v23, v1, vcc
	v_cmp_gt_i64_e32 vcc, s[8:9], v[22:23]
	v_cmp_gt_u64_e64 s[0:1], s[2:3], v[22:23]
	s_and_b64 s[24:25], vcc, s[0:1]
	s_and_saveexec_b64 s[0:1], s[24:25]
	s_cbranch_execz .LBB81_13
; %bb.12:                               ;   in Loop: Header=BB81_9 Depth=1
	v_mov_b32_e32 v27, s7
	v_add_co_u32_e32 v24, vcc, s6, v16
	v_addc_co_u32_e32 v25, vcc, v17, v27, vcc
	v_add_co_u32_e32 v26, vcc, s6, v14
	v_addc_co_u32_e32 v27, vcc, v15, v27, vcc
	global_load_ushort v30, v[26:27], off
	global_load_ushort v31, v[24:25], off
	s_waitcnt vmcnt(1)
	v_lshl_or_b32 v18, v30, 16, v18
	s_waitcnt vmcnt(0)
	v_lshl_or_b32 v20, v31, 16, v20
.LBB81_13:                              ;   in Loop: Header=BB81_9 Depth=1
	s_or_b64 exec, exec, s[0:1]
	v_mov_b32_e32 v25, s19
	v_add_co_u32_e32 v24, vcc, s18, v0
	v_addc_co_u32_e32 v25, vcc, v25, v1, vcc
	v_cmp_gt_i64_e32 vcc, s[8:9], v[24:25]
	v_cmp_gt_u64_e64 s[0:1], s[2:3], v[24:25]
	s_and_b64 s[24:25], vcc, s[0:1]
	s_and_saveexec_b64 s[0:1], s[24:25]
	s_cbranch_execz .LBB81_15
; %bb.14:                               ;   in Loop: Header=BB81_9 Depth=1
	v_mov_b32_e32 v31, s7
	v_add_co_u32_e32 v26, vcc, s6, v12
	v_addc_co_u32_e32 v27, vcc, v13, v31, vcc
	v_add_co_u32_e32 v30, vcc, s6, v10
	v_addc_co_u32_e32 v31, vcc, v11, v31, vcc
	global_load_ushort v32, v[30:31], off
	global_load_ushort v33, v[26:27], off
	s_waitcnt vmcnt(1)
	v_or_b32_e32 v19, v32, v19
	s_waitcnt vmcnt(0)
	v_or_b32_e32 v21, v33, v21
.LBB81_15:                              ;   in Loop: Header=BB81_9 Depth=1
	s_or_b64 exec, exec, s[0:1]
	v_mov_b32_e32 v27, s22
	v_add_co_u32_e32 v26, vcc, s21, v0
	v_addc_co_u32_e32 v27, vcc, v27, v1, vcc
	v_cmp_gt_i64_e32 vcc, s[8:9], v[26:27]
	v_cmp_gt_u64_e64 s[0:1], s[2:3], v[26:27]
	s_and_b64 s[24:25], vcc, s[0:1]
	s_and_saveexec_b64 s[0:1], s[24:25]
	s_cbranch_execnz .LBB81_20
; %bb.16:                               ;   in Loop: Header=BB81_9 Depth=1
	s_or_b64 exec, exec, s[0:1]
	v_cmp_gt_u64_e32 vcc, s[4:5], v[0:1]
	s_and_saveexec_b64 s[0:1], vcc
	s_cbranch_execnz .LBB81_21
.LBB81_17:                              ;   in Loop: Header=BB81_9 Depth=1
	s_or_b64 exec, exec, s[0:1]
	v_cmp_gt_u64_e32 vcc, s[4:5], v[22:23]
	s_and_saveexec_b64 s[0:1], vcc
	s_cbranch_execnz .LBB81_22
.LBB81_18:                              ;   in Loop: Header=BB81_9 Depth=1
	s_or_b64 exec, exec, s[0:1]
	v_cmp_gt_u64_e32 vcc, s[4:5], v[24:25]
	s_and_saveexec_b64 s[0:1], vcc
	s_cbranch_execnz .LBB81_23
.LBB81_19:                              ;   in Loop: Header=BB81_9 Depth=1
	s_or_b64 exec, exec, s[0:1]
	v_cmp_gt_u64_e32 vcc, s[4:5], v[26:27]
	s_and_saveexec_b64 s[0:1], vcc
	s_cbranch_execz .LBB81_8
	s_branch .LBB81_24
.LBB81_20:                              ;   in Loop: Header=BB81_9 Depth=1
	v_mov_b32_e32 v33, s7
	v_add_co_u32_e32 v30, vcc, s6, v8
	v_addc_co_u32_e32 v31, vcc, v9, v33, vcc
	v_add_co_u32_e32 v32, vcc, s6, v6
	v_addc_co_u32_e32 v33, vcc, v7, v33, vcc
	global_load_ushort v34, v[32:33], off
	global_load_ushort v35, v[30:31], off
	s_waitcnt vmcnt(1)
	v_lshlrev_b32_e32 v30, 16, v34
	s_waitcnt vmcnt(0)
	v_lshlrev_b32_e32 v31, 16, v35
	v_or_b32_e32 v19, v30, v19
	v_or_b32_e32 v21, v31, v21
	s_or_b64 exec, exec, s[0:1]
	v_cmp_gt_u64_e32 vcc, s[4:5], v[0:1]
	s_and_saveexec_b64 s[0:1], vcc
	s_cbranch_execz .LBB81_17
.LBB81_21:                              ;   in Loop: Header=BB81_9 Depth=1
	v_cvt_f32_i32_sdwa v30, sext(v20) dst_sel:DWORD dst_unused:UNUSED_PAD src0_sel:WORD_0
	v_xor_b32_sdwa v31, v28, sext(v20) dst_sel:DWORD dst_unused:UNUSED_PAD src0_sel:DWORD src1_sel:WORD_0
	v_ashrrev_i32_e32 v31, 30, v31
	v_or_b32_e32 v31, 1, v31
	v_rcp_iflag_f32_e32 v32, v30
	v_mov_b32_e32 v33, s7
	v_mul_f32_e32 v32, v29, v32
	v_trunc_f32_e32 v32, v32
	v_cvt_i32_f32_e32 v34, v32
	v_mad_f32 v32, -v32, v30, v29
	v_cmp_ge_f32_e64 vcc, |v32|, |v30|
	v_cndmask_b32_e32 v30, 0, v31, vcc
	v_add_u32_e32 v30, v34, v30
	v_mad_legacy_u16 v32, v30, s20, v18
	v_add_co_u32_e32 v30, vcc, s6, v2
	v_addc_co_u32_e32 v31, vcc, v3, v33, vcc
	global_store_short v[30:31], v32, off
	s_or_b64 exec, exec, s[0:1]
	v_cmp_gt_u64_e32 vcc, s[4:5], v[22:23]
	s_and_saveexec_b64 s[0:1], vcc
	s_cbranch_execz .LBB81_18
.LBB81_22:                              ;   in Loop: Header=BB81_9 Depth=1
	v_cvt_f32_i32_sdwa v22, sext(v20) dst_sel:DWORD dst_unused:UNUSED_PAD src0_sel:WORD_1
	v_xor_b32_sdwa v23, v28, sext(v20) dst_sel:DWORD dst_unused:UNUSED_PAD src0_sel:DWORD src1_sel:WORD_1
	v_ashrrev_i32_e32 v23, 30, v23
	v_or_b32_e32 v23, 1, v23
	v_rcp_iflag_f32_e32 v30, v22
	v_lshrrev_b32_e32 v18, 16, v18
	v_mov_b32_e32 v31, s7
	v_mul_f32_e32 v30, v29, v30
	v_trunc_f32_e32 v30, v30
	v_cvt_i32_f32_e32 v32, v30
	v_mad_f32 v30, -v30, v22, v29
	v_cmp_ge_f32_e64 vcc, |v30|, |v22|
	v_cndmask_b32_e32 v22, 0, v23, vcc
	v_add_u32_e32 v22, v32, v22
	v_mad_legacy_u16 v18, v22, s20, v18
	v_add_co_u32_e32 v22, vcc, s6, v14
	v_addc_co_u32_e32 v23, vcc, v15, v31, vcc
	global_store_short v[22:23], v18, off
	s_or_b64 exec, exec, s[0:1]
	v_cmp_gt_u64_e32 vcc, s[4:5], v[24:25]
	s_and_saveexec_b64 s[0:1], vcc
	s_cbranch_execz .LBB81_19
.LBB81_23:                              ;   in Loop: Header=BB81_9 Depth=1
	v_alignbit_b32 v18, v21, v20, 16
	v_cvt_f32_i32_sdwa v22, sext(v18) dst_sel:DWORD dst_unused:UNUSED_PAD src0_sel:WORD_1
	v_xor_b32_sdwa v18, v28, sext(v18) dst_sel:DWORD dst_unused:UNUSED_PAD src0_sel:DWORD src1_sel:WORD_1
	v_ashrrev_i32_e32 v18, 30, v18
	v_or_b32_e32 v18, 1, v18
	v_rcp_iflag_f32_e32 v24, v22
	v_mov_b32_e32 v23, s7
	v_mul_f32_e32 v24, v29, v24
	v_trunc_f32_e32 v24, v24
	v_cvt_i32_f32_e32 v25, v24
	v_mad_f32 v24, -v24, v22, v29
	v_cmp_ge_f32_e64 vcc, |v24|, |v22|
	v_cndmask_b32_e32 v18, 0, v18, vcc
	v_add_u32_e32 v18, v25, v18
	v_add_co_u32_e32 v22, vcc, s6, v10
	v_mad_legacy_u16 v18, v18, s20, v19
	v_addc_co_u32_e32 v23, vcc, v11, v23, vcc
	global_store_short v[22:23], v18, off
	s_or_b64 exec, exec, s[0:1]
	v_cmp_gt_u64_e32 vcc, s[4:5], v[26:27]
	s_and_saveexec_b64 s[0:1], vcc
	s_cbranch_execz .LBB81_8
.LBB81_24:                              ;   in Loop: Header=BB81_9 Depth=1
	v_ashrrev_i64 v[20:21], 48, v[20:21]
	v_cvt_f32_i32_e32 v18, v20
	v_xor_b32_e32 v20, v28, v20
	v_ashrrev_i32_e32 v20, 30, v20
	v_or_b32_e32 v20, 1, v20
	v_rcp_iflag_f32_e32 v22, v18
	v_lshrrev_b32_e32 v19, 16, v19
	v_mov_b32_e32 v21, s7
	v_mul_f32_e32 v22, v29, v22
	v_trunc_f32_e32 v22, v22
	v_cvt_i32_f32_e32 v23, v22
	v_mad_f32 v22, -v22, v18, v29
	v_cmp_ge_f32_e64 vcc, |v22|, |v18|
	v_cndmask_b32_e32 v18, 0, v20, vcc
	v_add_u32_e32 v18, v23, v18
	v_mad_legacy_u16 v20, v18, s20, v19
	v_add_co_u32_e32 v18, vcc, s6, v6
	v_addc_co_u32_e32 v19, vcc, v7, v21, vcc
	global_store_short v[18:19], v20, off
	s_branch .LBB81_8
.LBB81_25:
	s_endpgm
	.section	.rodata,"a",@progbits
	.p2align	6, 0x0
	.amdhsa_kernel _ZN2at6native12_GLOBAL__N_125multi_tensor_apply_kernelINS1_18TensorListMetadataILi3EEENS1_32PointwiseOpScalar0dTensorFunctorIsLi3ELi2ELi0EEEJSt7dividesIsEsEEEvT_T0_DpT1_
		.amdhsa_group_segment_fixed_size 0
		.amdhsa_private_segment_fixed_size 0
		.amdhsa_kernarg_size 3408
		.amdhsa_user_sgpr_count 6
		.amdhsa_user_sgpr_private_segment_buffer 1
		.amdhsa_user_sgpr_dispatch_ptr 0
		.amdhsa_user_sgpr_queue_ptr 0
		.amdhsa_user_sgpr_kernarg_segment_ptr 1
		.amdhsa_user_sgpr_dispatch_id 0
		.amdhsa_user_sgpr_flat_scratch_init 0
		.amdhsa_user_sgpr_kernarg_preload_length 0
		.amdhsa_user_sgpr_kernarg_preload_offset 0
		.amdhsa_user_sgpr_private_segment_size 0
		.amdhsa_uses_dynamic_stack 0
		.amdhsa_system_sgpr_private_segment_wavefront_offset 0
		.amdhsa_system_sgpr_workgroup_id_x 1
		.amdhsa_system_sgpr_workgroup_id_y 0
		.amdhsa_system_sgpr_workgroup_id_z 0
		.amdhsa_system_sgpr_workgroup_info 0
		.amdhsa_system_vgpr_workitem_id 0
		.amdhsa_next_free_vgpr 36
		.amdhsa_next_free_sgpr 26
		.amdhsa_accum_offset 36
		.amdhsa_reserve_vcc 1
		.amdhsa_reserve_flat_scratch 0
		.amdhsa_float_round_mode_32 0
		.amdhsa_float_round_mode_16_64 0
		.amdhsa_float_denorm_mode_32 3
		.amdhsa_float_denorm_mode_16_64 3
		.amdhsa_dx10_clamp 1
		.amdhsa_ieee_mode 1
		.amdhsa_fp16_overflow 0
		.amdhsa_tg_split 0
		.amdhsa_exception_fp_ieee_invalid_op 0
		.amdhsa_exception_fp_denorm_src 0
		.amdhsa_exception_fp_ieee_div_zero 0
		.amdhsa_exception_fp_ieee_overflow 0
		.amdhsa_exception_fp_ieee_underflow 0
		.amdhsa_exception_fp_ieee_inexact 0
		.amdhsa_exception_int_div_zero 0
	.end_amdhsa_kernel
	.section	.text._ZN2at6native12_GLOBAL__N_125multi_tensor_apply_kernelINS1_18TensorListMetadataILi3EEENS1_32PointwiseOpScalar0dTensorFunctorIsLi3ELi2ELi0EEEJSt7dividesIsEsEEEvT_T0_DpT1_,"axG",@progbits,_ZN2at6native12_GLOBAL__N_125multi_tensor_apply_kernelINS1_18TensorListMetadataILi3EEENS1_32PointwiseOpScalar0dTensorFunctorIsLi3ELi2ELi0EEEJSt7dividesIsEsEEEvT_T0_DpT1_,comdat
.Lfunc_end81:
	.size	_ZN2at6native12_GLOBAL__N_125multi_tensor_apply_kernelINS1_18TensorListMetadataILi3EEENS1_32PointwiseOpScalar0dTensorFunctorIsLi3ELi2ELi0EEEJSt7dividesIsEsEEEvT_T0_DpT1_, .Lfunc_end81-_ZN2at6native12_GLOBAL__N_125multi_tensor_apply_kernelINS1_18TensorListMetadataILi3EEENS1_32PointwiseOpScalar0dTensorFunctorIsLi3ELi2ELi0EEEJSt7dividesIsEsEEEvT_T0_DpT1_
                                        ; -- End function
	.section	.AMDGPU.csdata,"",@progbits
; Kernel info:
; codeLenInByte = 2080
; NumSgprs: 30
; NumVgprs: 36
; NumAgprs: 0
; TotalNumVgprs: 36
; ScratchSize: 0
; MemoryBound: 0
; FloatMode: 240
; IeeeMode: 1
; LDSByteSize: 0 bytes/workgroup (compile time only)
; SGPRBlocks: 3
; VGPRBlocks: 4
; NumSGPRsForWavesPerEU: 30
; NumVGPRsForWavesPerEU: 36
; AccumOffset: 36
; Occupancy: 8
; WaveLimiterHint : 0
; COMPUTE_PGM_RSRC2:SCRATCH_EN: 0
; COMPUTE_PGM_RSRC2:USER_SGPR: 6
; COMPUTE_PGM_RSRC2:TRAP_HANDLER: 0
; COMPUTE_PGM_RSRC2:TGID_X_EN: 1
; COMPUTE_PGM_RSRC2:TGID_Y_EN: 0
; COMPUTE_PGM_RSRC2:TGID_Z_EN: 0
; COMPUTE_PGM_RSRC2:TIDIG_COMP_CNT: 0
; COMPUTE_PGM_RSRC3_GFX90A:ACCUM_OFFSET: 8
; COMPUTE_PGM_RSRC3_GFX90A:TG_SPLIT: 0
	.section	.text._ZN2at6native12_GLOBAL__N_125multi_tensor_apply_kernelINS1_18TensorListMetadataILi3EEENS1_32PointwiseOpScalar0dTensorFunctorIdLi3ELi2ELi0EEEJSt7dividesIdEdEEEvT_T0_DpT1_,"axG",@progbits,_ZN2at6native12_GLOBAL__N_125multi_tensor_apply_kernelINS1_18TensorListMetadataILi3EEENS1_32PointwiseOpScalar0dTensorFunctorIdLi3ELi2ELi0EEEJSt7dividesIdEdEEEvT_T0_DpT1_,comdat
	.globl	_ZN2at6native12_GLOBAL__N_125multi_tensor_apply_kernelINS1_18TensorListMetadataILi3EEENS1_32PointwiseOpScalar0dTensorFunctorIdLi3ELi2ELi0EEEJSt7dividesIdEdEEEvT_T0_DpT1_ ; -- Begin function _ZN2at6native12_GLOBAL__N_125multi_tensor_apply_kernelINS1_18TensorListMetadataILi3EEENS1_32PointwiseOpScalar0dTensorFunctorIdLi3ELi2ELi0EEEJSt7dividesIdEdEEEvT_T0_DpT1_
	.p2align	8
	.type	_ZN2at6native12_GLOBAL__N_125multi_tensor_apply_kernelINS1_18TensorListMetadataILi3EEENS1_32PointwiseOpScalar0dTensorFunctorIdLi3ELi2ELi0EEEJSt7dividesIdEdEEEvT_T0_DpT1_,@function
_ZN2at6native12_GLOBAL__N_125multi_tensor_apply_kernelINS1_18TensorListMetadataILi3EEENS1_32PointwiseOpScalar0dTensorFunctorIdLi3ELi2ELi0EEEJSt7dividesIdEdEEEvT_T0_DpT1_: ; @_ZN2at6native12_GLOBAL__N_125multi_tensor_apply_kernelINS1_18TensorListMetadataILi3EEENS1_32PointwiseOpScalar0dTensorFunctorIdLi3ELi2ELi0EEEJSt7dividesIdEdEEEvT_T0_DpT1_
; %bb.0:
	v_mov_b32_e32 v1, s6
	global_load_ubyte v1, v1, s[4:5] offset:1536
	s_add_u32 s0, s4, s6
	s_mul_hi_u32 s1, s6, 3
	s_mul_i32 s6, s6, 3
	s_addc_u32 s2, s5, 0
	s_add_u32 s0, s0, s6
	s_addc_u32 s1, s2, s1
	s_load_dword s6, s[0:1], 0x740
	s_load_dwordx2 s[12:13], s[4:5], 0xc50
	s_mov_b32 s3, 0
	s_mov_b32 s1, s3
	s_waitcnt lgkmcnt(0)
	s_ashr_i32 s7, s6, 31
	s_lshl_b64 s[14:15], s[6:7], 19
	s_waitcnt vmcnt(0)
	v_readfirstlane_b32 s0, v1
	s_lshl_b32 s0, s0, 3
	s_load_dwordx2 s[20:21], s[4:5], s0 offset:0x0
	s_load_dwordx2 s[8:9], s[4:5], s0 offset:0x180
	;; [unrolled: 1-line block ×4, first 2 shown]
	s_waitcnt lgkmcnt(0)
	s_add_u32 s30, s20, s14
	s_addc_u32 s31, s21, s15
	s_and_b32 s2, s30, 31
	s_add_u32 s0, s8, s14
	s_add_u32 s33, s22, s14
	s_addc_u32 s34, s23, s15
	s_or_b32 s0, s33, s0
	s_and_b32 s0, s0, 31
	s_cmp_lg_u32 s0, 0
	s_load_dwordx2 s[16:17], s[8:9], 0x0
	s_cselect_b64 s[8:9], -1, 0
	s_lshl_b64 s[6:7], s[6:7], 16
	s_sub_u32 s18, s10, s6
	s_subb_u32 s19, s11, s7
	s_and_b32 s0, s10, 3
	s_or_b64 s[0:1], s[2:3], s[0:1]
	s_cmp_lg_u64 s[0:1], 0
	s_cselect_b64 s[0:1], -1, 0
	s_or_b64 s[0:1], s[8:9], s[0:1]
	s_andn2_b64 vcc, exec, s[0:1]
	s_mov_b64 s[0:1], -1
	s_cbranch_vccz .LBB82_5
; %bb.1:
	v_mov_b32_e32 v3, 0
	v_lshlrev_b32_e32 v2, 2, v0
	v_cmp_gt_i64_e32 vcc, s[18:19], v[2:3]
	s_and_saveexec_b64 s[24:25], vcc
	s_cbranch_execz .LBB82_4
; %bb.2:
	s_load_dword s2, s[4:5], 0xc64
	v_cmp_eq_f64_e64 s[0:1], s[12:13], 1.0
	v_lshlrev_b32_e32 v4, 5, v0
	s_mov_b64 s[26:27], 0
	s_mov_b64 s[28:29], 0xffff
	s_waitcnt lgkmcnt(0)
	s_and_b32 s2, s2, 0xffff
	v_add_lshl_u32 v2, v0, s2, 2
	s_lshl_b32 s35, s2, 2
	s_lshl_b32 s36, s2, 5
	v_mov_b32_e32 v1, s3
.LBB82_3:                               ; =>This Inner Loop Header: Depth=1
	v_mov_b32_e32 v6, s34
	v_add_co_u32_e32 v22, vcc, s33, v4
	v_mov_b32_e32 v5, s31
	v_add_co_u32_e64 v24, s[10:11], s30, v4
	v_addc_co_u32_e32 v23, vcc, 0, v6, vcc
	v_addc_co_u32_e64 v25, s[10:11], 0, v5, s[10:11]
	global_load_dwordx4 v[6:9], v[22:23], off
	global_load_dwordx4 v[10:13], v[22:23], off offset:16
	global_load_dwordx4 v[14:17], v[24:25], off
	global_load_dwordx4 v[18:21], v[24:25], off offset:16
	v_cmp_le_i64_e64 s[2:3], s[18:19], v[2:3]
	v_cmp_lt_u64_e64 s[6:7], s[28:29], v[2:3]
	s_or_b64 s[2:3], s[2:3], s[6:7]
	s_add_u32 s30, s30, s36
	s_addc_u32 s31, s31, 0
	s_add_u32 s33, s33, s36
	s_addc_u32 s34, s34, 0
	s_and_b64 s[2:3], exec, s[2:3]
	s_or_b64 s[26:27], s[2:3], s[26:27]
	v_add_co_u32_e64 v2, s[8:9], s35, v2
	v_addc_co_u32_e64 v3, vcc, v3, v1, s[8:9]
	s_waitcnt vmcnt(3)
	v_div_scale_f64 v[22:23], s[2:3], v[6:7], v[6:7], s[16:17]
	v_div_scale_f64 v[28:29], s[2:3], v[8:9], v[8:9], s[16:17]
	v_rcp_f64_e32 v[40:41], v[22:23]
	s_waitcnt vmcnt(2)
	v_div_scale_f64 v[32:33], s[6:7], v[10:11], v[10:11], s[16:17]
	v_rcp_f64_e32 v[42:43], v[28:29]
	v_div_scale_f64 v[36:37], s[8:9], v[12:13], v[12:13], s[16:17]
	v_rcp_f64_e32 v[44:45], v[32:33]
	v_rcp_f64_e32 v[46:47], v[36:37]
	v_fma_f64 v[48:49], -v[22:23], v[40:41], 1.0
	v_fma_f64 v[50:51], -v[28:29], v[42:43], 1.0
	v_fmac_f64_e32 v[40:41], v[40:41], v[48:49]
	v_fma_f64 v[52:53], -v[32:33], v[44:45], 1.0
	v_fmac_f64_e32 v[42:43], v[42:43], v[50:51]
	v_fma_f64 v[48:49], -v[22:23], v[40:41], 1.0
	v_div_scale_f64 v[26:27], vcc, s[16:17], v[6:7], s[16:17]
	v_fma_f64 v[54:55], -v[36:37], v[46:47], 1.0
	v_fmac_f64_e32 v[44:45], v[44:45], v[52:53]
	v_fma_f64 v[50:51], -v[28:29], v[42:43], 1.0
	v_fmac_f64_e32 v[40:41], v[40:41], v[48:49]
	v_div_scale_f64 v[30:31], s[2:3], s[16:17], v[8:9], s[16:17]
	v_fmac_f64_e32 v[46:47], v[46:47], v[54:55]
	v_fma_f64 v[52:53], -v[32:33], v[44:45], 1.0
	v_fmac_f64_e32 v[42:43], v[42:43], v[50:51]
	v_mul_f64 v[48:49], v[26:27], v[40:41]
	v_div_scale_f64 v[34:35], s[6:7], s[16:17], v[10:11], s[16:17]
	v_fma_f64 v[54:55], -v[36:37], v[46:47], 1.0
	v_fmac_f64_e32 v[44:45], v[44:45], v[52:53]
	v_mul_f64 v[50:51], v[30:31], v[42:43]
	v_fma_f64 v[22:23], -v[22:23], v[48:49], v[26:27]
	v_div_scale_f64 v[38:39], s[8:9], s[16:17], v[12:13], s[16:17]
	v_fmac_f64_e32 v[46:47], v[46:47], v[54:55]
	v_mul_f64 v[52:53], v[34:35], v[44:45]
	v_fma_f64 v[26:27], -v[28:29], v[50:51], v[30:31]
	v_div_fmas_f64 v[22:23], v[22:23], v[40:41], v[48:49]
	s_mov_b64 vcc, s[2:3]
	v_mul_f64 v[54:55], v[38:39], v[46:47]
	v_fma_f64 v[28:29], -v[32:33], v[52:53], v[34:35]
	v_div_fixup_f64 v[6:7], v[22:23], v[6:7], s[16:17]
	v_div_fmas_f64 v[22:23], v[26:27], v[42:43], v[50:51]
	s_mov_b64 vcc, s[6:7]
	v_fma_f64 v[30:31], -v[36:37], v[54:55], v[38:39]
	s_waitcnt vmcnt(1)
	v_add_f64 v[26:27], v[14:15], v[6:7]
	v_fmac_f64_e32 v[14:15], s[12:13], v[6:7]
	v_div_fixup_f64 v[8:9], v[22:23], v[8:9], s[16:17]
	v_div_fmas_f64 v[22:23], v[28:29], v[44:45], v[52:53]
	s_mov_b64 vcc, s[8:9]
	v_cndmask_b32_e64 v7, v15, v27, s[0:1]
	v_cndmask_b32_e64 v6, v14, v26, s[0:1]
	v_add_f64 v[14:15], v[16:17], v[8:9]
	v_fmac_f64_e32 v[16:17], s[12:13], v[8:9]
	v_div_fixup_f64 v[10:11], v[22:23], v[10:11], s[16:17]
	v_div_fmas_f64 v[22:23], v[30:31], v[46:47], v[54:55]
	v_cndmask_b32_e64 v9, v17, v15, s[0:1]
	v_cndmask_b32_e64 v8, v16, v14, s[0:1]
	s_waitcnt vmcnt(0)
	v_add_f64 v[14:15], v[18:19], v[10:11]
	v_fmac_f64_e32 v[18:19], s[12:13], v[10:11]
	v_div_fixup_f64 v[12:13], v[22:23], v[12:13], s[16:17]
	v_cndmask_b32_e64 v11, v19, v15, s[0:1]
	v_cndmask_b32_e64 v10, v18, v14, s[0:1]
	v_add_f64 v[14:15], v[20:21], v[12:13]
	v_fmac_f64_e32 v[20:21], s[12:13], v[12:13]
	v_cndmask_b32_e64 v13, v21, v15, s[0:1]
	v_cndmask_b32_e64 v12, v20, v14, s[0:1]
	global_store_dwordx4 v[24:25], v[6:9], off
	global_store_dwordx4 v[24:25], v[10:13], off offset:16
	s_andn2_b64 exec, exec, s[26:27]
	s_cbranch_execnz .LBB82_3
.LBB82_4:
	s_or_b64 exec, exec, s[24:25]
	s_mov_b64 s[0:1], 0
.LBB82_5:
	s_andn2_b64 vcc, exec, s[0:1]
	s_cbranch_vccnz .LBB82_25
; %bb.6:
	v_cmp_lt_i64_e64 s[0:1], s[18:19], 1
	s_and_b64 vcc, exec, s[0:1]
	s_cbranch_vccnz .LBB82_25
; %bb.7:
	s_load_dword s2, s[4:5], 0xc64
	v_mov_b32_e32 v2, 0x10000
	v_mov_b32_e32 v3, 0
	v_cmp_lt_u64_e32 vcc, s[18:19], v[2:3]
	v_lshlrev_b32_e32 v10, 3, v0
	s_waitcnt lgkmcnt(0)
	s_and_b32 s25, s2, 0xffff
	s_and_b64 s[2:3], vcc, exec
	v_mov_b32_e32 v15, s21
	v_add_co_u32_e32 v2, vcc, s20, v10
	v_mov_b32_e32 v1, 0
	v_addc_co_u32_e32 v3, vcc, 0, v15, vcc
	v_mov_b32_e32 v11, v1
	v_mov_b32_e32 v17, s23
	v_add_co_u32_e32 v4, vcc, s22, v10
	v_addc_co_u32_e32 v5, vcc, 0, v17, vcc
	v_mad_u64_u32 v[8:9], s[2:3], s25, 24, v[10:11]
	v_add_co_u32_e32 v6, vcc, s20, v8
	v_addc_co_u32_e32 v7, vcc, v15, v9, vcc
	v_add_co_u32_e32 v8, vcc, s22, v8
	s_cselect_b32 s7, s19, 0
	s_cselect_b32 s6, s18, 0x10000
	v_addc_co_u32_e32 v9, vcc, v17, v9, vcc
	s_lshl_b32 s2, s25, 4
	v_add_co_u32_e32 v12, vcc, s2, v10
	v_addc_co_u32_e64 v13, s[2:3], 0, 0, vcc
	v_add_co_u32_e32 v10, vcc, s20, v12
	v_addc_co_u32_e32 v11, vcc, v15, v13, vcc
	v_add_co_u32_e32 v12, vcc, s22, v12
	v_addc_co_u32_e32 v13, vcc, v17, v13, vcc
	v_add_lshl_u32 v16, v0, s25, 3
	v_add_co_u32_e32 v14, vcc, s20, v16
	s_mov_b32 s24, 0
	v_addc_co_u32_e32 v15, vcc, 0, v15, vcc
	s_lshl_b32 s8, s25, 2
	s_mov_b32 s9, s24
	v_add_co_u32_e32 v16, vcc, s22, v16
	v_cmp_eq_f64_e64 s[0:1], s[12:13], 1.0
	s_mov_b64 s[4:5], 0x10000
	s_lshl_b32 s26, s25, 1
	s_mov_b32 s27, s24
	s_mul_i32 s28, s25, 3
	s_mov_b32 s29, s24
	s_lshl_b32 s21, s25, 5
	s_mov_b32 s30, s24
	v_addc_co_u32_e32 v17, vcc, 0, v17, vcc
	s_mov_b64 s[10:11], s[8:9]
	s_branch .LBB82_9
.LBB82_8:                               ;   in Loop: Header=BB82_9 Depth=1
	s_or_b64 exec, exec, s[2:3]
	s_waitcnt vmcnt(0)
	v_pk_mov_b32 v[18:19], s[18:19], s[18:19] op_sel:[0,1]
	v_cmp_ge_i64_e32 vcc, s[10:11], v[18:19]
	v_mov_b32_e32 v18, 0xffff
	v_mov_b32_e32 v19, 0
	v_cmp_gt_u64_e64 s[2:3], s[10:11], v[18:19]
	s_or_b64 s[2:3], vcc, s[2:3]
	v_mov_b32_e32 v18, s30
	v_add_co_u32_e32 v2, vcc, s21, v2
	v_addc_co_u32_e32 v3, vcc, v3, v18, vcc
	v_add_co_u32_e32 v4, vcc, s21, v4
	v_addc_co_u32_e32 v5, vcc, v5, v18, vcc
	v_mov_b32_e32 v19, s9
	v_add_co_u32_e32 v0, vcc, s8, v0
	v_addc_co_u32_e32 v1, vcc, v1, v19, vcc
	v_add_co_u32_e32 v6, vcc, s21, v6
	v_addc_co_u32_e32 v7, vcc, v7, v18, vcc
	;; [unrolled: 2-line block ×6, first 2 shown]
	v_add_co_u32_e32 v16, vcc, s21, v16
	s_add_u32 s10, s10, s8
	v_addc_co_u32_e32 v17, vcc, v17, v18, vcc
	s_addc_u32 s11, s11, 0
	s_and_b64 vcc, exec, s[2:3]
	s_cbranch_vccnz .LBB82_25
.LBB82_9:                               ; =>This Inner Loop Header: Depth=1
	v_cmp_gt_i64_e32 vcc, s[18:19], v[0:1]
	v_cmp_gt_u64_e64 s[2:3], s[4:5], v[0:1]
	v_pk_mov_b32 v[20:21], 0, 0
	s_and_b64 s[22:23], vcc, s[2:3]
	v_pk_mov_b32 v[38:39], v[20:21], v[20:21] op_sel:[0,1]
	v_pk_mov_b32 v[32:33], v[20:21], v[20:21] op_sel:[0,1]
	s_and_saveexec_b64 s[2:3], s[22:23]
	s_cbranch_execz .LBB82_11
; %bb.10:                               ;   in Loop: Header=BB82_9 Depth=1
	v_mov_b32_e32 v23, s15
	v_add_co_u32_e32 v18, vcc, s14, v2
	v_addc_co_u32_e32 v19, vcc, v3, v23, vcc
	v_add_co_u32_e32 v22, vcc, s14, v4
	v_addc_co_u32_e32 v23, vcc, v5, v23, vcc
	global_load_dwordx2 v[32:33], v[18:19], off
	global_load_dwordx2 v[38:39], v[22:23], off
.LBB82_11:                              ;   in Loop: Header=BB82_9 Depth=1
	s_or_b64 exec, exec, s[2:3]
	v_mov_b32_e32 v18, s24
	v_add_co_u32_e32 v36, vcc, s25, v0
	v_addc_co_u32_e32 v37, vcc, v18, v1, vcc
	v_cmp_gt_i64_e32 vcc, s[18:19], v[36:37]
	v_cmp_gt_u64_e64 s[2:3], s[4:5], v[36:37]
	s_and_b64 s[22:23], vcc, s[2:3]
	v_pk_mov_b32 v[26:27], v[20:21], v[20:21] op_sel:[0,1]
	s_and_saveexec_b64 s[2:3], s[22:23]
	s_cbranch_execz .LBB82_13
; %bb.12:                               ;   in Loop: Header=BB82_9 Depth=1
	v_mov_b32_e32 v20, s15
	v_add_co_u32_e32 v18, vcc, s14, v14
	v_addc_co_u32_e32 v19, vcc, v15, v20, vcc
	v_add_co_u32_e32 v22, vcc, s14, v16
	v_addc_co_u32_e32 v23, vcc, v17, v20, vcc
	global_load_dwordx2 v[26:27], v[18:19], off
	global_load_dwordx2 v[20:21], v[22:23], off
.LBB82_13:                              ;   in Loop: Header=BB82_9 Depth=1
	s_or_b64 exec, exec, s[2:3]
	v_mov_b32_e32 v18, s27
	v_add_co_u32_e32 v34, vcc, s26, v0
	v_addc_co_u32_e32 v35, vcc, v18, v1, vcc
	v_cmp_gt_i64_e32 vcc, s[18:19], v[34:35]
	v_cmp_gt_u64_e64 s[2:3], s[4:5], v[34:35]
	v_pk_mov_b32 v[18:19], 0, 0
	s_and_b64 s[22:23], vcc, s[2:3]
	v_pk_mov_b32 v[30:31], v[18:19], v[18:19] op_sel:[0,1]
	v_pk_mov_b32 v[24:25], v[18:19], v[18:19] op_sel:[0,1]
	s_and_saveexec_b64 s[2:3], s[22:23]
	s_cbranch_execz .LBB82_15
; %bb.14:                               ;   in Loop: Header=BB82_9 Depth=1
	v_mov_b32_e32 v24, s15
	v_add_co_u32_e32 v22, vcc, s14, v10
	v_addc_co_u32_e32 v23, vcc, v11, v24, vcc
	v_add_co_u32_e32 v28, vcc, s14, v12
	v_addc_co_u32_e32 v29, vcc, v13, v24, vcc
	global_load_dwordx2 v[24:25], v[22:23], off
	global_load_dwordx2 v[30:31], v[28:29], off
.LBB82_15:                              ;   in Loop: Header=BB82_9 Depth=1
	s_or_b64 exec, exec, s[2:3]
	v_mov_b32_e32 v22, s29
	v_add_co_u32_e32 v28, vcc, s28, v0
	v_addc_co_u32_e32 v29, vcc, v22, v1, vcc
	v_cmp_gt_i64_e32 vcc, s[18:19], v[28:29]
	v_cmp_gt_u64_e64 s[2:3], s[4:5], v[28:29]
	s_and_b64 s[22:23], vcc, s[2:3]
	v_pk_mov_b32 v[22:23], v[18:19], v[18:19] op_sel:[0,1]
	s_and_saveexec_b64 s[2:3], s[22:23]
	s_cbranch_execnz .LBB82_20
; %bb.16:                               ;   in Loop: Header=BB82_9 Depth=1
	s_or_b64 exec, exec, s[2:3]
	v_cmp_gt_u64_e32 vcc, s[6:7], v[0:1]
	s_and_saveexec_b64 s[2:3], vcc
	s_cbranch_execnz .LBB82_21
.LBB82_17:                              ;   in Loop: Header=BB82_9 Depth=1
	s_or_b64 exec, exec, s[2:3]
	v_cmp_gt_u64_e32 vcc, s[6:7], v[36:37]
	s_and_saveexec_b64 s[2:3], vcc
	s_cbranch_execnz .LBB82_22
.LBB82_18:                              ;   in Loop: Header=BB82_9 Depth=1
	s_or_b64 exec, exec, s[2:3]
	v_cmp_gt_u64_e32 vcc, s[6:7], v[34:35]
	s_and_saveexec_b64 s[2:3], vcc
	s_cbranch_execnz .LBB82_23
.LBB82_19:                              ;   in Loop: Header=BB82_9 Depth=1
	s_or_b64 exec, exec, s[2:3]
	v_cmp_gt_u64_e32 vcc, s[6:7], v[28:29]
	s_and_saveexec_b64 s[2:3], vcc
	s_cbranch_execz .LBB82_8
	s_branch .LBB82_24
.LBB82_20:                              ;   in Loop: Header=BB82_9 Depth=1
	v_mov_b32_e32 v18, s15
	v_add_co_u32_e32 v40, vcc, s14, v6
	v_addc_co_u32_e32 v41, vcc, v7, v18, vcc
	v_add_co_u32_e32 v42, vcc, s14, v8
	v_addc_co_u32_e32 v43, vcc, v9, v18, vcc
	global_load_dwordx2 v[22:23], v[40:41], off
	global_load_dwordx2 v[18:19], v[42:43], off
	s_or_b64 exec, exec, s[2:3]
	v_cmp_gt_u64_e32 vcc, s[6:7], v[0:1]
	s_and_saveexec_b64 s[2:3], vcc
	s_cbranch_execz .LBB82_17
.LBB82_21:                              ;   in Loop: Header=BB82_9 Depth=1
	s_waitcnt vmcnt(0)
	v_div_scale_f64 v[40:41], s[22:23], v[38:39], v[38:39], s[16:17]
	v_rcp_f64_e32 v[42:43], v[40:41]
	v_div_scale_f64 v[44:45], vcc, s[16:17], v[38:39], s[16:17]
	v_fma_f64 v[46:47], -v[40:41], v[42:43], 1.0
	v_fmac_f64_e32 v[42:43], v[42:43], v[46:47]
	v_fma_f64 v[46:47], -v[40:41], v[42:43], 1.0
	v_fmac_f64_e32 v[42:43], v[42:43], v[46:47]
	v_mul_f64 v[46:47], v[44:45], v[42:43]
	v_fma_f64 v[40:41], -v[40:41], v[46:47], v[44:45]
	v_div_fmas_f64 v[40:41], v[40:41], v[42:43], v[46:47]
	v_div_fixup_f64 v[38:39], v[40:41], v[38:39], s[16:17]
	v_add_f64 v[40:41], v[32:33], v[38:39]
	v_fmac_f64_e32 v[32:33], s[12:13], v[38:39]
	v_mov_b32_e32 v39, s15
	v_add_co_u32_e32 v38, vcc, s14, v2
	v_cndmask_b32_e64 v33, v33, v41, s[0:1]
	v_cndmask_b32_e64 v32, v32, v40, s[0:1]
	v_addc_co_u32_e32 v39, vcc, v3, v39, vcc
	global_store_dwordx2 v[38:39], v[32:33], off
	s_or_b64 exec, exec, s[2:3]
	v_cmp_gt_u64_e32 vcc, s[6:7], v[36:37]
	s_and_saveexec_b64 s[2:3], vcc
	s_cbranch_execz .LBB82_18
.LBB82_22:                              ;   in Loop: Header=BB82_9 Depth=1
	s_waitcnt vmcnt(0)
	v_div_scale_f64 v[32:33], s[22:23], v[20:21], v[20:21], s[16:17]
	v_rcp_f64_e32 v[36:37], v[32:33]
	v_div_scale_f64 v[38:39], vcc, s[16:17], v[20:21], s[16:17]
	v_fma_f64 v[40:41], -v[32:33], v[36:37], 1.0
	v_fmac_f64_e32 v[36:37], v[36:37], v[40:41]
	v_fma_f64 v[40:41], -v[32:33], v[36:37], 1.0
	v_fmac_f64_e32 v[36:37], v[36:37], v[40:41]
	v_mul_f64 v[40:41], v[38:39], v[36:37]
	v_fma_f64 v[32:33], -v[32:33], v[40:41], v[38:39]
	v_div_fmas_f64 v[32:33], v[32:33], v[36:37], v[40:41]
	v_div_fixup_f64 v[20:21], v[32:33], v[20:21], s[16:17]
	v_add_f64 v[32:33], v[26:27], v[20:21]
	v_fmac_f64_e32 v[26:27], s[12:13], v[20:21]
	v_cndmask_b32_e64 v21, v27, v33, s[0:1]
	v_cndmask_b32_e64 v20, v26, v32, s[0:1]
	v_mov_b32_e32 v27, s15
	v_add_co_u32_e32 v26, vcc, s14, v14
	v_addc_co_u32_e32 v27, vcc, v15, v27, vcc
	global_store_dwordx2 v[26:27], v[20:21], off
	s_or_b64 exec, exec, s[2:3]
	v_cmp_gt_u64_e32 vcc, s[6:7], v[34:35]
	s_and_saveexec_b64 s[2:3], vcc
	s_cbranch_execz .LBB82_19
.LBB82_23:                              ;   in Loop: Header=BB82_9 Depth=1
	s_waitcnt vmcnt(0)
	v_div_scale_f64 v[20:21], s[22:23], v[30:31], v[30:31], s[16:17]
	v_rcp_f64_e32 v[26:27], v[20:21]
	v_div_scale_f64 v[32:33], vcc, s[16:17], v[30:31], s[16:17]
	v_fma_f64 v[34:35], -v[20:21], v[26:27], 1.0
	v_fmac_f64_e32 v[26:27], v[26:27], v[34:35]
	v_fma_f64 v[34:35], -v[20:21], v[26:27], 1.0
	v_fmac_f64_e32 v[26:27], v[26:27], v[34:35]
	v_mul_f64 v[34:35], v[32:33], v[26:27]
	v_fma_f64 v[20:21], -v[20:21], v[34:35], v[32:33]
	v_div_fmas_f64 v[20:21], v[20:21], v[26:27], v[34:35]
	v_div_fixup_f64 v[20:21], v[20:21], v[30:31], s[16:17]
	v_add_f64 v[26:27], v[24:25], v[20:21]
	v_fmac_f64_e32 v[24:25], s[12:13], v[20:21]
	v_cndmask_b32_e64 v21, v25, v27, s[0:1]
	v_cndmask_b32_e64 v20, v24, v26, s[0:1]
	v_mov_b32_e32 v25, s15
	v_add_co_u32_e32 v24, vcc, s14, v10
	v_addc_co_u32_e32 v25, vcc, v11, v25, vcc
	global_store_dwordx2 v[24:25], v[20:21], off
	s_or_b64 exec, exec, s[2:3]
	v_cmp_gt_u64_e32 vcc, s[6:7], v[28:29]
	s_and_saveexec_b64 s[2:3], vcc
	s_cbranch_execz .LBB82_8
.LBB82_24:                              ;   in Loop: Header=BB82_9 Depth=1
	s_waitcnt vmcnt(0)
	v_div_scale_f64 v[20:21], s[22:23], v[18:19], v[18:19], s[16:17]
	v_rcp_f64_e32 v[24:25], v[20:21]
	v_div_scale_f64 v[26:27], vcc, s[16:17], v[18:19], s[16:17]
	v_fma_f64 v[28:29], -v[20:21], v[24:25], 1.0
	v_fmac_f64_e32 v[24:25], v[24:25], v[28:29]
	v_fma_f64 v[28:29], -v[20:21], v[24:25], 1.0
	v_fmac_f64_e32 v[24:25], v[24:25], v[28:29]
	v_mul_f64 v[28:29], v[26:27], v[24:25]
	v_fma_f64 v[20:21], -v[20:21], v[28:29], v[26:27]
	v_div_fmas_f64 v[20:21], v[20:21], v[24:25], v[28:29]
	v_div_fixup_f64 v[18:19], v[20:21], v[18:19], s[16:17]
	v_add_f64 v[20:21], v[22:23], v[18:19]
	v_fmac_f64_e32 v[22:23], s[12:13], v[18:19]
	v_cndmask_b32_e64 v19, v23, v21, s[0:1]
	v_cndmask_b32_e64 v18, v22, v20, s[0:1]
	v_mov_b32_e32 v21, s15
	v_add_co_u32_e32 v20, vcc, s14, v6
	v_addc_co_u32_e32 v21, vcc, v7, v21, vcc
	global_store_dwordx2 v[20:21], v[18:19], off
	s_branch .LBB82_8
.LBB82_25:
	s_endpgm
	.section	.rodata,"a",@progbits
	.p2align	6, 0x0
	.amdhsa_kernel _ZN2at6native12_GLOBAL__N_125multi_tensor_apply_kernelINS1_18TensorListMetadataILi3EEENS1_32PointwiseOpScalar0dTensorFunctorIdLi3ELi2ELi0EEEJSt7dividesIdEdEEEvT_T0_DpT1_
		.amdhsa_group_segment_fixed_size 0
		.amdhsa_private_segment_fixed_size 0
		.amdhsa_kernarg_size 3416
		.amdhsa_user_sgpr_count 6
		.amdhsa_user_sgpr_private_segment_buffer 1
		.amdhsa_user_sgpr_dispatch_ptr 0
		.amdhsa_user_sgpr_queue_ptr 0
		.amdhsa_user_sgpr_kernarg_segment_ptr 1
		.amdhsa_user_sgpr_dispatch_id 0
		.amdhsa_user_sgpr_flat_scratch_init 0
		.amdhsa_user_sgpr_kernarg_preload_length 0
		.amdhsa_user_sgpr_kernarg_preload_offset 0
		.amdhsa_user_sgpr_private_segment_size 0
		.amdhsa_uses_dynamic_stack 0
		.amdhsa_system_sgpr_private_segment_wavefront_offset 0
		.amdhsa_system_sgpr_workgroup_id_x 1
		.amdhsa_system_sgpr_workgroup_id_y 0
		.amdhsa_system_sgpr_workgroup_id_z 0
		.amdhsa_system_sgpr_workgroup_info 0
		.amdhsa_system_vgpr_workitem_id 0
		.amdhsa_next_free_vgpr 56
		.amdhsa_next_free_sgpr 37
		.amdhsa_accum_offset 56
		.amdhsa_reserve_vcc 1
		.amdhsa_reserve_flat_scratch 0
		.amdhsa_float_round_mode_32 0
		.amdhsa_float_round_mode_16_64 0
		.amdhsa_float_denorm_mode_32 3
		.amdhsa_float_denorm_mode_16_64 3
		.amdhsa_dx10_clamp 1
		.amdhsa_ieee_mode 1
		.amdhsa_fp16_overflow 0
		.amdhsa_tg_split 0
		.amdhsa_exception_fp_ieee_invalid_op 0
		.amdhsa_exception_fp_denorm_src 0
		.amdhsa_exception_fp_ieee_div_zero 0
		.amdhsa_exception_fp_ieee_overflow 0
		.amdhsa_exception_fp_ieee_underflow 0
		.amdhsa_exception_fp_ieee_inexact 0
		.amdhsa_exception_int_div_zero 0
	.end_amdhsa_kernel
	.section	.text._ZN2at6native12_GLOBAL__N_125multi_tensor_apply_kernelINS1_18TensorListMetadataILi3EEENS1_32PointwiseOpScalar0dTensorFunctorIdLi3ELi2ELi0EEEJSt7dividesIdEdEEEvT_T0_DpT1_,"axG",@progbits,_ZN2at6native12_GLOBAL__N_125multi_tensor_apply_kernelINS1_18TensorListMetadataILi3EEENS1_32PointwiseOpScalar0dTensorFunctorIdLi3ELi2ELi0EEEJSt7dividesIdEdEEEvT_T0_DpT1_,comdat
.Lfunc_end82:
	.size	_ZN2at6native12_GLOBAL__N_125multi_tensor_apply_kernelINS1_18TensorListMetadataILi3EEENS1_32PointwiseOpScalar0dTensorFunctorIdLi3ELi2ELi0EEEJSt7dividesIdEdEEEvT_T0_DpT1_, .Lfunc_end82-_ZN2at6native12_GLOBAL__N_125multi_tensor_apply_kernelINS1_18TensorListMetadataILi3EEENS1_32PointwiseOpScalar0dTensorFunctorIdLi3ELi2ELi0EEEJSt7dividesIdEdEEEvT_T0_DpT1_
                                        ; -- End function
	.section	.AMDGPU.csdata,"",@progbits
; Kernel info:
; codeLenInByte = 2292
; NumSgprs: 41
; NumVgprs: 56
; NumAgprs: 0
; TotalNumVgprs: 56
; ScratchSize: 0
; MemoryBound: 0
; FloatMode: 240
; IeeeMode: 1
; LDSByteSize: 0 bytes/workgroup (compile time only)
; SGPRBlocks: 5
; VGPRBlocks: 6
; NumSGPRsForWavesPerEU: 41
; NumVGPRsForWavesPerEU: 56
; AccumOffset: 56
; Occupancy: 8
; WaveLimiterHint : 0
; COMPUTE_PGM_RSRC2:SCRATCH_EN: 0
; COMPUTE_PGM_RSRC2:USER_SGPR: 6
; COMPUTE_PGM_RSRC2:TRAP_HANDLER: 0
; COMPUTE_PGM_RSRC2:TGID_X_EN: 1
; COMPUTE_PGM_RSRC2:TGID_Y_EN: 0
; COMPUTE_PGM_RSRC2:TGID_Z_EN: 0
; COMPUTE_PGM_RSRC2:TIDIG_COMP_CNT: 0
; COMPUTE_PGM_RSRC3_GFX90A:ACCUM_OFFSET: 13
; COMPUTE_PGM_RSRC3_GFX90A:TG_SPLIT: 0
	.section	.text._ZN2at6native12_GLOBAL__N_125multi_tensor_apply_kernelINS1_18TensorListMetadataILi3EEENS1_32PointwiseOpScalar0dTensorFunctorIfLi3ELi2ELi0EEEJSt7dividesIfEfEEEvT_T0_DpT1_,"axG",@progbits,_ZN2at6native12_GLOBAL__N_125multi_tensor_apply_kernelINS1_18TensorListMetadataILi3EEENS1_32PointwiseOpScalar0dTensorFunctorIfLi3ELi2ELi0EEEJSt7dividesIfEfEEEvT_T0_DpT1_,comdat
	.globl	_ZN2at6native12_GLOBAL__N_125multi_tensor_apply_kernelINS1_18TensorListMetadataILi3EEENS1_32PointwiseOpScalar0dTensorFunctorIfLi3ELi2ELi0EEEJSt7dividesIfEfEEEvT_T0_DpT1_ ; -- Begin function _ZN2at6native12_GLOBAL__N_125multi_tensor_apply_kernelINS1_18TensorListMetadataILi3EEENS1_32PointwiseOpScalar0dTensorFunctorIfLi3ELi2ELi0EEEJSt7dividesIfEfEEEvT_T0_DpT1_
	.p2align	8
	.type	_ZN2at6native12_GLOBAL__N_125multi_tensor_apply_kernelINS1_18TensorListMetadataILi3EEENS1_32PointwiseOpScalar0dTensorFunctorIfLi3ELi2ELi0EEEJSt7dividesIfEfEEEvT_T0_DpT1_,@function
_ZN2at6native12_GLOBAL__N_125multi_tensor_apply_kernelINS1_18TensorListMetadataILi3EEENS1_32PointwiseOpScalar0dTensorFunctorIfLi3ELi2ELi0EEEJSt7dividesIfEfEEEvT_T0_DpT1_: ; @_ZN2at6native12_GLOBAL__N_125multi_tensor_apply_kernelINS1_18TensorListMetadataILi3EEENS1_32PointwiseOpScalar0dTensorFunctorIfLi3ELi2ELi0EEEJSt7dividesIfEfEEEvT_T0_DpT1_
; %bb.0:
	v_mov_b32_e32 v1, s6
	global_load_ubyte v1, v1, s[4:5] offset:1536
	s_add_u32 s0, s4, s6
	s_mul_hi_u32 s1, s6, 3
	s_mul_i32 s6, s6, 3
	s_addc_u32 s2, s5, 0
	s_add_u32 s0, s0, s6
	s_addc_u32 s1, s2, s1
	s_load_dword s6, s[0:1], 0x740
	s_load_dword s10, s[4:5], 0xc4c
	s_mov_b32 s3, 0
	s_mov_b32 s1, s3
	s_waitcnt lgkmcnt(0)
	s_ashr_i32 s7, s6, 31
	s_lshl_b64 s[12:13], s[6:7], 18
	s_waitcnt vmcnt(0)
	v_readfirstlane_b32 s0, v1
	s_lshl_b32 s0, s0, 3
	s_load_dwordx2 s[18:19], s[4:5], s0 offset:0x0
	s_load_dwordx2 s[8:9], s[4:5], s0 offset:0x180
	;; [unrolled: 1-line block ×4, first 2 shown]
	s_waitcnt lgkmcnt(0)
	s_and_b32 s2, s18, 15
	s_add_u32 s0, s8, s12
	s_load_dword s26, s[8:9], 0x0
	s_or_b32 s0, s16, s0
	s_and_b32 s0, s0, 15
	s_cmp_lg_u32 s0, 0
	s_cselect_b64 s[8:9], -1, 0
	s_lshl_b64 s[6:7], s[6:7], 16
	s_sub_u32 s14, s20, s6
	s_subb_u32 s15, s21, s7
	s_and_b32 s0, s20, 3
	s_or_b64 s[0:1], s[2:3], s[0:1]
	s_cmp_lg_u64 s[0:1], 0
	s_cselect_b64 s[0:1], -1, 0
	s_or_b64 s[0:1], s[8:9], s[0:1]
	s_andn2_b64 vcc, exec, s[0:1]
	s_mov_b64 s[0:1], -1
	s_cbranch_vccz .LBB83_5
; %bb.1:
	v_mov_b32_e32 v3, 0
	v_lshlrev_b32_e32 v2, 2, v0
	v_cmp_gt_i64_e32 vcc, s[14:15], v[2:3]
	s_and_saveexec_b64 s[20:21], vcc
	s_cbranch_execz .LBB83_4
; %bb.2:
	s_load_dword s2, s[4:5], 0xc5c
	v_lshlrev_b32_e32 v1, 4, v0
	v_mov_b32_e32 v4, s13
	v_add_co_u32_e32 v1, vcc, s12, v1
	v_addc_co_u32_e32 v5, vcc, 0, v4, vcc
	s_waitcnt lgkmcnt(0)
	s_and_b32 s2, s2, 0xffff
	v_add_co_u32_e32 v4, vcc, 8, v1
	v_cmp_eq_f32_e64 s[0:1], s10, 1.0
	s_mov_b32 s27, s26
	s_mov_b32 s11, s10
	v_add_lshl_u32 v2, v0, s2, 2
	s_lshl_b32 s28, s2, 2
	v_addc_co_u32_e32 v1, vcc, 0, v5, vcc
	s_lshl_b32 s29, s2, 4
	s_mov_b64 s[22:23], 0
	v_mov_b32_e32 v5, s19
	v_mov_b32_e32 v6, s17
	s_mov_b64 s[24:25], 0xffff
	v_mov_b32_e32 v7, s3
	v_mov_b32_e32 v8, s3
.LBB83_3:                               ; =>This Inner Loop Header: Depth=1
	v_add_co_u32_e32 v10, vcc, s16, v4
	v_addc_co_u32_e32 v11, vcc, v6, v1, vcc
	global_load_dwordx4 v[10:13], v[10:11], off offset:-8
	v_add_co_u32_e32 v18, vcc, s18, v4
	v_addc_co_u32_e32 v19, vcc, v5, v1, vcc
	global_load_dwordx4 v[14:17], v[18:19], off offset:-8
	v_cmp_le_i64_e32 vcc, s[14:15], v[2:3]
	v_cmp_lt_u64_e64 s[2:3], s[24:25], v[2:3]
	s_or_b64 s[2:3], vcc, s[2:3]
	v_add_co_u32_e64 v2, s[6:7], s28, v2
	s_and_b64 s[2:3], exec, s[2:3]
	v_addc_co_u32_e64 v3, s[6:7], v3, v7, s[6:7]
	s_or_b64 s[22:23], s[2:3], s[22:23]
	v_add_co_u32_e64 v4, s[6:7], s29, v4
	v_addc_co_u32_e64 v1, s[6:7], v1, v8, s[6:7]
	s_waitcnt vmcnt(1)
	v_div_scale_f32 v9, s[2:3], v11, v11, s27
	v_div_scale_f32 v21, s[2:3], v10, v10, s26
	v_rcp_f32_e32 v27, v9
	v_div_scale_f32 v23, s[6:7], v13, v13, s27
	v_rcp_f32_e32 v28, v21
	;; [unrolled: 2-line block ×3, first 2 shown]
	v_rcp_f32_e32 v30, v25
	v_fma_f32 v31, -v9, v27, 1.0
	v_div_scale_f32 v20, vcc, s27, v11, s27
	v_fma_f32 v32, -v21, v28, 1.0
	v_fmac_f32_e32 v27, v31, v27
	v_div_scale_f32 v22, s[2:3], s26, v10, s26
	v_fma_f32 v33, -v23, v29, 1.0
	v_fmac_f32_e32 v28, v32, v28
	v_mul_f32_e32 v31, v20, v27
	v_div_scale_f32 v24, s[6:7], s27, v13, s27
	v_fma_f32 v34, -v25, v30, 1.0
	v_fmac_f32_e32 v29, v33, v29
	v_mul_f32_e32 v32, v22, v28
	v_fma_f32 v35, -v9, v31, v20
	v_div_scale_f32 v26, s[8:9], s26, v12, s26
	v_fmac_f32_e32 v30, v34, v30
	v_mul_f32_e32 v33, v24, v29
	v_fma_f32 v36, -v21, v32, v22
	v_fmac_f32_e32 v31, v35, v27
	v_mul_f32_e32 v34, v26, v30
	v_fma_f32 v37, -v23, v33, v24
	v_fmac_f32_e32 v32, v36, v28
	v_fma_f32 v9, -v9, v31, v20
	v_fma_f32 v38, -v25, v34, v26
	v_fmac_f32_e32 v33, v37, v29
	v_fma_f32 v20, -v21, v32, v22
	v_div_fmas_f32 v9, v9, v27, v31
	s_mov_b64 vcc, s[2:3]
	v_fmac_f32_e32 v34, v38, v30
	v_fma_f32 v21, -v23, v33, v24
	v_div_fixup_f32 v11, v9, v11, s27
	v_div_fmas_f32 v9, v20, v28, v32
	s_mov_b64 vcc, s[6:7]
	v_fma_f32 v22, -v25, v34, v26
	v_div_fixup_f32 v10, v9, v10, s26
	v_div_fmas_f32 v9, v21, v29, v33
	s_mov_b64 vcc, s[8:9]
	v_div_fixup_f32 v13, v9, v13, s27
	v_div_fmas_f32 v9, v22, v30, v34
	v_div_fixup_f32 v12, v9, v12, s26
	s_waitcnt vmcnt(0)
	v_pk_add_f32 v[20:21], v[14:15], v[10:11]
	v_pk_fma_f32 v[10:11], s[10:11], v[10:11], v[14:15]
	v_pk_add_f32 v[14:15], v[16:17], v[12:13]
	v_pk_fma_f32 v[12:13], s[10:11], v[12:13], v[16:17]
	v_cndmask_b32_e64 v11, v11, v21, s[0:1]
	v_cndmask_b32_e64 v10, v10, v20, s[0:1]
	;; [unrolled: 1-line block ×4, first 2 shown]
	global_store_dwordx4 v[18:19], v[10:13], off offset:-8
	s_andn2_b64 exec, exec, s[22:23]
	s_cbranch_execnz .LBB83_3
.LBB83_4:
	s_or_b64 exec, exec, s[20:21]
	s_mov_b64 s[0:1], 0
.LBB83_5:
	s_andn2_b64 vcc, exec, s[0:1]
	s_cbranch_vccnz .LBB83_25
; %bb.6:
	v_cmp_lt_i64_e64 s[0:1], s[14:15], 1
	s_and_b64 vcc, exec, s[0:1]
	s_cbranch_vccnz .LBB83_25
; %bb.7:
	s_load_dword s2, s[4:5], 0xc5c
	v_mov_b32_e32 v2, 0x10000
	v_mov_b32_e32 v3, 0
	v_cmp_lt_u64_e32 vcc, s[14:15], v[2:3]
	v_lshlrev_b32_e32 v10, 2, v0
	s_waitcnt lgkmcnt(0)
	s_and_b32 s11, s2, 0xffff
	s_and_b64 s[2:3], vcc, exec
	v_mov_b32_e32 v15, s19
	v_add_co_u32_e32 v2, vcc, s18, v10
	v_mov_b32_e32 v1, 0
	v_addc_co_u32_e32 v3, vcc, 0, v15, vcc
	v_mov_b32_e32 v11, v1
	v_mov_b32_e32 v17, s17
	v_add_co_u32_e32 v4, vcc, s16, v10
	v_addc_co_u32_e32 v5, vcc, 0, v17, vcc
	v_mad_u64_u32 v[8:9], s[2:3], s11, 12, v[10:11]
	v_add_co_u32_e32 v6, vcc, s18, v8
	v_addc_co_u32_e32 v7, vcc, v15, v9, vcc
	v_add_co_u32_e32 v8, vcc, s16, v8
	s_cselect_b32 s7, s15, 0
	s_cselect_b32 s6, s14, 0x10000
	v_addc_co_u32_e32 v9, vcc, v17, v9, vcc
	s_lshl_b32 s2, s11, 3
	v_add_co_u32_e32 v12, vcc, s2, v10
	v_addc_co_u32_e64 v13, s[2:3], 0, 0, vcc
	v_add_co_u32_e32 v10, vcc, s18, v12
	v_addc_co_u32_e32 v11, vcc, v15, v13, vcc
	v_add_co_u32_e32 v12, vcc, s16, v12
	v_addc_co_u32_e32 v13, vcc, v17, v13, vcc
	v_add_lshl_u32 v16, v0, s11, 2
	v_add_co_u32_e32 v14, vcc, s18, v16
	s_mov_b32 s25, 0
	v_addc_co_u32_e32 v15, vcc, 0, v15, vcc
	s_lshl_b32 s8, s11, 2
	s_mov_b32 s9, s25
	v_add_co_u32_e32 v16, vcc, s16, v16
	v_cmp_eq_f32_e64 s[0:1], s10, 1.0
	s_mov_b64 s[4:5], 0x10000
	s_lshl_b32 s20, s11, 1
	s_mov_b32 s21, s25
	s_mul_i32 s22, s11, 3
	s_mov_b32 s23, s25
	s_lshl_b32 s19, s11, 4
	s_mov_b32 s24, s25
	v_addc_co_u32_e32 v17, vcc, 0, v17, vcc
	v_mov_b32_e32 v24, s25
	s_mov_b64 s[16:17], s[8:9]
	s_branch .LBB83_9
.LBB83_8:                               ;   in Loop: Header=BB83_9 Depth=1
	s_or_b64 exec, exec, s[2:3]
	v_pk_mov_b32 v[18:19], s[14:15], s[14:15] op_sel:[0,1]
	v_cmp_ge_i64_e32 vcc, s[16:17], v[18:19]
	v_mov_b32_e32 v18, 0xffff
	v_mov_b32_e32 v19, 0
	v_cmp_gt_u64_e64 s[2:3], s[16:17], v[18:19]
	s_or_b64 s[2:3], vcc, s[2:3]
	v_mov_b32_e32 v18, s24
	v_add_co_u32_e32 v2, vcc, s19, v2
	v_addc_co_u32_e32 v3, vcc, v3, v18, vcc
	v_add_co_u32_e32 v4, vcc, s19, v4
	v_addc_co_u32_e32 v5, vcc, v5, v18, vcc
	v_mov_b32_e32 v19, s9
	v_add_co_u32_e32 v0, vcc, s8, v0
	v_addc_co_u32_e32 v1, vcc, v1, v19, vcc
	v_add_co_u32_e32 v6, vcc, s19, v6
	v_addc_co_u32_e32 v7, vcc, v7, v18, vcc
	;; [unrolled: 2-line block ×6, first 2 shown]
	v_add_co_u32_e32 v16, vcc, s19, v16
	s_add_u32 s16, s16, s8
	v_addc_co_u32_e32 v17, vcc, v17, v18, vcc
	s_addc_u32 s17, s17, 0
	s_and_b64 vcc, exec, s[2:3]
	s_cbranch_vccnz .LBB83_25
.LBB83_9:                               ; =>This Inner Loop Header: Depth=1
	v_cmp_gt_i64_e32 vcc, s[14:15], v[0:1]
	v_cmp_gt_u64_e64 s[2:3], s[4:5], v[0:1]
	s_and_b64 s[28:29], vcc, s[2:3]
	s_waitcnt vmcnt(0)
	v_mov_b32_e32 v30, 0
	v_mov_b32_e32 v26, 0
	s_and_saveexec_b64 s[2:3], s[28:29]
	s_cbranch_execz .LBB83_11
; %bb.10:                               ;   in Loop: Header=BB83_9 Depth=1
	v_mov_b32_e32 v21, s13
	v_add_co_u32_e32 v18, vcc, s12, v2
	v_addc_co_u32_e32 v19, vcc, v3, v21, vcc
	v_add_co_u32_e32 v20, vcc, s12, v4
	v_addc_co_u32_e32 v21, vcc, v5, v21, vcc
	global_load_dword v26, v[18:19], off
	global_load_dword v30, v[20:21], off
.LBB83_11:                              ;   in Loop: Header=BB83_9 Depth=1
	s_or_b64 exec, exec, s[2:3]
	v_add_co_u32_e32 v18, vcc, s11, v0
	v_addc_co_u32_e32 v19, vcc, v24, v1, vcc
	v_cmp_gt_i64_e32 vcc, s[14:15], v[18:19]
	v_cmp_gt_u64_e64 s[2:3], s[4:5], v[18:19]
	s_and_b64 s[28:29], vcc, s[2:3]
	v_mov_b32_e32 v25, 0
	v_mov_b32_e32 v31, 0
	v_mov_b32_e32 v27, 0
	s_and_saveexec_b64 s[2:3], s[28:29]
	s_cbranch_execz .LBB83_13
; %bb.12:                               ;   in Loop: Header=BB83_9 Depth=1
	v_mov_b32_e32 v23, s13
	v_add_co_u32_e32 v20, vcc, s12, v14
	v_addc_co_u32_e32 v21, vcc, v15, v23, vcc
	v_add_co_u32_e32 v22, vcc, s12, v16
	v_addc_co_u32_e32 v23, vcc, v17, v23, vcc
	global_load_dword v27, v[20:21], off
	global_load_dword v31, v[22:23], off
.LBB83_13:                              ;   in Loop: Header=BB83_9 Depth=1
	s_or_b64 exec, exec, s[2:3]
	v_mov_b32_e32 v21, s21
	v_add_co_u32_e32 v20, vcc, s20, v0
	v_addc_co_u32_e32 v21, vcc, v21, v1, vcc
	v_cmp_gt_i64_e32 vcc, s[14:15], v[20:21]
	v_cmp_gt_u64_e64 s[2:3], s[4:5], v[20:21]
	s_and_b64 s[28:29], vcc, s[2:3]
	v_mov_b32_e32 v28, 0
	s_and_saveexec_b64 s[2:3], s[28:29]
	s_cbranch_execz .LBB83_15
; %bb.14:                               ;   in Loop: Header=BB83_9 Depth=1
	v_mov_b32_e32 v25, s13
	v_add_co_u32_e32 v22, vcc, s12, v10
	v_addc_co_u32_e32 v23, vcc, v11, v25, vcc
	v_add_co_u32_e32 v32, vcc, s12, v12
	v_addc_co_u32_e32 v33, vcc, v13, v25, vcc
	global_load_dword v28, v[22:23], off
	global_load_dword v25, v[32:33], off
.LBB83_15:                              ;   in Loop: Header=BB83_9 Depth=1
	s_or_b64 exec, exec, s[2:3]
	v_mov_b32_e32 v23, s23
	v_add_co_u32_e32 v22, vcc, s22, v0
	v_addc_co_u32_e32 v23, vcc, v23, v1, vcc
	v_cmp_gt_i64_e32 vcc, s[14:15], v[22:23]
	v_cmp_gt_u64_e64 s[2:3], s[4:5], v[22:23]
	s_and_b64 s[28:29], vcc, s[2:3]
	v_mov_b32_e32 v32, 0
	v_mov_b32_e32 v29, 0
	s_and_saveexec_b64 s[2:3], s[28:29]
	s_cbranch_execnz .LBB83_20
; %bb.16:                               ;   in Loop: Header=BB83_9 Depth=1
	s_or_b64 exec, exec, s[2:3]
	v_cmp_gt_u64_e32 vcc, s[6:7], v[0:1]
	s_and_saveexec_b64 s[2:3], vcc
	s_cbranch_execnz .LBB83_21
.LBB83_17:                              ;   in Loop: Header=BB83_9 Depth=1
	s_or_b64 exec, exec, s[2:3]
	v_cmp_gt_u64_e32 vcc, s[6:7], v[18:19]
	s_and_saveexec_b64 s[2:3], vcc
	s_cbranch_execnz .LBB83_22
.LBB83_18:                              ;   in Loop: Header=BB83_9 Depth=1
	s_or_b64 exec, exec, s[2:3]
	v_cmp_gt_u64_e32 vcc, s[6:7], v[20:21]
	s_and_saveexec_b64 s[2:3], vcc
	s_cbranch_execnz .LBB83_23
.LBB83_19:                              ;   in Loop: Header=BB83_9 Depth=1
	s_or_b64 exec, exec, s[2:3]
	v_cmp_gt_u64_e32 vcc, s[6:7], v[22:23]
	s_and_saveexec_b64 s[2:3], vcc
	s_cbranch_execz .LBB83_8
	s_branch .LBB83_24
.LBB83_20:                              ;   in Loop: Header=BB83_9 Depth=1
	v_mov_b32_e32 v29, s13
	v_add_co_u32_e32 v34, vcc, s12, v6
	v_addc_co_u32_e32 v35, vcc, v7, v29, vcc
	v_add_co_u32_e32 v36, vcc, s12, v8
	v_addc_co_u32_e32 v37, vcc, v9, v29, vcc
	global_load_dword v29, v[34:35], off
	global_load_dword v32, v[36:37], off
	s_or_b64 exec, exec, s[2:3]
	v_cmp_gt_u64_e32 vcc, s[6:7], v[0:1]
	s_and_saveexec_b64 s[2:3], vcc
	s_cbranch_execz .LBB83_17
.LBB83_21:                              ;   in Loop: Header=BB83_9 Depth=1
	s_waitcnt vmcnt(0)
	v_div_scale_f32 v33, s[28:29], v30, v30, s26
	v_rcp_f32_e32 v34, v33
	v_div_scale_f32 v35, vcc, s26, v30, s26
	v_fma_f32 v36, -v33, v34, 1.0
	v_fmac_f32_e32 v34, v36, v34
	v_mul_f32_e32 v36, v35, v34
	v_fma_f32 v37, -v33, v36, v35
	v_fmac_f32_e32 v36, v37, v34
	v_fma_f32 v33, -v33, v36, v35
	v_div_fmas_f32 v33, v33, v34, v36
	v_div_fixup_f32 v30, v33, v30, s26
	v_add_f32_e32 v33, v26, v30
	v_fmac_f32_e32 v26, s10, v30
	v_mov_b32_e32 v30, s13
	v_add_co_u32_e32 v34, vcc, s12, v2
	v_cndmask_b32_e64 v26, v26, v33, s[0:1]
	v_addc_co_u32_e32 v35, vcc, v3, v30, vcc
	global_store_dword v[34:35], v26, off
	s_or_b64 exec, exec, s[2:3]
	v_cmp_gt_u64_e32 vcc, s[6:7], v[18:19]
	s_and_saveexec_b64 s[2:3], vcc
	s_cbranch_execz .LBB83_18
.LBB83_22:                              ;   in Loop: Header=BB83_9 Depth=1
	s_waitcnt vmcnt(0)
	v_div_scale_f32 v18, s[28:29], v31, v31, s26
	v_rcp_f32_e32 v19, v18
	v_div_scale_f32 v26, vcc, s26, v31, s26
	v_fma_f32 v30, -v18, v19, 1.0
	v_fmac_f32_e32 v19, v30, v19
	v_mul_f32_e32 v30, v26, v19
	v_fma_f32 v33, -v18, v30, v26
	v_fmac_f32_e32 v30, v33, v19
	v_fma_f32 v18, -v18, v30, v26
	v_div_fmas_f32 v18, v18, v19, v30
	v_div_fixup_f32 v18, v18, v31, s26
	v_add_f32_e32 v19, v27, v18
	v_fmac_f32_e32 v27, s10, v18
	v_cndmask_b32_e64 v26, v27, v19, s[0:1]
	v_mov_b32_e32 v19, s13
	v_add_co_u32_e32 v18, vcc, s12, v14
	v_addc_co_u32_e32 v19, vcc, v15, v19, vcc
	global_store_dword v[18:19], v26, off
	s_or_b64 exec, exec, s[2:3]
	v_cmp_gt_u64_e32 vcc, s[6:7], v[20:21]
	s_and_saveexec_b64 s[2:3], vcc
	s_cbranch_execz .LBB83_19
.LBB83_23:                              ;   in Loop: Header=BB83_9 Depth=1
	s_waitcnt vmcnt(0)
	v_div_scale_f32 v18, s[28:29], v25, v25, s26
	v_rcp_f32_e32 v19, v18
	v_div_scale_f32 v20, vcc, s26, v25, s26
	v_fma_f32 v21, -v18, v19, 1.0
	v_fmac_f32_e32 v19, v21, v19
	v_mul_f32_e32 v21, v20, v19
	v_fma_f32 v26, -v18, v21, v20
	v_fmac_f32_e32 v21, v26, v19
	v_fma_f32 v18, -v18, v21, v20
	v_div_fmas_f32 v18, v18, v19, v21
	v_div_fixup_f32 v18, v18, v25, s26
	v_add_f32_e32 v19, v28, v18
	v_fmac_f32_e32 v28, s10, v18
	v_cndmask_b32_e64 v20, v28, v19, s[0:1]
	v_mov_b32_e32 v19, s13
	v_add_co_u32_e32 v18, vcc, s12, v10
	v_addc_co_u32_e32 v19, vcc, v11, v19, vcc
	global_store_dword v[18:19], v20, off
	s_or_b64 exec, exec, s[2:3]
	v_cmp_gt_u64_e32 vcc, s[6:7], v[22:23]
	s_and_saveexec_b64 s[2:3], vcc
	s_cbranch_execz .LBB83_8
.LBB83_24:                              ;   in Loop: Header=BB83_9 Depth=1
	s_waitcnt vmcnt(0)
	v_div_scale_f32 v18, s[28:29], v32, v32, s26
	v_rcp_f32_e32 v19, v18
	v_div_scale_f32 v20, vcc, s26, v32, s26
	v_fma_f32 v21, -v18, v19, 1.0
	v_fmac_f32_e32 v19, v21, v19
	v_mul_f32_e32 v21, v20, v19
	v_fma_f32 v22, -v18, v21, v20
	v_fmac_f32_e32 v21, v22, v19
	v_fma_f32 v18, -v18, v21, v20
	v_div_fmas_f32 v18, v18, v19, v21
	v_div_fixup_f32 v18, v18, v32, s26
	v_add_f32_e32 v19, v29, v18
	v_fmac_f32_e32 v29, s10, v18
	v_cndmask_b32_e64 v20, v29, v19, s[0:1]
	v_mov_b32_e32 v19, s13
	v_add_co_u32_e32 v18, vcc, s12, v6
	v_addc_co_u32_e32 v19, vcc, v7, v19, vcc
	global_store_dword v[18:19], v20, off
	s_branch .LBB83_8
.LBB83_25:
	s_endpgm
	.section	.rodata,"a",@progbits
	.p2align	6, 0x0
	.amdhsa_kernel _ZN2at6native12_GLOBAL__N_125multi_tensor_apply_kernelINS1_18TensorListMetadataILi3EEENS1_32PointwiseOpScalar0dTensorFunctorIfLi3ELi2ELi0EEEJSt7dividesIfEfEEEvT_T0_DpT1_
		.amdhsa_group_segment_fixed_size 0
		.amdhsa_private_segment_fixed_size 0
		.amdhsa_kernarg_size 3408
		.amdhsa_user_sgpr_count 6
		.amdhsa_user_sgpr_private_segment_buffer 1
		.amdhsa_user_sgpr_dispatch_ptr 0
		.amdhsa_user_sgpr_queue_ptr 0
		.amdhsa_user_sgpr_kernarg_segment_ptr 1
		.amdhsa_user_sgpr_dispatch_id 0
		.amdhsa_user_sgpr_flat_scratch_init 0
		.amdhsa_user_sgpr_kernarg_preload_length 0
		.amdhsa_user_sgpr_kernarg_preload_offset 0
		.amdhsa_user_sgpr_private_segment_size 0
		.amdhsa_uses_dynamic_stack 0
		.amdhsa_system_sgpr_private_segment_wavefront_offset 0
		.amdhsa_system_sgpr_workgroup_id_x 1
		.amdhsa_system_sgpr_workgroup_id_y 0
		.amdhsa_system_sgpr_workgroup_id_z 0
		.amdhsa_system_sgpr_workgroup_info 0
		.amdhsa_system_vgpr_workitem_id 0
		.amdhsa_next_free_vgpr 39
		.amdhsa_next_free_sgpr 30
		.amdhsa_accum_offset 40
		.amdhsa_reserve_vcc 1
		.amdhsa_reserve_flat_scratch 0
		.amdhsa_float_round_mode_32 0
		.amdhsa_float_round_mode_16_64 0
		.amdhsa_float_denorm_mode_32 3
		.amdhsa_float_denorm_mode_16_64 3
		.amdhsa_dx10_clamp 1
		.amdhsa_ieee_mode 1
		.amdhsa_fp16_overflow 0
		.amdhsa_tg_split 0
		.amdhsa_exception_fp_ieee_invalid_op 0
		.amdhsa_exception_fp_denorm_src 0
		.amdhsa_exception_fp_ieee_div_zero 0
		.amdhsa_exception_fp_ieee_overflow 0
		.amdhsa_exception_fp_ieee_underflow 0
		.amdhsa_exception_fp_ieee_inexact 0
		.amdhsa_exception_int_div_zero 0
	.end_amdhsa_kernel
	.section	.text._ZN2at6native12_GLOBAL__N_125multi_tensor_apply_kernelINS1_18TensorListMetadataILi3EEENS1_32PointwiseOpScalar0dTensorFunctorIfLi3ELi2ELi0EEEJSt7dividesIfEfEEEvT_T0_DpT1_,"axG",@progbits,_ZN2at6native12_GLOBAL__N_125multi_tensor_apply_kernelINS1_18TensorListMetadataILi3EEENS1_32PointwiseOpScalar0dTensorFunctorIfLi3ELi2ELi0EEEJSt7dividesIfEfEEEvT_T0_DpT1_,comdat
.Lfunc_end83:
	.size	_ZN2at6native12_GLOBAL__N_125multi_tensor_apply_kernelINS1_18TensorListMetadataILi3EEENS1_32PointwiseOpScalar0dTensorFunctorIfLi3ELi2ELi0EEEJSt7dividesIfEfEEEvT_T0_DpT1_, .Lfunc_end83-_ZN2at6native12_GLOBAL__N_125multi_tensor_apply_kernelINS1_18TensorListMetadataILi3EEENS1_32PointwiseOpScalar0dTensorFunctorIfLi3ELi2ELi0EEEJSt7dividesIfEfEEEvT_T0_DpT1_
                                        ; -- End function
	.section	.AMDGPU.csdata,"",@progbits
; Kernel info:
; codeLenInByte = 2104
; NumSgprs: 34
; NumVgprs: 39
; NumAgprs: 0
; TotalNumVgprs: 39
; ScratchSize: 0
; MemoryBound: 0
; FloatMode: 240
; IeeeMode: 1
; LDSByteSize: 0 bytes/workgroup (compile time only)
; SGPRBlocks: 4
; VGPRBlocks: 4
; NumSGPRsForWavesPerEU: 34
; NumVGPRsForWavesPerEU: 39
; AccumOffset: 40
; Occupancy: 8
; WaveLimiterHint : 0
; COMPUTE_PGM_RSRC2:SCRATCH_EN: 0
; COMPUTE_PGM_RSRC2:USER_SGPR: 6
; COMPUTE_PGM_RSRC2:TRAP_HANDLER: 0
; COMPUTE_PGM_RSRC2:TGID_X_EN: 1
; COMPUTE_PGM_RSRC2:TGID_Y_EN: 0
; COMPUTE_PGM_RSRC2:TGID_Z_EN: 0
; COMPUTE_PGM_RSRC2:TIDIG_COMP_CNT: 0
; COMPUTE_PGM_RSRC3_GFX90A:ACCUM_OFFSET: 9
; COMPUTE_PGM_RSRC3_GFX90A:TG_SPLIT: 0
	.section	.text._ZN2at6native12_GLOBAL__N_125multi_tensor_apply_kernelINS1_18TensorListMetadataILi3EEENS1_32PointwiseOpScalar0dTensorFunctorIN3c107complexIdEELi3ELi2ELi0EEEJSt7dividesIS8_ES8_EEEvT_T0_DpT1_,"axG",@progbits,_ZN2at6native12_GLOBAL__N_125multi_tensor_apply_kernelINS1_18TensorListMetadataILi3EEENS1_32PointwiseOpScalar0dTensorFunctorIN3c107complexIdEELi3ELi2ELi0EEEJSt7dividesIS8_ES8_EEEvT_T0_DpT1_,comdat
	.globl	_ZN2at6native12_GLOBAL__N_125multi_tensor_apply_kernelINS1_18TensorListMetadataILi3EEENS1_32PointwiseOpScalar0dTensorFunctorIN3c107complexIdEELi3ELi2ELi0EEEJSt7dividesIS8_ES8_EEEvT_T0_DpT1_ ; -- Begin function _ZN2at6native12_GLOBAL__N_125multi_tensor_apply_kernelINS1_18TensorListMetadataILi3EEENS1_32PointwiseOpScalar0dTensorFunctorIN3c107complexIdEELi3ELi2ELi0EEEJSt7dividesIS8_ES8_EEEvT_T0_DpT1_
	.p2align	8
	.type	_ZN2at6native12_GLOBAL__N_125multi_tensor_apply_kernelINS1_18TensorListMetadataILi3EEENS1_32PointwiseOpScalar0dTensorFunctorIN3c107complexIdEELi3ELi2ELi0EEEJSt7dividesIS8_ES8_EEEvT_T0_DpT1_,@function
_ZN2at6native12_GLOBAL__N_125multi_tensor_apply_kernelINS1_18TensorListMetadataILi3EEENS1_32PointwiseOpScalar0dTensorFunctorIN3c107complexIdEELi3ELi2ELi0EEEJSt7dividesIS8_ES8_EEEvT_T0_DpT1_: ; @_ZN2at6native12_GLOBAL__N_125multi_tensor_apply_kernelINS1_18TensorListMetadataILi3EEENS1_32PointwiseOpScalar0dTensorFunctorIN3c107complexIdEELi3ELi2ELi0EEEJSt7dividesIS8_ES8_EEEvT_T0_DpT1_
; %bb.0:
	v_mov_b32_e32 v1, s6
	global_load_ubyte v1, v1, s[4:5] offset:1536
	s_add_u32 s0, s4, s6
	s_mul_hi_u32 s1, s6, 3
	s_mul_i32 s6, s6, 3
	s_addc_u32 s2, s5, 0
	s_add_u32 s0, s0, s6
	s_addc_u32 s1, s2, s1
	s_load_dword s2, s[0:1], 0x740
	s_load_dwordx4 s[8:11], s[4:5], 0xc50
	s_mov_b32 s21, 0
	s_mov_b32 s1, s21
	s_waitcnt lgkmcnt(0)
	s_ashr_i32 s3, s2, 31
	s_lshl_b64 s[16:17], s[2:3], 20
	s_waitcnt vmcnt(0)
	v_lshlrev_b32_e32 v1, 3, v1
	v_readfirstlane_b32 s0, v1
	s_load_dwordx2 s[28:29], s[4:5], s0 offset:0x0
	s_load_dwordx2 s[6:7], s[4:5], s0 offset:0x180
	s_load_dwordx2 s[22:23], s[4:5], s0 offset:0x480
	s_load_dwordx2 s[26:27], s[4:5], s0 offset:0x300
	s_waitcnt lgkmcnt(0)
	s_add_u32 s33, s28, s16
	s_addc_u32 s38, s29, s17
	s_add_u32 s0, s6, s16
	s_add_u32 s39, s26, s16
	s_addc_u32 s40, s27, s17
	s_or_b32 s0, s39, s0
	s_lshl_b64 s[2:3], s[2:3], 16
	s_and_b32 s20, s33, 63
	s_and_b32 s0, s0, 63
	s_cmp_lg_u32 s0, 0
	s_load_dwordx4 s[12:15], s[6:7], 0x0
	s_cselect_b64 s[6:7], -1, 0
	s_sub_u32 s18, s22, s2
	s_subb_u32 s19, s23, s3
	s_and_b32 s0, s22, 3
	s_or_b64 s[0:1], s[20:21], s[0:1]
	s_cmp_lg_u64 s[0:1], 0
	s_cselect_b64 s[0:1], -1, 0
	s_or_b64 s[0:1], s[6:7], s[0:1]
	s_andn2_b64 vcc, exec, s[0:1]
	s_mov_b64 s[0:1], -1
	s_cbranch_vccz .LBB84_85
; %bb.1:
	v_mov_b32_e32 v35, 0
	v_lshlrev_b32_e32 v34, 2, v0
	v_cmp_gt_i64_e32 vcc, s[18:19], v[34:35]
	s_and_saveexec_b64 s[22:23], vcc
	s_cbranch_execz .LBB84_84
; %bb.2:
	s_load_dword s6, s[4:5], 0xc6c
	v_cmp_neq_f64_e64 s[0:1], s[8:9], 1.0
	v_cmp_neq_f64_e64 s[2:3], s[10:11], 0
	s_or_b64 s[30:31], s[0:1], s[2:3]
	s_mov_b64 s[24:25], 0
	s_waitcnt lgkmcnt(0)
	s_and_b32 s0, s6, 0xffff
	v_add_lshl_u32 v34, v0, s0, 2
	s_lshl_b32 s20, s0, 2
	v_lshlrev_b32_e32 v36, 6, v0
	s_lshl_b32 s41, s0, 6
	s_mov_b64 s[34:35], 0xffff
	s_branch .LBB84_5
.LBB84_3:                               ;   in Loop: Header=BB84_5 Depth=1
	s_or_b64 exec, exec, s[0:1]
.LBB84_4:                               ;   in Loop: Header=BB84_5 Depth=1
	v_cmp_le_i64_e32 vcc, s[18:19], v[34:35]
	v_cmp_lt_u64_e64 s[0:1], s[34:35], v[34:35]
	s_or_b64 s[0:1], vcc, s[0:1]
	s_add_u32 s33, s33, s41
	s_addc_u32 s38, s38, 0
	s_add_u32 s39, s39, s41
	s_addc_u32 s40, s40, 0
	v_mov_b32_e32 v1, s21
	s_and_b64 s[0:1], exec, s[0:1]
	v_add_co_u32_e32 v34, vcc, s20, v34
	v_add_f64 v[8:9], v[8:9], v[42:43]
	v_add_f64 v[6:7], v[6:7], v[40:41]
	s_or_b64 s[24:25], s[0:1], s[24:25]
	v_addc_co_u32_e32 v35, vcc, v35, v1, vcc
	v_add_f64 v[16:17], v[16:17], v[28:29]
	v_add_f64 v[14:15], v[14:15], v[26:27]
	;; [unrolled: 1-line block ×6, first 2 shown]
	global_store_dwordx4 v[38:39], v[6:9], off
	global_store_dwordx4 v[38:39], v[10:13], off offset:16
	global_store_dwordx4 v[38:39], v[14:17], off offset:32
	;; [unrolled: 1-line block ×3, first 2 shown]
	s_andn2_b64 exec, exec, s[24:25]
	s_cbranch_execz .LBB84_84
.LBB84_5:                               ; =>This Inner Loop Header: Depth=1
	v_mov_b32_e32 v1, s40
	v_add_co_u32_e32 v40, vcc, s39, v36
	v_addc_co_u32_e32 v41, vcc, 0, v1, vcc
	v_mov_b32_e32 v1, s38
	v_add_co_u32_e32 v38, vcc, s33, v36
	v_addc_co_u32_e32 v39, vcc, 0, v1, vcc
	global_load_dwordx4 v[26:29], v[40:41], off offset:16
	global_load_dwordx4 v[30:33], v[40:41], off
	global_load_dwordx4 v[2:5], v[38:39], off offset:48
	global_load_dwordx4 v[14:17], v[38:39], off offset:32
	;; [unrolled: 1-line block ×3, first 2 shown]
	global_load_dwordx4 v[6:9], v[38:39], off
	global_load_dwordx4 v[18:21], v[40:41], off offset:48
	global_load_dwordx4 v[22:25], v[40:41], off offset:32
	s_and_b64 vcc, exec, s[30:31]
	s_waitcnt vmcnt(6)
	v_xor_b32_e32 v1, 0x80000000, v31
	v_cmp_gt_f64_e64 s[0:1], 0, v[30:31]
	v_xor_b32_e32 v37, 0x80000000, v33
	v_cndmask_b32_e64 v47, v31, v1, s[0:1]
	v_cmp_gt_f64_e64 s[0:1], 0, v[32:33]
	v_mov_b32_e32 v46, v30
	v_mov_b32_e32 v44, v32
	v_cndmask_b32_e64 v45, v33, v37, s[0:1]
	v_cmp_ge_f64_e64 s[0:1], v[46:47], v[44:45]
	s_cbranch_vccz .LBB84_15
; %bb.6:                                ;   in Loop: Header=BB84_5 Depth=1
                                        ; implicit-def: $vgpr42_vgpr43
                                        ; implicit-def: $vgpr48_vgpr49
	s_and_saveexec_b64 s[2:3], s[0:1]
	s_xor_b64 s[6:7], exec, s[2:3]
	s_cbranch_execz .LBB84_12
; %bb.7:                                ;   in Loop: Header=BB84_5 Depth=1
	v_cmp_neq_f64_e32 vcc, 0, v[30:31]
	v_cmp_neq_f64_e64 s[2:3], 0, v[32:33]
	s_or_b64 s[2:3], vcc, s[2:3]
                                        ; implicit-def: $vgpr42_vgpr43
                                        ; implicit-def: $vgpr48_vgpr49
	s_and_saveexec_b64 s[36:37], s[2:3]
	s_xor_b64 s[2:3], exec, s[36:37]
	s_cbranch_execz .LBB84_9
; %bb.8:                                ;   in Loop: Header=BB84_5 Depth=1
	v_div_scale_f64 v[40:41], s[36:37], v[30:31], v[30:31], v[32:33]
	v_rcp_f64_e32 v[42:43], v[40:41]
	v_div_scale_f64 v[48:49], vcc, v[32:33], v[30:31], v[32:33]
	v_fma_f64 v[50:51], -v[40:41], v[42:43], 1.0
	v_fmac_f64_e32 v[42:43], v[42:43], v[50:51]
	v_fma_f64 v[50:51], -v[40:41], v[42:43], 1.0
	v_fmac_f64_e32 v[42:43], v[42:43], v[50:51]
	v_mul_f64 v[50:51], v[48:49], v[42:43]
	v_fma_f64 v[40:41], -v[40:41], v[50:51], v[48:49]
	v_div_fmas_f64 v[40:41], v[40:41], v[42:43], v[50:51]
	v_div_fixup_f64 v[40:41], v[40:41], v[30:31], v[32:33]
	v_fma_f64 v[42:43], v[32:33], v[40:41], v[30:31]
	v_div_scale_f64 v[48:49], s[36:37], v[42:43], v[42:43], 1.0
	v_rcp_f64_e32 v[50:51], v[48:49]
	v_fma_f64 v[52:53], -v[48:49], v[50:51], 1.0
	v_fmac_f64_e32 v[50:51], v[50:51], v[52:53]
	v_fma_f64 v[52:53], -v[48:49], v[50:51], 1.0
	v_fmac_f64_e32 v[50:51], v[50:51], v[52:53]
	v_div_scale_f64 v[52:53], vcc, 1.0, v[42:43], 1.0
	v_mul_f64 v[54:55], v[52:53], v[50:51]
	v_fma_f64 v[48:49], -v[48:49], v[54:55], v[52:53]
	s_nop 1
	v_div_fmas_f64 v[48:49], v[48:49], v[50:51], v[54:55]
	v_div_fixup_f64 v[42:43], v[48:49], v[42:43], 1.0
	v_pk_mov_b32 v[48:49], s[12:13], s[12:13] op_sel:[0,1]
	v_pk_mov_b32 v[50:51], s[14:15], s[14:15] op_sel:[0,1]
	v_fma_f64 v[48:49], s[14:15], v[40:41], v[48:49]
	v_fma_f64 v[40:41], -s[12:13], v[40:41], v[50:51]
	v_mul_f64 v[48:49], v[48:49], v[42:43]
	v_mul_f64 v[42:43], v[40:41], v[42:43]
.LBB84_9:                               ;   in Loop: Header=BB84_5 Depth=1
	s_andn2_saveexec_b64 s[2:3], s[2:3]
	s_cbranch_execz .LBB84_11
; %bb.10:                               ;   in Loop: Header=BB84_5 Depth=1
	v_div_scale_f64 v[40:41], s[36:37], v[46:47], v[46:47], s[12:13]
	v_rcp_f64_e32 v[42:43], v[40:41]
	v_div_scale_f64 v[52:53], s[36:37], v[44:45], v[44:45], s[14:15]
	v_div_scale_f64 v[48:49], vcc, s[12:13], v[46:47], s[12:13]
	v_fma_f64 v[50:51], -v[40:41], v[42:43], 1.0
	v_fmac_f64_e32 v[42:43], v[42:43], v[50:51]
	v_fma_f64 v[50:51], -v[40:41], v[42:43], 1.0
	v_fmac_f64_e32 v[42:43], v[42:43], v[50:51]
	v_rcp_f64_e32 v[54:55], v[52:53]
	v_mul_f64 v[50:51], v[48:49], v[42:43]
	v_fma_f64 v[40:41], -v[40:41], v[50:51], v[48:49]
	v_div_fmas_f64 v[40:41], v[40:41], v[42:43], v[50:51]
	v_div_fixup_f64 v[48:49], v[40:41], v[46:47], s[12:13]
	v_fma_f64 v[40:41], -v[52:53], v[54:55], 1.0
	v_fmac_f64_e32 v[54:55], v[54:55], v[40:41]
	v_fma_f64 v[40:41], -v[52:53], v[54:55], 1.0
	v_fmac_f64_e32 v[54:55], v[54:55], v[40:41]
	v_div_scale_f64 v[40:41], vcc, s[14:15], v[44:45], s[14:15]
	v_mul_f64 v[42:43], v[40:41], v[54:55]
	v_fma_f64 v[40:41], -v[52:53], v[42:43], v[40:41]
	s_nop 1
	v_div_fmas_f64 v[40:41], v[40:41], v[54:55], v[42:43]
	v_div_fixup_f64 v[42:43], v[40:41], v[44:45], s[14:15]
.LBB84_11:                              ;   in Loop: Header=BB84_5 Depth=1
	s_or_b64 exec, exec, s[2:3]
.LBB84_12:                              ;   in Loop: Header=BB84_5 Depth=1
	s_andn2_saveexec_b64 s[2:3], s[6:7]
	s_cbranch_execz .LBB84_14
; %bb.13:                               ;   in Loop: Header=BB84_5 Depth=1
	v_div_scale_f64 v[40:41], s[6:7], v[32:33], v[32:33], v[30:31]
	v_rcp_f64_e32 v[42:43], v[40:41]
	v_div_scale_f64 v[48:49], vcc, v[30:31], v[32:33], v[30:31]
	v_fma_f64 v[50:51], -v[40:41], v[42:43], 1.0
	v_fmac_f64_e32 v[42:43], v[42:43], v[50:51]
	v_fma_f64 v[50:51], -v[40:41], v[42:43], 1.0
	v_fmac_f64_e32 v[42:43], v[42:43], v[50:51]
	v_mul_f64 v[50:51], v[48:49], v[42:43]
	v_fma_f64 v[40:41], -v[40:41], v[50:51], v[48:49]
	v_div_fmas_f64 v[40:41], v[40:41], v[42:43], v[50:51]
	v_div_fixup_f64 v[40:41], v[40:41], v[32:33], v[30:31]
	v_fma_f64 v[42:43], v[30:31], v[40:41], v[32:33]
	v_div_scale_f64 v[48:49], s[6:7], v[42:43], v[42:43], 1.0
	v_rcp_f64_e32 v[50:51], v[48:49]
	v_fma_f64 v[52:53], -v[48:49], v[50:51], 1.0
	v_fmac_f64_e32 v[50:51], v[50:51], v[52:53]
	v_fma_f64 v[52:53], -v[48:49], v[50:51], 1.0
	v_fmac_f64_e32 v[50:51], v[50:51], v[52:53]
	v_div_scale_f64 v[52:53], vcc, 1.0, v[42:43], 1.0
	v_mul_f64 v[54:55], v[52:53], v[50:51]
	v_fma_f64 v[48:49], -v[48:49], v[54:55], v[52:53]
	s_nop 1
	v_div_fmas_f64 v[48:49], v[48:49], v[50:51], v[54:55]
	v_div_fixup_f64 v[42:43], v[48:49], v[42:43], 1.0
	v_pk_mov_b32 v[48:49], s[14:15], s[14:15] op_sel:[0,1]
	v_pk_mov_b32 v[50:51], s[12:13], s[12:13] op_sel:[0,1]
	v_fma_f64 v[48:49], s[12:13], v[40:41], v[48:49]
	v_fma_f64 v[40:41], s[14:15], v[40:41], -v[50:51]
	v_mul_f64 v[48:49], v[48:49], v[42:43]
	v_mul_f64 v[42:43], v[40:41], v[42:43]
.LBB84_14:                              ;   in Loop: Header=BB84_5 Depth=1
	s_or_b64 exec, exec, s[2:3]
	v_mul_f64 v[40:41], s[10:11], v[42:43]
	v_mul_f64 v[42:43], s[8:9], v[42:43]
	v_fma_f64 v[40:41], s[8:9], v[48:49], -v[40:41]
	v_fmac_f64_e32 v[42:43], s[10:11], v[48:49]
	s_branch .LBB84_25
.LBB84_15:                              ;   in Loop: Header=BB84_5 Depth=1
                                        ; implicit-def: $vgpr42_vgpr43
                                        ; implicit-def: $vgpr40_vgpr41
	s_cbranch_execz .LBB84_25
; %bb.16:                               ;   in Loop: Header=BB84_5 Depth=1
                                        ; implicit-def: $vgpr42_vgpr43
                                        ; implicit-def: $vgpr40_vgpr41
	s_and_saveexec_b64 s[2:3], s[0:1]
	s_xor_b64 s[2:3], exec, s[2:3]
	s_cbranch_execz .LBB84_22
; %bb.17:                               ;   in Loop: Header=BB84_5 Depth=1
	v_cmp_neq_f64_e32 vcc, 0, v[30:31]
	v_cmp_neq_f64_e64 s[0:1], 0, v[32:33]
	s_or_b64 s[0:1], vcc, s[0:1]
                                        ; implicit-def: $vgpr42_vgpr43
                                        ; implicit-def: $vgpr40_vgpr41
	s_and_saveexec_b64 s[6:7], s[0:1]
	s_xor_b64 s[0:1], exec, s[6:7]
	s_cbranch_execz .LBB84_19
; %bb.18:                               ;   in Loop: Header=BB84_5 Depth=1
	v_div_scale_f64 v[40:41], s[6:7], v[30:31], v[30:31], v[32:33]
	v_rcp_f64_e32 v[42:43], v[40:41]
	v_div_scale_f64 v[44:45], vcc, v[32:33], v[30:31], v[32:33]
	v_fma_f64 v[46:47], -v[40:41], v[42:43], 1.0
	v_fmac_f64_e32 v[42:43], v[42:43], v[46:47]
	v_fma_f64 v[46:47], -v[40:41], v[42:43], 1.0
	v_fmac_f64_e32 v[42:43], v[42:43], v[46:47]
	v_mul_f64 v[46:47], v[44:45], v[42:43]
	v_fma_f64 v[40:41], -v[40:41], v[46:47], v[44:45]
	v_div_fmas_f64 v[40:41], v[40:41], v[42:43], v[46:47]
	v_div_fixup_f64 v[42:43], v[40:41], v[30:31], v[32:33]
	v_fmac_f64_e32 v[30:31], v[32:33], v[42:43]
	v_div_scale_f64 v[32:33], s[6:7], v[30:31], v[30:31], 1.0
	v_rcp_f64_e32 v[40:41], v[32:33]
	v_fma_f64 v[44:45], -v[32:33], v[40:41], 1.0
	v_fmac_f64_e32 v[40:41], v[40:41], v[44:45]
	v_fma_f64 v[44:45], -v[32:33], v[40:41], 1.0
	v_fmac_f64_e32 v[40:41], v[40:41], v[44:45]
	v_div_scale_f64 v[44:45], vcc, 1.0, v[30:31], 1.0
	v_mul_f64 v[46:47], v[44:45], v[40:41]
	v_fma_f64 v[32:33], -v[32:33], v[46:47], v[44:45]
                                        ; implicit-def: $vgpr44_vgpr45
	s_nop 1
	v_div_fmas_f64 v[32:33], v[32:33], v[40:41], v[46:47]
	v_div_fixup_f64 v[30:31], v[32:33], v[30:31], 1.0
	v_pk_mov_b32 v[32:33], s[12:13], s[12:13] op_sel:[0,1]
	v_fma_f64 v[32:33], s[14:15], v[42:43], v[32:33]
	v_mul_f64 v[40:41], v[32:33], v[30:31]
	v_pk_mov_b32 v[32:33], s[14:15], s[14:15] op_sel:[0,1]
	v_fma_f64 v[32:33], -s[12:13], v[42:43], v[32:33]
	v_mul_f64 v[42:43], v[32:33], v[30:31]
                                        ; implicit-def: $vgpr46_vgpr47
.LBB84_19:                              ;   in Loop: Header=BB84_5 Depth=1
	s_andn2_saveexec_b64 s[0:1], s[0:1]
	s_cbranch_execz .LBB84_21
; %bb.20:                               ;   in Loop: Header=BB84_5 Depth=1
	v_div_scale_f64 v[30:31], s[6:7], v[46:47], v[46:47], s[12:13]
	v_rcp_f64_e32 v[32:33], v[30:31]
	v_div_scale_f64 v[48:49], s[6:7], v[44:45], v[44:45], s[14:15]
	v_div_scale_f64 v[40:41], vcc, s[12:13], v[46:47], s[12:13]
	v_fma_f64 v[42:43], -v[30:31], v[32:33], 1.0
	v_fmac_f64_e32 v[32:33], v[32:33], v[42:43]
	v_fma_f64 v[42:43], -v[30:31], v[32:33], 1.0
	v_fmac_f64_e32 v[32:33], v[32:33], v[42:43]
	v_rcp_f64_e32 v[50:51], v[48:49]
	v_mul_f64 v[42:43], v[40:41], v[32:33]
	v_fma_f64 v[30:31], -v[30:31], v[42:43], v[40:41]
	v_div_fmas_f64 v[30:31], v[30:31], v[32:33], v[42:43]
	v_div_fixup_f64 v[40:41], v[30:31], v[46:47], s[12:13]
	v_fma_f64 v[30:31], -v[48:49], v[50:51], 1.0
	v_fmac_f64_e32 v[50:51], v[50:51], v[30:31]
	v_fma_f64 v[30:31], -v[48:49], v[50:51], 1.0
	v_fmac_f64_e32 v[50:51], v[50:51], v[30:31]
	v_div_scale_f64 v[30:31], vcc, s[14:15], v[44:45], s[14:15]
	v_mul_f64 v[32:33], v[30:31], v[50:51]
	v_fma_f64 v[30:31], -v[48:49], v[32:33], v[30:31]
	s_nop 1
	v_div_fmas_f64 v[30:31], v[30:31], v[50:51], v[32:33]
	v_div_fixup_f64 v[42:43], v[30:31], v[44:45], s[14:15]
.LBB84_21:                              ;   in Loop: Header=BB84_5 Depth=1
	s_or_b64 exec, exec, s[0:1]
                                        ; implicit-def: $vgpr32_vgpr33
.LBB84_22:                              ;   in Loop: Header=BB84_5 Depth=1
	s_andn2_saveexec_b64 s[0:1], s[2:3]
	s_cbranch_execz .LBB84_24
; %bb.23:                               ;   in Loop: Header=BB84_5 Depth=1
	v_div_scale_f64 v[40:41], s[2:3], v[32:33], v[32:33], v[30:31]
	v_rcp_f64_e32 v[42:43], v[40:41]
	v_div_scale_f64 v[44:45], vcc, v[30:31], v[32:33], v[30:31]
	v_fma_f64 v[46:47], -v[40:41], v[42:43], 1.0
	v_fmac_f64_e32 v[42:43], v[42:43], v[46:47]
	v_fma_f64 v[46:47], -v[40:41], v[42:43], 1.0
	v_fmac_f64_e32 v[42:43], v[42:43], v[46:47]
	v_mul_f64 v[46:47], v[44:45], v[42:43]
	v_fma_f64 v[40:41], -v[40:41], v[46:47], v[44:45]
	v_div_fmas_f64 v[40:41], v[40:41], v[42:43], v[46:47]
	v_div_fixup_f64 v[42:43], v[40:41], v[32:33], v[30:31]
	v_fmac_f64_e32 v[32:33], v[30:31], v[42:43]
	v_div_scale_f64 v[30:31], s[2:3], v[32:33], v[32:33], 1.0
	v_rcp_f64_e32 v[40:41], v[30:31]
	v_fma_f64 v[44:45], -v[30:31], v[40:41], 1.0
	v_fmac_f64_e32 v[40:41], v[40:41], v[44:45]
	v_fma_f64 v[44:45], -v[30:31], v[40:41], 1.0
	v_fmac_f64_e32 v[40:41], v[40:41], v[44:45]
	v_div_scale_f64 v[44:45], vcc, 1.0, v[32:33], 1.0
	v_mul_f64 v[46:47], v[44:45], v[40:41]
	v_fma_f64 v[30:31], -v[30:31], v[46:47], v[44:45]
	s_nop 1
	v_div_fmas_f64 v[30:31], v[30:31], v[40:41], v[46:47]
	v_div_fixup_f64 v[30:31], v[30:31], v[32:33], 1.0
	v_pk_mov_b32 v[32:33], s[14:15], s[14:15] op_sel:[0,1]
	v_fma_f64 v[32:33], s[12:13], v[42:43], v[32:33]
	v_mul_f64 v[40:41], v[32:33], v[30:31]
	v_pk_mov_b32 v[32:33], s[12:13], s[12:13] op_sel:[0,1]
	v_fma_f64 v[32:33], s[14:15], v[42:43], -v[32:33]
	v_mul_f64 v[42:43], v[32:33], v[30:31]
.LBB84_24:                              ;   in Loop: Header=BB84_5 Depth=1
	s_or_b64 exec, exec, s[0:1]
.LBB84_25:                              ;   in Loop: Header=BB84_5 Depth=1
	v_xor_b32_e32 v1, 0x80000000, v27
	v_cmp_gt_f64_e32 vcc, 0, v[26:27]
	v_cndmask_b32_e32 v47, v27, v1, vcc
	v_xor_b32_e32 v1, 0x80000000, v29
	v_cmp_gt_f64_e32 vcc, 0, v[28:29]
	v_mov_b32_e32 v46, v26
	v_cndmask_b32_e32 v45, v29, v1, vcc
	v_mov_b32_e32 v44, v28
	v_cndmask_b32_e64 v1, 0, 1, s[30:31]
	v_cmp_ne_u32_e64 s[0:1], 1, v1
	s_andn2_b64 vcc, exec, s[30:31]
	v_cmp_ge_f64_e64 s[2:3], v[46:47], v[44:45]
	s_cbranch_vccnz .LBB84_35
; %bb.26:                               ;   in Loop: Header=BB84_5 Depth=1
                                        ; implicit-def: $vgpr32_vgpr33
                                        ; implicit-def: $vgpr48_vgpr49
	s_and_saveexec_b64 s[6:7], s[2:3]
	s_xor_b64 s[36:37], exec, s[6:7]
	s_cbranch_execz .LBB84_32
; %bb.27:                               ;   in Loop: Header=BB84_5 Depth=1
	v_cmp_neq_f64_e32 vcc, 0, v[26:27]
	v_cmp_neq_f64_e64 s[6:7], 0, v[28:29]
	s_or_b64 s[6:7], vcc, s[6:7]
                                        ; implicit-def: $vgpr32_vgpr33
                                        ; implicit-def: $vgpr48_vgpr49
	s_and_saveexec_b64 s[42:43], s[6:7]
	s_xor_b64 s[6:7], exec, s[42:43]
	s_cbranch_execz .LBB84_29
; %bb.28:                               ;   in Loop: Header=BB84_5 Depth=1
	v_div_scale_f64 v[30:31], s[42:43], v[26:27], v[26:27], v[28:29]
	v_rcp_f64_e32 v[32:33], v[30:31]
	v_div_scale_f64 v[48:49], vcc, v[28:29], v[26:27], v[28:29]
	v_fma_f64 v[50:51], -v[30:31], v[32:33], 1.0
	v_fmac_f64_e32 v[32:33], v[32:33], v[50:51]
	v_fma_f64 v[50:51], -v[30:31], v[32:33], 1.0
	v_fmac_f64_e32 v[32:33], v[32:33], v[50:51]
	v_mul_f64 v[50:51], v[48:49], v[32:33]
	v_fma_f64 v[30:31], -v[30:31], v[50:51], v[48:49]
	v_div_fmas_f64 v[30:31], v[30:31], v[32:33], v[50:51]
	v_div_fixup_f64 v[30:31], v[30:31], v[26:27], v[28:29]
	v_fma_f64 v[32:33], v[28:29], v[30:31], v[26:27]
	v_div_scale_f64 v[48:49], s[42:43], v[32:33], v[32:33], 1.0
	v_rcp_f64_e32 v[50:51], v[48:49]
	v_fma_f64 v[52:53], -v[48:49], v[50:51], 1.0
	v_fmac_f64_e32 v[50:51], v[50:51], v[52:53]
	v_fma_f64 v[52:53], -v[48:49], v[50:51], 1.0
	v_fmac_f64_e32 v[50:51], v[50:51], v[52:53]
	v_div_scale_f64 v[52:53], vcc, 1.0, v[32:33], 1.0
	v_mul_f64 v[54:55], v[52:53], v[50:51]
	v_fma_f64 v[48:49], -v[48:49], v[54:55], v[52:53]
	s_nop 1
	v_div_fmas_f64 v[48:49], v[48:49], v[50:51], v[54:55]
	v_div_fixup_f64 v[32:33], v[48:49], v[32:33], 1.0
	v_pk_mov_b32 v[48:49], s[12:13], s[12:13] op_sel:[0,1]
	v_pk_mov_b32 v[50:51], s[14:15], s[14:15] op_sel:[0,1]
	v_fma_f64 v[48:49], s[14:15], v[30:31], v[48:49]
	v_fma_f64 v[30:31], -s[12:13], v[30:31], v[50:51]
	v_mul_f64 v[48:49], v[48:49], v[32:33]
	v_mul_f64 v[32:33], v[30:31], v[32:33]
.LBB84_29:                              ;   in Loop: Header=BB84_5 Depth=1
	s_andn2_saveexec_b64 s[6:7], s[6:7]
	s_cbranch_execz .LBB84_31
; %bb.30:                               ;   in Loop: Header=BB84_5 Depth=1
	v_div_scale_f64 v[30:31], s[42:43], v[46:47], v[46:47], s[12:13]
	v_rcp_f64_e32 v[32:33], v[30:31]
	v_div_scale_f64 v[52:53], s[42:43], v[44:45], v[44:45], s[14:15]
	v_div_scale_f64 v[48:49], vcc, s[12:13], v[46:47], s[12:13]
	v_fma_f64 v[50:51], -v[30:31], v[32:33], 1.0
	v_fmac_f64_e32 v[32:33], v[32:33], v[50:51]
	v_fma_f64 v[50:51], -v[30:31], v[32:33], 1.0
	v_fmac_f64_e32 v[32:33], v[32:33], v[50:51]
	v_rcp_f64_e32 v[54:55], v[52:53]
	v_mul_f64 v[50:51], v[48:49], v[32:33]
	v_fma_f64 v[30:31], -v[30:31], v[50:51], v[48:49]
	v_div_fmas_f64 v[30:31], v[30:31], v[32:33], v[50:51]
	v_div_fixup_f64 v[48:49], v[30:31], v[46:47], s[12:13]
	v_fma_f64 v[30:31], -v[52:53], v[54:55], 1.0
	v_fmac_f64_e32 v[54:55], v[54:55], v[30:31]
	v_fma_f64 v[30:31], -v[52:53], v[54:55], 1.0
	v_fmac_f64_e32 v[54:55], v[54:55], v[30:31]
	v_div_scale_f64 v[30:31], vcc, s[14:15], v[44:45], s[14:15]
	v_mul_f64 v[32:33], v[30:31], v[54:55]
	v_fma_f64 v[30:31], -v[52:53], v[32:33], v[30:31]
	s_nop 1
	v_div_fmas_f64 v[30:31], v[30:31], v[54:55], v[32:33]
	v_div_fixup_f64 v[32:33], v[30:31], v[44:45], s[14:15]
.LBB84_31:                              ;   in Loop: Header=BB84_5 Depth=1
	s_or_b64 exec, exec, s[6:7]
.LBB84_32:                              ;   in Loop: Header=BB84_5 Depth=1
	s_andn2_saveexec_b64 s[6:7], s[36:37]
	s_cbranch_execz .LBB84_34
; %bb.33:                               ;   in Loop: Header=BB84_5 Depth=1
	v_div_scale_f64 v[30:31], s[36:37], v[28:29], v[28:29], v[26:27]
	v_rcp_f64_e32 v[32:33], v[30:31]
	v_div_scale_f64 v[48:49], vcc, v[26:27], v[28:29], v[26:27]
	v_fma_f64 v[50:51], -v[30:31], v[32:33], 1.0
	v_fmac_f64_e32 v[32:33], v[32:33], v[50:51]
	v_fma_f64 v[50:51], -v[30:31], v[32:33], 1.0
	v_fmac_f64_e32 v[32:33], v[32:33], v[50:51]
	v_mul_f64 v[50:51], v[48:49], v[32:33]
	v_fma_f64 v[30:31], -v[30:31], v[50:51], v[48:49]
	v_div_fmas_f64 v[30:31], v[30:31], v[32:33], v[50:51]
	v_div_fixup_f64 v[30:31], v[30:31], v[28:29], v[26:27]
	v_fma_f64 v[32:33], v[26:27], v[30:31], v[28:29]
	v_div_scale_f64 v[48:49], s[36:37], v[32:33], v[32:33], 1.0
	v_rcp_f64_e32 v[50:51], v[48:49]
	v_fma_f64 v[52:53], -v[48:49], v[50:51], 1.0
	v_fmac_f64_e32 v[50:51], v[50:51], v[52:53]
	v_fma_f64 v[52:53], -v[48:49], v[50:51], 1.0
	v_fmac_f64_e32 v[50:51], v[50:51], v[52:53]
	v_div_scale_f64 v[52:53], vcc, 1.0, v[32:33], 1.0
	v_mul_f64 v[54:55], v[52:53], v[50:51]
	v_fma_f64 v[48:49], -v[48:49], v[54:55], v[52:53]
	s_nop 1
	v_div_fmas_f64 v[48:49], v[48:49], v[50:51], v[54:55]
	v_div_fixup_f64 v[32:33], v[48:49], v[32:33], 1.0
	v_pk_mov_b32 v[48:49], s[14:15], s[14:15] op_sel:[0,1]
	v_pk_mov_b32 v[50:51], s[12:13], s[12:13] op_sel:[0,1]
	v_fma_f64 v[48:49], s[12:13], v[30:31], v[48:49]
	v_fma_f64 v[30:31], s[14:15], v[30:31], -v[50:51]
	v_mul_f64 v[48:49], v[48:49], v[32:33]
	v_mul_f64 v[32:33], v[30:31], v[32:33]
.LBB84_34:                              ;   in Loop: Header=BB84_5 Depth=1
	s_or_b64 exec, exec, s[6:7]
	v_mul_f64 v[30:31], s[10:11], v[32:33]
	v_mul_f64 v[32:33], s[8:9], v[32:33]
	v_fma_f64 v[30:31], s[8:9], v[48:49], -v[30:31]
	v_fmac_f64_e32 v[32:33], s[10:11], v[48:49]
	s_branch .LBB84_45
.LBB84_35:                              ;   in Loop: Header=BB84_5 Depth=1
                                        ; implicit-def: $vgpr32_vgpr33
                                        ; implicit-def: $vgpr30_vgpr31
	s_cbranch_execz .LBB84_45
; %bb.36:                               ;   in Loop: Header=BB84_5 Depth=1
                                        ; implicit-def: $vgpr32_vgpr33
                                        ; implicit-def: $vgpr30_vgpr31
	s_and_saveexec_b64 s[6:7], s[2:3]
	s_xor_b64 s[6:7], exec, s[6:7]
	s_cbranch_execz .LBB84_42
; %bb.37:                               ;   in Loop: Header=BB84_5 Depth=1
	v_cmp_neq_f64_e32 vcc, 0, v[26:27]
	v_cmp_neq_f64_e64 s[2:3], 0, v[28:29]
	s_or_b64 s[2:3], vcc, s[2:3]
                                        ; implicit-def: $vgpr32_vgpr33
                                        ; implicit-def: $vgpr30_vgpr31
	s_and_saveexec_b64 s[36:37], s[2:3]
	s_xor_b64 s[2:3], exec, s[36:37]
	s_cbranch_execz .LBB84_39
; %bb.38:                               ;   in Loop: Header=BB84_5 Depth=1
	v_div_scale_f64 v[30:31], s[36:37], v[26:27], v[26:27], v[28:29]
	v_rcp_f64_e32 v[32:33], v[30:31]
	v_div_scale_f64 v[44:45], vcc, v[28:29], v[26:27], v[28:29]
	v_fma_f64 v[46:47], -v[30:31], v[32:33], 1.0
	v_fmac_f64_e32 v[32:33], v[32:33], v[46:47]
	v_fma_f64 v[46:47], -v[30:31], v[32:33], 1.0
	v_fmac_f64_e32 v[32:33], v[32:33], v[46:47]
	v_mul_f64 v[46:47], v[44:45], v[32:33]
	v_fma_f64 v[30:31], -v[30:31], v[46:47], v[44:45]
	v_div_fmas_f64 v[30:31], v[30:31], v[32:33], v[46:47]
	v_div_fixup_f64 v[32:33], v[30:31], v[26:27], v[28:29]
	v_fmac_f64_e32 v[26:27], v[28:29], v[32:33]
	v_div_scale_f64 v[28:29], s[36:37], v[26:27], v[26:27], 1.0
	v_rcp_f64_e32 v[30:31], v[28:29]
	v_fma_f64 v[44:45], -v[28:29], v[30:31], 1.0
	v_fmac_f64_e32 v[30:31], v[30:31], v[44:45]
	v_fma_f64 v[44:45], -v[28:29], v[30:31], 1.0
	v_fmac_f64_e32 v[30:31], v[30:31], v[44:45]
	v_div_scale_f64 v[44:45], vcc, 1.0, v[26:27], 1.0
	v_mul_f64 v[46:47], v[44:45], v[30:31]
	v_fma_f64 v[28:29], -v[28:29], v[46:47], v[44:45]
                                        ; implicit-def: $vgpr44_vgpr45
	s_nop 1
	v_div_fmas_f64 v[28:29], v[28:29], v[30:31], v[46:47]
	v_div_fixup_f64 v[26:27], v[28:29], v[26:27], 1.0
	v_pk_mov_b32 v[28:29], s[12:13], s[12:13] op_sel:[0,1]
	v_fma_f64 v[28:29], s[14:15], v[32:33], v[28:29]
	v_mul_f64 v[30:31], v[28:29], v[26:27]
	v_pk_mov_b32 v[28:29], s[14:15], s[14:15] op_sel:[0,1]
	v_fma_f64 v[28:29], -s[12:13], v[32:33], v[28:29]
	v_mul_f64 v[32:33], v[28:29], v[26:27]
                                        ; implicit-def: $vgpr46_vgpr47
.LBB84_39:                              ;   in Loop: Header=BB84_5 Depth=1
	s_andn2_saveexec_b64 s[2:3], s[2:3]
	s_cbranch_execz .LBB84_41
; %bb.40:                               ;   in Loop: Header=BB84_5 Depth=1
	v_div_scale_f64 v[26:27], s[36:37], v[46:47], v[46:47], s[12:13]
	v_rcp_f64_e32 v[28:29], v[26:27]
	v_div_scale_f64 v[48:49], s[36:37], v[44:45], v[44:45], s[14:15]
	v_div_scale_f64 v[30:31], vcc, s[12:13], v[46:47], s[12:13]
	v_fma_f64 v[32:33], -v[26:27], v[28:29], 1.0
	v_fmac_f64_e32 v[28:29], v[28:29], v[32:33]
	v_fma_f64 v[32:33], -v[26:27], v[28:29], 1.0
	v_fmac_f64_e32 v[28:29], v[28:29], v[32:33]
	v_rcp_f64_e32 v[50:51], v[48:49]
	v_mul_f64 v[32:33], v[30:31], v[28:29]
	v_fma_f64 v[26:27], -v[26:27], v[32:33], v[30:31]
	v_div_fmas_f64 v[26:27], v[26:27], v[28:29], v[32:33]
	v_div_fixup_f64 v[30:31], v[26:27], v[46:47], s[12:13]
	v_fma_f64 v[26:27], -v[48:49], v[50:51], 1.0
	v_fmac_f64_e32 v[50:51], v[50:51], v[26:27]
	v_fma_f64 v[26:27], -v[48:49], v[50:51], 1.0
	v_fmac_f64_e32 v[50:51], v[50:51], v[26:27]
	v_div_scale_f64 v[26:27], vcc, s[14:15], v[44:45], s[14:15]
	v_mul_f64 v[28:29], v[26:27], v[50:51]
	v_fma_f64 v[26:27], -v[48:49], v[28:29], v[26:27]
	s_nop 1
	v_div_fmas_f64 v[26:27], v[26:27], v[50:51], v[28:29]
	v_div_fixup_f64 v[32:33], v[26:27], v[44:45], s[14:15]
.LBB84_41:                              ;   in Loop: Header=BB84_5 Depth=1
	s_or_b64 exec, exec, s[2:3]
                                        ; implicit-def: $vgpr28_vgpr29
.LBB84_42:                              ;   in Loop: Header=BB84_5 Depth=1
	s_andn2_saveexec_b64 s[2:3], s[6:7]
	s_cbranch_execz .LBB84_44
; %bb.43:                               ;   in Loop: Header=BB84_5 Depth=1
	v_div_scale_f64 v[30:31], s[6:7], v[28:29], v[28:29], v[26:27]
	v_rcp_f64_e32 v[32:33], v[30:31]
	v_div_scale_f64 v[44:45], vcc, v[26:27], v[28:29], v[26:27]
	v_fma_f64 v[46:47], -v[30:31], v[32:33], 1.0
	v_fmac_f64_e32 v[32:33], v[32:33], v[46:47]
	v_fma_f64 v[46:47], -v[30:31], v[32:33], 1.0
	v_fmac_f64_e32 v[32:33], v[32:33], v[46:47]
	v_mul_f64 v[46:47], v[44:45], v[32:33]
	v_fma_f64 v[30:31], -v[30:31], v[46:47], v[44:45]
	v_div_fmas_f64 v[30:31], v[30:31], v[32:33], v[46:47]
	v_div_fixup_f64 v[32:33], v[30:31], v[28:29], v[26:27]
	v_fmac_f64_e32 v[28:29], v[26:27], v[32:33]
	v_div_scale_f64 v[26:27], s[6:7], v[28:29], v[28:29], 1.0
	v_rcp_f64_e32 v[30:31], v[26:27]
	v_fma_f64 v[44:45], -v[26:27], v[30:31], 1.0
	v_fmac_f64_e32 v[30:31], v[30:31], v[44:45]
	v_fma_f64 v[44:45], -v[26:27], v[30:31], 1.0
	v_fmac_f64_e32 v[30:31], v[30:31], v[44:45]
	v_div_scale_f64 v[44:45], vcc, 1.0, v[28:29], 1.0
	v_mul_f64 v[46:47], v[44:45], v[30:31]
	v_fma_f64 v[26:27], -v[26:27], v[46:47], v[44:45]
	s_nop 1
	v_div_fmas_f64 v[26:27], v[26:27], v[30:31], v[46:47]
	v_div_fixup_f64 v[26:27], v[26:27], v[28:29], 1.0
	v_pk_mov_b32 v[28:29], s[14:15], s[14:15] op_sel:[0,1]
	v_fma_f64 v[28:29], s[12:13], v[32:33], v[28:29]
	v_mul_f64 v[30:31], v[28:29], v[26:27]
	v_pk_mov_b32 v[28:29], s[12:13], s[12:13] op_sel:[0,1]
	v_fma_f64 v[28:29], s[14:15], v[32:33], -v[28:29]
	v_mul_f64 v[32:33], v[28:29], v[26:27]
.LBB84_44:                              ;   in Loop: Header=BB84_5 Depth=1
	s_or_b64 exec, exec, s[2:3]
.LBB84_45:                              ;   in Loop: Header=BB84_5 Depth=1
	s_waitcnt vmcnt(0)
	v_xor_b32_e32 v1, 0x80000000, v23
	v_cmp_gt_f64_e32 vcc, 0, v[22:23]
	v_cndmask_b32_e32 v47, v23, v1, vcc
	v_xor_b32_e32 v1, 0x80000000, v25
	v_cmp_gt_f64_e32 vcc, 0, v[24:25]
	v_mov_b32_e32 v46, v22
	v_cndmask_b32_e32 v45, v25, v1, vcc
	v_mov_b32_e32 v44, v24
	s_and_b64 vcc, exec, s[0:1]
	v_cmp_ge_f64_e64 s[2:3], v[46:47], v[44:45]
	s_cbranch_vccnz .LBB84_55
; %bb.46:                               ;   in Loop: Header=BB84_5 Depth=1
                                        ; implicit-def: $vgpr28_vgpr29
                                        ; implicit-def: $vgpr48_vgpr49
	s_and_saveexec_b64 s[6:7], s[2:3]
	s_xor_b64 s[36:37], exec, s[6:7]
	s_cbranch_execz .LBB84_52
; %bb.47:                               ;   in Loop: Header=BB84_5 Depth=1
	v_cmp_neq_f64_e32 vcc, 0, v[22:23]
	v_cmp_neq_f64_e64 s[6:7], 0, v[24:25]
	s_or_b64 s[6:7], vcc, s[6:7]
                                        ; implicit-def: $vgpr28_vgpr29
                                        ; implicit-def: $vgpr48_vgpr49
	s_and_saveexec_b64 s[42:43], s[6:7]
	s_xor_b64 s[6:7], exec, s[42:43]
	s_cbranch_execz .LBB84_49
; %bb.48:                               ;   in Loop: Header=BB84_5 Depth=1
	v_div_scale_f64 v[26:27], s[42:43], v[22:23], v[22:23], v[24:25]
	v_rcp_f64_e32 v[28:29], v[26:27]
	v_div_scale_f64 v[48:49], vcc, v[24:25], v[22:23], v[24:25]
	v_fma_f64 v[50:51], -v[26:27], v[28:29], 1.0
	v_fmac_f64_e32 v[28:29], v[28:29], v[50:51]
	v_fma_f64 v[50:51], -v[26:27], v[28:29], 1.0
	v_fmac_f64_e32 v[28:29], v[28:29], v[50:51]
	v_mul_f64 v[50:51], v[48:49], v[28:29]
	v_fma_f64 v[26:27], -v[26:27], v[50:51], v[48:49]
	v_div_fmas_f64 v[26:27], v[26:27], v[28:29], v[50:51]
	v_div_fixup_f64 v[26:27], v[26:27], v[22:23], v[24:25]
	v_fma_f64 v[28:29], v[24:25], v[26:27], v[22:23]
	v_div_scale_f64 v[48:49], s[42:43], v[28:29], v[28:29], 1.0
	v_rcp_f64_e32 v[50:51], v[48:49]
	v_fma_f64 v[52:53], -v[48:49], v[50:51], 1.0
	v_fmac_f64_e32 v[50:51], v[50:51], v[52:53]
	v_fma_f64 v[52:53], -v[48:49], v[50:51], 1.0
	v_fmac_f64_e32 v[50:51], v[50:51], v[52:53]
	v_div_scale_f64 v[52:53], vcc, 1.0, v[28:29], 1.0
	v_mul_f64 v[54:55], v[52:53], v[50:51]
	v_fma_f64 v[48:49], -v[48:49], v[54:55], v[52:53]
	s_nop 1
	v_div_fmas_f64 v[48:49], v[48:49], v[50:51], v[54:55]
	v_div_fixup_f64 v[28:29], v[48:49], v[28:29], 1.0
	v_pk_mov_b32 v[48:49], s[12:13], s[12:13] op_sel:[0,1]
	v_pk_mov_b32 v[50:51], s[14:15], s[14:15] op_sel:[0,1]
	v_fma_f64 v[48:49], s[14:15], v[26:27], v[48:49]
	v_fma_f64 v[26:27], -s[12:13], v[26:27], v[50:51]
	v_mul_f64 v[48:49], v[48:49], v[28:29]
	v_mul_f64 v[28:29], v[26:27], v[28:29]
.LBB84_49:                              ;   in Loop: Header=BB84_5 Depth=1
	s_andn2_saveexec_b64 s[6:7], s[6:7]
	s_cbranch_execz .LBB84_51
; %bb.50:                               ;   in Loop: Header=BB84_5 Depth=1
	v_div_scale_f64 v[26:27], s[42:43], v[46:47], v[46:47], s[12:13]
	v_rcp_f64_e32 v[28:29], v[26:27]
	v_div_scale_f64 v[52:53], s[42:43], v[44:45], v[44:45], s[14:15]
	v_div_scale_f64 v[48:49], vcc, s[12:13], v[46:47], s[12:13]
	v_fma_f64 v[50:51], -v[26:27], v[28:29], 1.0
	v_fmac_f64_e32 v[28:29], v[28:29], v[50:51]
	v_fma_f64 v[50:51], -v[26:27], v[28:29], 1.0
	v_fmac_f64_e32 v[28:29], v[28:29], v[50:51]
	v_rcp_f64_e32 v[54:55], v[52:53]
	v_mul_f64 v[50:51], v[48:49], v[28:29]
	v_fma_f64 v[26:27], -v[26:27], v[50:51], v[48:49]
	v_div_fmas_f64 v[26:27], v[26:27], v[28:29], v[50:51]
	v_div_fixup_f64 v[48:49], v[26:27], v[46:47], s[12:13]
	v_fma_f64 v[26:27], -v[52:53], v[54:55], 1.0
	v_fmac_f64_e32 v[54:55], v[54:55], v[26:27]
	v_fma_f64 v[26:27], -v[52:53], v[54:55], 1.0
	v_fmac_f64_e32 v[54:55], v[54:55], v[26:27]
	v_div_scale_f64 v[26:27], vcc, s[14:15], v[44:45], s[14:15]
	v_mul_f64 v[28:29], v[26:27], v[54:55]
	v_fma_f64 v[26:27], -v[52:53], v[28:29], v[26:27]
	s_nop 1
	v_div_fmas_f64 v[26:27], v[26:27], v[54:55], v[28:29]
	v_div_fixup_f64 v[28:29], v[26:27], v[44:45], s[14:15]
.LBB84_51:                              ;   in Loop: Header=BB84_5 Depth=1
	s_or_b64 exec, exec, s[6:7]
.LBB84_52:                              ;   in Loop: Header=BB84_5 Depth=1
	s_andn2_saveexec_b64 s[6:7], s[36:37]
	s_cbranch_execz .LBB84_54
; %bb.53:                               ;   in Loop: Header=BB84_5 Depth=1
	v_div_scale_f64 v[26:27], s[36:37], v[24:25], v[24:25], v[22:23]
	v_rcp_f64_e32 v[28:29], v[26:27]
	v_div_scale_f64 v[48:49], vcc, v[22:23], v[24:25], v[22:23]
	v_fma_f64 v[50:51], -v[26:27], v[28:29], 1.0
	v_fmac_f64_e32 v[28:29], v[28:29], v[50:51]
	v_fma_f64 v[50:51], -v[26:27], v[28:29], 1.0
	v_fmac_f64_e32 v[28:29], v[28:29], v[50:51]
	v_mul_f64 v[50:51], v[48:49], v[28:29]
	v_fma_f64 v[26:27], -v[26:27], v[50:51], v[48:49]
	v_div_fmas_f64 v[26:27], v[26:27], v[28:29], v[50:51]
	v_div_fixup_f64 v[26:27], v[26:27], v[24:25], v[22:23]
	v_fma_f64 v[28:29], v[22:23], v[26:27], v[24:25]
	v_div_scale_f64 v[48:49], s[36:37], v[28:29], v[28:29], 1.0
	v_rcp_f64_e32 v[50:51], v[48:49]
	v_fma_f64 v[52:53], -v[48:49], v[50:51], 1.0
	v_fmac_f64_e32 v[50:51], v[50:51], v[52:53]
	v_fma_f64 v[52:53], -v[48:49], v[50:51], 1.0
	v_fmac_f64_e32 v[50:51], v[50:51], v[52:53]
	v_div_scale_f64 v[52:53], vcc, 1.0, v[28:29], 1.0
	v_mul_f64 v[54:55], v[52:53], v[50:51]
	v_fma_f64 v[48:49], -v[48:49], v[54:55], v[52:53]
	s_nop 1
	v_div_fmas_f64 v[48:49], v[48:49], v[50:51], v[54:55]
	v_div_fixup_f64 v[28:29], v[48:49], v[28:29], 1.0
	v_pk_mov_b32 v[48:49], s[14:15], s[14:15] op_sel:[0,1]
	v_pk_mov_b32 v[50:51], s[12:13], s[12:13] op_sel:[0,1]
	v_fma_f64 v[48:49], s[12:13], v[26:27], v[48:49]
	v_fma_f64 v[26:27], s[14:15], v[26:27], -v[50:51]
	v_mul_f64 v[48:49], v[48:49], v[28:29]
	v_mul_f64 v[28:29], v[26:27], v[28:29]
.LBB84_54:                              ;   in Loop: Header=BB84_5 Depth=1
	s_or_b64 exec, exec, s[6:7]
	v_mul_f64 v[26:27], s[10:11], v[28:29]
	v_mul_f64 v[28:29], s[8:9], v[28:29]
	v_fma_f64 v[26:27], s[8:9], v[48:49], -v[26:27]
	v_fmac_f64_e32 v[28:29], s[10:11], v[48:49]
	s_branch .LBB84_65
.LBB84_55:                              ;   in Loop: Header=BB84_5 Depth=1
                                        ; implicit-def: $vgpr28_vgpr29
                                        ; implicit-def: $vgpr26_vgpr27
	s_cbranch_execz .LBB84_65
; %bb.56:                               ;   in Loop: Header=BB84_5 Depth=1
                                        ; implicit-def: $vgpr28_vgpr29
                                        ; implicit-def: $vgpr26_vgpr27
	s_and_saveexec_b64 s[6:7], s[2:3]
	s_xor_b64 s[6:7], exec, s[6:7]
	s_cbranch_execz .LBB84_62
; %bb.57:                               ;   in Loop: Header=BB84_5 Depth=1
	v_cmp_neq_f64_e32 vcc, 0, v[22:23]
	v_cmp_neq_f64_e64 s[2:3], 0, v[24:25]
	s_or_b64 s[2:3], vcc, s[2:3]
                                        ; implicit-def: $vgpr28_vgpr29
                                        ; implicit-def: $vgpr26_vgpr27
	s_and_saveexec_b64 s[36:37], s[2:3]
	s_xor_b64 s[2:3], exec, s[36:37]
	s_cbranch_execz .LBB84_59
; %bb.58:                               ;   in Loop: Header=BB84_5 Depth=1
	v_div_scale_f64 v[26:27], s[36:37], v[22:23], v[22:23], v[24:25]
	v_rcp_f64_e32 v[28:29], v[26:27]
	v_div_scale_f64 v[44:45], vcc, v[24:25], v[22:23], v[24:25]
	v_fma_f64 v[46:47], -v[26:27], v[28:29], 1.0
	v_fmac_f64_e32 v[28:29], v[28:29], v[46:47]
	v_fma_f64 v[46:47], -v[26:27], v[28:29], 1.0
	v_fmac_f64_e32 v[28:29], v[28:29], v[46:47]
	v_mul_f64 v[46:47], v[44:45], v[28:29]
	v_fma_f64 v[26:27], -v[26:27], v[46:47], v[44:45]
	v_div_fmas_f64 v[26:27], v[26:27], v[28:29], v[46:47]
	v_div_fixup_f64 v[28:29], v[26:27], v[22:23], v[24:25]
	v_fmac_f64_e32 v[22:23], v[24:25], v[28:29]
	v_div_scale_f64 v[24:25], s[36:37], v[22:23], v[22:23], 1.0
	v_rcp_f64_e32 v[26:27], v[24:25]
	v_fma_f64 v[44:45], -v[24:25], v[26:27], 1.0
	v_fmac_f64_e32 v[26:27], v[26:27], v[44:45]
	v_fma_f64 v[44:45], -v[24:25], v[26:27], 1.0
	v_fmac_f64_e32 v[26:27], v[26:27], v[44:45]
	v_div_scale_f64 v[44:45], vcc, 1.0, v[22:23], 1.0
	v_mul_f64 v[46:47], v[44:45], v[26:27]
	v_fma_f64 v[24:25], -v[24:25], v[46:47], v[44:45]
                                        ; implicit-def: $vgpr44_vgpr45
	s_nop 1
	v_div_fmas_f64 v[24:25], v[24:25], v[26:27], v[46:47]
	v_div_fixup_f64 v[22:23], v[24:25], v[22:23], 1.0
	v_pk_mov_b32 v[24:25], s[12:13], s[12:13] op_sel:[0,1]
	v_fma_f64 v[24:25], s[14:15], v[28:29], v[24:25]
	v_mul_f64 v[26:27], v[24:25], v[22:23]
	v_pk_mov_b32 v[24:25], s[14:15], s[14:15] op_sel:[0,1]
	v_fma_f64 v[24:25], -s[12:13], v[28:29], v[24:25]
	v_mul_f64 v[28:29], v[24:25], v[22:23]
                                        ; implicit-def: $vgpr46_vgpr47
.LBB84_59:                              ;   in Loop: Header=BB84_5 Depth=1
	s_andn2_saveexec_b64 s[2:3], s[2:3]
	s_cbranch_execz .LBB84_61
; %bb.60:                               ;   in Loop: Header=BB84_5 Depth=1
	v_div_scale_f64 v[22:23], s[36:37], v[46:47], v[46:47], s[12:13]
	v_rcp_f64_e32 v[24:25], v[22:23]
	v_div_scale_f64 v[48:49], s[36:37], v[44:45], v[44:45], s[14:15]
	v_div_scale_f64 v[26:27], vcc, s[12:13], v[46:47], s[12:13]
	v_fma_f64 v[28:29], -v[22:23], v[24:25], 1.0
	v_fmac_f64_e32 v[24:25], v[24:25], v[28:29]
	v_fma_f64 v[28:29], -v[22:23], v[24:25], 1.0
	v_fmac_f64_e32 v[24:25], v[24:25], v[28:29]
	v_rcp_f64_e32 v[50:51], v[48:49]
	v_mul_f64 v[28:29], v[26:27], v[24:25]
	v_fma_f64 v[22:23], -v[22:23], v[28:29], v[26:27]
	v_div_fmas_f64 v[22:23], v[22:23], v[24:25], v[28:29]
	v_div_fixup_f64 v[26:27], v[22:23], v[46:47], s[12:13]
	v_fma_f64 v[22:23], -v[48:49], v[50:51], 1.0
	v_fmac_f64_e32 v[50:51], v[50:51], v[22:23]
	v_fma_f64 v[22:23], -v[48:49], v[50:51], 1.0
	v_fmac_f64_e32 v[50:51], v[50:51], v[22:23]
	v_div_scale_f64 v[22:23], vcc, s[14:15], v[44:45], s[14:15]
	v_mul_f64 v[24:25], v[22:23], v[50:51]
	v_fma_f64 v[22:23], -v[48:49], v[24:25], v[22:23]
	s_nop 1
	v_div_fmas_f64 v[22:23], v[22:23], v[50:51], v[24:25]
	v_div_fixup_f64 v[28:29], v[22:23], v[44:45], s[14:15]
.LBB84_61:                              ;   in Loop: Header=BB84_5 Depth=1
	s_or_b64 exec, exec, s[2:3]
                                        ; implicit-def: $vgpr24_vgpr25
.LBB84_62:                              ;   in Loop: Header=BB84_5 Depth=1
	s_andn2_saveexec_b64 s[2:3], s[6:7]
	s_cbranch_execz .LBB84_64
; %bb.63:                               ;   in Loop: Header=BB84_5 Depth=1
	v_div_scale_f64 v[26:27], s[6:7], v[24:25], v[24:25], v[22:23]
	v_rcp_f64_e32 v[28:29], v[26:27]
	v_div_scale_f64 v[44:45], vcc, v[22:23], v[24:25], v[22:23]
	v_fma_f64 v[46:47], -v[26:27], v[28:29], 1.0
	v_fmac_f64_e32 v[28:29], v[28:29], v[46:47]
	v_fma_f64 v[46:47], -v[26:27], v[28:29], 1.0
	v_fmac_f64_e32 v[28:29], v[28:29], v[46:47]
	v_mul_f64 v[46:47], v[44:45], v[28:29]
	v_fma_f64 v[26:27], -v[26:27], v[46:47], v[44:45]
	v_div_fmas_f64 v[26:27], v[26:27], v[28:29], v[46:47]
	v_div_fixup_f64 v[28:29], v[26:27], v[24:25], v[22:23]
	v_fmac_f64_e32 v[24:25], v[22:23], v[28:29]
	v_div_scale_f64 v[22:23], s[6:7], v[24:25], v[24:25], 1.0
	v_rcp_f64_e32 v[26:27], v[22:23]
	v_fma_f64 v[44:45], -v[22:23], v[26:27], 1.0
	v_fmac_f64_e32 v[26:27], v[26:27], v[44:45]
	v_fma_f64 v[44:45], -v[22:23], v[26:27], 1.0
	v_fmac_f64_e32 v[26:27], v[26:27], v[44:45]
	v_div_scale_f64 v[44:45], vcc, 1.0, v[24:25], 1.0
	v_mul_f64 v[46:47], v[44:45], v[26:27]
	v_fma_f64 v[22:23], -v[22:23], v[46:47], v[44:45]
	s_nop 1
	v_div_fmas_f64 v[22:23], v[22:23], v[26:27], v[46:47]
	v_div_fixup_f64 v[22:23], v[22:23], v[24:25], 1.0
	v_pk_mov_b32 v[24:25], s[14:15], s[14:15] op_sel:[0,1]
	v_fma_f64 v[24:25], s[12:13], v[28:29], v[24:25]
	v_mul_f64 v[26:27], v[24:25], v[22:23]
	v_pk_mov_b32 v[24:25], s[12:13], s[12:13] op_sel:[0,1]
	v_fma_f64 v[24:25], s[14:15], v[28:29], -v[24:25]
	v_mul_f64 v[28:29], v[24:25], v[22:23]
.LBB84_64:                              ;   in Loop: Header=BB84_5 Depth=1
	s_or_b64 exec, exec, s[2:3]
.LBB84_65:                              ;   in Loop: Header=BB84_5 Depth=1
	v_xor_b32_e32 v1, 0x80000000, v19
	v_cmp_gt_f64_e32 vcc, 0, v[18:19]
	v_cndmask_b32_e32 v25, v19, v1, vcc
	v_xor_b32_e32 v1, 0x80000000, v21
	v_cmp_gt_f64_e32 vcc, 0, v[20:21]
	v_mov_b32_e32 v24, v18
	v_cndmask_b32_e32 v23, v21, v1, vcc
	v_mov_b32_e32 v22, v20
	s_and_b64 vcc, exec, s[0:1]
	v_cmp_ge_f64_e64 s[0:1], v[24:25], v[22:23]
	s_cbranch_vccnz .LBB84_75
; %bb.66:                               ;   in Loop: Header=BB84_5 Depth=1
                                        ; implicit-def: $vgpr46_vgpr47
                                        ; implicit-def: $vgpr48_vgpr49
	s_and_saveexec_b64 s[2:3], s[0:1]
	s_xor_b64 s[6:7], exec, s[2:3]
	s_cbranch_execz .LBB84_72
; %bb.67:                               ;   in Loop: Header=BB84_5 Depth=1
	v_cmp_neq_f64_e32 vcc, 0, v[18:19]
	v_cmp_neq_f64_e64 s[2:3], 0, v[20:21]
	s_or_b64 s[2:3], vcc, s[2:3]
                                        ; implicit-def: $vgpr46_vgpr47
                                        ; implicit-def: $vgpr48_vgpr49
	s_and_saveexec_b64 s[36:37], s[2:3]
	s_xor_b64 s[2:3], exec, s[36:37]
	s_cbranch_execz .LBB84_69
; %bb.68:                               ;   in Loop: Header=BB84_5 Depth=1
	v_div_scale_f64 v[44:45], s[36:37], v[18:19], v[18:19], v[20:21]
	v_rcp_f64_e32 v[46:47], v[44:45]
	v_div_scale_f64 v[48:49], vcc, v[20:21], v[18:19], v[20:21]
	v_fma_f64 v[50:51], -v[44:45], v[46:47], 1.0
	v_fmac_f64_e32 v[46:47], v[46:47], v[50:51]
	v_fma_f64 v[50:51], -v[44:45], v[46:47], 1.0
	v_fmac_f64_e32 v[46:47], v[46:47], v[50:51]
	v_mul_f64 v[50:51], v[48:49], v[46:47]
	v_fma_f64 v[44:45], -v[44:45], v[50:51], v[48:49]
	v_div_fmas_f64 v[44:45], v[44:45], v[46:47], v[50:51]
	v_div_fixup_f64 v[44:45], v[44:45], v[18:19], v[20:21]
	v_fma_f64 v[46:47], v[20:21], v[44:45], v[18:19]
	v_div_scale_f64 v[48:49], s[36:37], v[46:47], v[46:47], 1.0
	v_rcp_f64_e32 v[50:51], v[48:49]
	v_fma_f64 v[52:53], -v[48:49], v[50:51], 1.0
	v_fmac_f64_e32 v[50:51], v[50:51], v[52:53]
	v_fma_f64 v[52:53], -v[48:49], v[50:51], 1.0
	v_fmac_f64_e32 v[50:51], v[50:51], v[52:53]
	v_div_scale_f64 v[52:53], vcc, 1.0, v[46:47], 1.0
	v_mul_f64 v[54:55], v[52:53], v[50:51]
	v_fma_f64 v[48:49], -v[48:49], v[54:55], v[52:53]
	s_nop 1
	v_div_fmas_f64 v[48:49], v[48:49], v[50:51], v[54:55]
	v_div_fixup_f64 v[46:47], v[48:49], v[46:47], 1.0
	v_pk_mov_b32 v[48:49], s[12:13], s[12:13] op_sel:[0,1]
	v_pk_mov_b32 v[50:51], s[14:15], s[14:15] op_sel:[0,1]
	v_fma_f64 v[48:49], s[14:15], v[44:45], v[48:49]
	v_fma_f64 v[44:45], -s[12:13], v[44:45], v[50:51]
	v_mul_f64 v[48:49], v[48:49], v[46:47]
	v_mul_f64 v[46:47], v[44:45], v[46:47]
.LBB84_69:                              ;   in Loop: Header=BB84_5 Depth=1
	s_andn2_saveexec_b64 s[2:3], s[2:3]
	s_cbranch_execz .LBB84_71
; %bb.70:                               ;   in Loop: Header=BB84_5 Depth=1
	v_div_scale_f64 v[44:45], s[36:37], v[24:25], v[24:25], s[12:13]
	v_rcp_f64_e32 v[46:47], v[44:45]
	v_div_scale_f64 v[52:53], s[36:37], v[22:23], v[22:23], s[14:15]
	v_div_scale_f64 v[48:49], vcc, s[12:13], v[24:25], s[12:13]
	v_fma_f64 v[50:51], -v[44:45], v[46:47], 1.0
	v_fmac_f64_e32 v[46:47], v[46:47], v[50:51]
	v_fma_f64 v[50:51], -v[44:45], v[46:47], 1.0
	v_fmac_f64_e32 v[46:47], v[46:47], v[50:51]
	v_rcp_f64_e32 v[54:55], v[52:53]
	v_mul_f64 v[50:51], v[48:49], v[46:47]
	v_fma_f64 v[44:45], -v[44:45], v[50:51], v[48:49]
	v_div_fmas_f64 v[44:45], v[44:45], v[46:47], v[50:51]
	v_div_fixup_f64 v[48:49], v[44:45], v[24:25], s[12:13]
	v_fma_f64 v[44:45], -v[52:53], v[54:55], 1.0
	v_fmac_f64_e32 v[54:55], v[54:55], v[44:45]
	v_fma_f64 v[44:45], -v[52:53], v[54:55], 1.0
	v_fmac_f64_e32 v[54:55], v[54:55], v[44:45]
	v_div_scale_f64 v[44:45], vcc, s[14:15], v[22:23], s[14:15]
	v_mul_f64 v[46:47], v[44:45], v[54:55]
	v_fma_f64 v[44:45], -v[52:53], v[46:47], v[44:45]
	s_nop 1
	v_div_fmas_f64 v[44:45], v[44:45], v[54:55], v[46:47]
	v_div_fixup_f64 v[46:47], v[44:45], v[22:23], s[14:15]
.LBB84_71:                              ;   in Loop: Header=BB84_5 Depth=1
	s_or_b64 exec, exec, s[2:3]
.LBB84_72:                              ;   in Loop: Header=BB84_5 Depth=1
	s_andn2_saveexec_b64 s[2:3], s[6:7]
	s_cbranch_execz .LBB84_74
; %bb.73:                               ;   in Loop: Header=BB84_5 Depth=1
	v_div_scale_f64 v[44:45], s[6:7], v[20:21], v[20:21], v[18:19]
	v_rcp_f64_e32 v[46:47], v[44:45]
	v_div_scale_f64 v[48:49], vcc, v[18:19], v[20:21], v[18:19]
	v_fma_f64 v[50:51], -v[44:45], v[46:47], 1.0
	v_fmac_f64_e32 v[46:47], v[46:47], v[50:51]
	v_fma_f64 v[50:51], -v[44:45], v[46:47], 1.0
	v_fmac_f64_e32 v[46:47], v[46:47], v[50:51]
	v_mul_f64 v[50:51], v[48:49], v[46:47]
	v_fma_f64 v[44:45], -v[44:45], v[50:51], v[48:49]
	v_div_fmas_f64 v[44:45], v[44:45], v[46:47], v[50:51]
	v_div_fixup_f64 v[44:45], v[44:45], v[20:21], v[18:19]
	v_fma_f64 v[46:47], v[18:19], v[44:45], v[20:21]
	v_div_scale_f64 v[48:49], s[6:7], v[46:47], v[46:47], 1.0
	v_rcp_f64_e32 v[50:51], v[48:49]
	v_fma_f64 v[52:53], -v[48:49], v[50:51], 1.0
	v_fmac_f64_e32 v[50:51], v[50:51], v[52:53]
	v_fma_f64 v[52:53], -v[48:49], v[50:51], 1.0
	v_fmac_f64_e32 v[50:51], v[50:51], v[52:53]
	v_div_scale_f64 v[52:53], vcc, 1.0, v[46:47], 1.0
	v_mul_f64 v[54:55], v[52:53], v[50:51]
	v_fma_f64 v[48:49], -v[48:49], v[54:55], v[52:53]
	s_nop 1
	v_div_fmas_f64 v[48:49], v[48:49], v[50:51], v[54:55]
	v_div_fixup_f64 v[46:47], v[48:49], v[46:47], 1.0
	v_pk_mov_b32 v[48:49], s[14:15], s[14:15] op_sel:[0,1]
	v_pk_mov_b32 v[50:51], s[12:13], s[12:13] op_sel:[0,1]
	v_fma_f64 v[48:49], s[12:13], v[44:45], v[48:49]
	v_fma_f64 v[44:45], s[14:15], v[44:45], -v[50:51]
	v_mul_f64 v[48:49], v[48:49], v[46:47]
	v_mul_f64 v[46:47], v[44:45], v[46:47]
.LBB84_74:                              ;   in Loop: Header=BB84_5 Depth=1
	s_or_b64 exec, exec, s[2:3]
	v_mul_f64 v[44:45], s[10:11], v[46:47]
	v_mul_f64 v[46:47], s[8:9], v[46:47]
	v_fma_f64 v[44:45], s[8:9], v[48:49], -v[44:45]
	v_fmac_f64_e32 v[46:47], s[10:11], v[48:49]
	s_branch .LBB84_4
.LBB84_75:                              ;   in Loop: Header=BB84_5 Depth=1
                                        ; implicit-def: $vgpr46_vgpr47
                                        ; implicit-def: $vgpr44_vgpr45
	s_cbranch_execz .LBB84_4
; %bb.76:                               ;   in Loop: Header=BB84_5 Depth=1
                                        ; implicit-def: $vgpr46_vgpr47
                                        ; implicit-def: $vgpr44_vgpr45
	s_and_saveexec_b64 s[2:3], s[0:1]
	s_xor_b64 s[2:3], exec, s[2:3]
	s_cbranch_execz .LBB84_82
; %bb.77:                               ;   in Loop: Header=BB84_5 Depth=1
	v_cmp_neq_f64_e32 vcc, 0, v[18:19]
	v_cmp_neq_f64_e64 s[0:1], 0, v[20:21]
	s_or_b64 s[0:1], vcc, s[0:1]
                                        ; implicit-def: $vgpr46_vgpr47
                                        ; implicit-def: $vgpr44_vgpr45
	s_and_saveexec_b64 s[6:7], s[0:1]
	s_xor_b64 s[0:1], exec, s[6:7]
	s_cbranch_execz .LBB84_79
; %bb.78:                               ;   in Loop: Header=BB84_5 Depth=1
	v_div_scale_f64 v[22:23], s[6:7], v[18:19], v[18:19], v[20:21]
	v_rcp_f64_e32 v[24:25], v[22:23]
	v_div_scale_f64 v[44:45], vcc, v[20:21], v[18:19], v[20:21]
	v_fma_f64 v[46:47], -v[22:23], v[24:25], 1.0
	v_fmac_f64_e32 v[24:25], v[24:25], v[46:47]
	v_fma_f64 v[46:47], -v[22:23], v[24:25], 1.0
	v_fmac_f64_e32 v[24:25], v[24:25], v[46:47]
	v_mul_f64 v[46:47], v[44:45], v[24:25]
	v_fma_f64 v[22:23], -v[22:23], v[46:47], v[44:45]
	v_div_fmas_f64 v[22:23], v[22:23], v[24:25], v[46:47]
	v_div_fixup_f64 v[22:23], v[22:23], v[18:19], v[20:21]
	v_fmac_f64_e32 v[18:19], v[20:21], v[22:23]
	v_div_scale_f64 v[20:21], s[6:7], v[18:19], v[18:19], 1.0
	v_rcp_f64_e32 v[24:25], v[20:21]
	v_fma_f64 v[44:45], -v[20:21], v[24:25], 1.0
	v_fmac_f64_e32 v[24:25], v[24:25], v[44:45]
	v_fma_f64 v[44:45], -v[20:21], v[24:25], 1.0
	v_fmac_f64_e32 v[24:25], v[24:25], v[44:45]
	v_div_scale_f64 v[44:45], vcc, 1.0, v[18:19], 1.0
	v_mul_f64 v[46:47], v[44:45], v[24:25]
	v_fma_f64 v[20:21], -v[20:21], v[46:47], v[44:45]
	s_nop 1
	v_div_fmas_f64 v[20:21], v[20:21], v[24:25], v[46:47]
	v_div_fixup_f64 v[18:19], v[20:21], v[18:19], 1.0
	v_pk_mov_b32 v[20:21], s[12:13], s[12:13] op_sel:[0,1]
	v_fma_f64 v[20:21], s[14:15], v[22:23], v[20:21]
	v_mul_f64 v[44:45], v[20:21], v[18:19]
	v_pk_mov_b32 v[20:21], s[14:15], s[14:15] op_sel:[0,1]
	v_fma_f64 v[20:21], -s[12:13], v[22:23], v[20:21]
	v_mul_f64 v[46:47], v[20:21], v[18:19]
                                        ; implicit-def: $vgpr24_vgpr25
                                        ; implicit-def: $vgpr22_vgpr23
.LBB84_79:                              ;   in Loop: Header=BB84_5 Depth=1
	s_andn2_saveexec_b64 s[0:1], s[0:1]
	s_cbranch_execz .LBB84_81
; %bb.80:                               ;   in Loop: Header=BB84_5 Depth=1
	v_div_scale_f64 v[18:19], s[6:7], v[24:25], v[24:25], s[12:13]
	v_rcp_f64_e32 v[20:21], v[18:19]
	v_div_scale_f64 v[48:49], s[6:7], v[22:23], v[22:23], s[14:15]
	v_div_scale_f64 v[44:45], vcc, s[12:13], v[24:25], s[12:13]
	v_fma_f64 v[46:47], -v[18:19], v[20:21], 1.0
	v_fmac_f64_e32 v[20:21], v[20:21], v[46:47]
	v_fma_f64 v[46:47], -v[18:19], v[20:21], 1.0
	v_fmac_f64_e32 v[20:21], v[20:21], v[46:47]
	v_rcp_f64_e32 v[50:51], v[48:49]
	v_mul_f64 v[46:47], v[44:45], v[20:21]
	v_fma_f64 v[18:19], -v[18:19], v[46:47], v[44:45]
	v_div_fmas_f64 v[18:19], v[18:19], v[20:21], v[46:47]
	v_div_fixup_f64 v[44:45], v[18:19], v[24:25], s[12:13]
	v_fma_f64 v[18:19], -v[48:49], v[50:51], 1.0
	v_fmac_f64_e32 v[50:51], v[50:51], v[18:19]
	v_fma_f64 v[18:19], -v[48:49], v[50:51], 1.0
	v_fmac_f64_e32 v[50:51], v[50:51], v[18:19]
	v_div_scale_f64 v[18:19], vcc, s[14:15], v[22:23], s[14:15]
	v_mul_f64 v[20:21], v[18:19], v[50:51]
	v_fma_f64 v[18:19], -v[48:49], v[20:21], v[18:19]
	s_nop 1
	v_div_fmas_f64 v[18:19], v[18:19], v[50:51], v[20:21]
	v_div_fixup_f64 v[46:47], v[18:19], v[22:23], s[14:15]
.LBB84_81:                              ;   in Loop: Header=BB84_5 Depth=1
	s_or_b64 exec, exec, s[0:1]
                                        ; implicit-def: $vgpr20_vgpr21
.LBB84_82:                              ;   in Loop: Header=BB84_5 Depth=1
	s_andn2_saveexec_b64 s[0:1], s[2:3]
	s_cbranch_execz .LBB84_3
; %bb.83:                               ;   in Loop: Header=BB84_5 Depth=1
	v_div_scale_f64 v[22:23], s[2:3], v[20:21], v[20:21], v[18:19]
	v_rcp_f64_e32 v[24:25], v[22:23]
	v_div_scale_f64 v[44:45], vcc, v[18:19], v[20:21], v[18:19]
	v_fma_f64 v[46:47], -v[22:23], v[24:25], 1.0
	v_fmac_f64_e32 v[24:25], v[24:25], v[46:47]
	v_fma_f64 v[46:47], -v[22:23], v[24:25], 1.0
	v_fmac_f64_e32 v[24:25], v[24:25], v[46:47]
	v_mul_f64 v[46:47], v[44:45], v[24:25]
	v_fma_f64 v[22:23], -v[22:23], v[46:47], v[44:45]
	v_div_fmas_f64 v[22:23], v[22:23], v[24:25], v[46:47]
	v_div_fixup_f64 v[22:23], v[22:23], v[20:21], v[18:19]
	v_fmac_f64_e32 v[20:21], v[18:19], v[22:23]
	v_div_scale_f64 v[18:19], s[2:3], v[20:21], v[20:21], 1.0
	v_rcp_f64_e32 v[24:25], v[18:19]
	v_fma_f64 v[44:45], -v[18:19], v[24:25], 1.0
	v_fmac_f64_e32 v[24:25], v[24:25], v[44:45]
	v_fma_f64 v[44:45], -v[18:19], v[24:25], 1.0
	v_fmac_f64_e32 v[24:25], v[24:25], v[44:45]
	v_div_scale_f64 v[44:45], vcc, 1.0, v[20:21], 1.0
	v_mul_f64 v[46:47], v[44:45], v[24:25]
	v_fma_f64 v[18:19], -v[18:19], v[46:47], v[44:45]
	s_nop 1
	v_div_fmas_f64 v[18:19], v[18:19], v[24:25], v[46:47]
	v_div_fixup_f64 v[18:19], v[18:19], v[20:21], 1.0
	v_pk_mov_b32 v[20:21], s[14:15], s[14:15] op_sel:[0,1]
	v_fma_f64 v[20:21], s[12:13], v[22:23], v[20:21]
	v_mul_f64 v[44:45], v[20:21], v[18:19]
	v_pk_mov_b32 v[20:21], s[12:13], s[12:13] op_sel:[0,1]
	v_fma_f64 v[20:21], s[14:15], v[22:23], -v[20:21]
	v_mul_f64 v[46:47], v[20:21], v[18:19]
	s_branch .LBB84_3
.LBB84_84:
	s_or_b64 exec, exec, s[22:23]
	s_mov_b64 s[0:1], 0
.LBB84_85:
	s_andn2_b64 vcc, exec, s[0:1]
	s_cbranch_vccnz .LBB84_185
; %bb.86:
	v_cmp_lt_i64_e64 s[0:1], s[18:19], 1
	s_and_b64 vcc, exec, s[0:1]
	s_cbranch_vccnz .LBB84_185
; %bb.87:
	s_load_dword s4, s[4:5], 0xc6c
	v_mov_b32_e32 v2, 0x10000
	v_cmp_neq_f64_e64 s[0:1], s[8:9], 1.0
	v_cmp_neq_f64_e64 s[2:3], s[10:11], 0
	v_mov_b32_e32 v3, 0
	v_lshlrev_b32_e32 v4, 4, v0
	s_waitcnt lgkmcnt(0)
	s_and_b32 s31, s4, 0xffff
	s_or_b64 s[6:7], s[0:1], s[2:3]
	v_cmp_lt_u64_e32 vcc, s[18:19], v[2:3]
	v_or_b32_e32 v2, 8, v4
	s_and_b64 s[0:1], vcc, exec
	v_mov_b32_e32 v5, s27
	v_add_co_u32_e32 v34, vcc, s26, v2
	v_addc_co_u32_e32 v35, vcc, 0, v5, vcc
	v_add_lshl_u32 v6, v0, s31, 4
	v_mov_b32_e32 v7, s29
	v_add_co_u32_e32 v36, vcc, s28, v6
	v_addc_co_u32_e32 v37, vcc, 0, v7, vcc
	v_add_co_u32_e32 v38, vcc, s28, v2
	v_mov_b32_e32 v1, 0
	v_addc_co_u32_e32 v39, vcc, 0, v7, vcc
	v_mov_b32_e32 v3, v1
	v_add_co_u32_e32 v40, vcc, s26, v6
	v_addc_co_u32_e32 v41, vcc, 0, v5, vcc
	v_mad_u64_u32 v[2:3], s[0:1], s31, 48, v[2:3]
	v_add_co_u32_e32 v42, vcc, s26, v2
	v_addc_co_u32_e32 v43, vcc, v5, v3, vcc
	v_add_co_u32_e32 v44, vcc, s28, v2
	s_cselect_b32 s23, s19, 0
	s_cselect_b32 s22, s18, 0x10000
	v_addc_co_u32_e32 v45, vcc, v7, v3, vcc
	s_lshl_b32 s0, s31, 5
	v_add_co_u32_e32 v2, vcc, s0, v4
	v_addc_co_u32_e64 v3, s[0:1], 0, 0, vcc
	v_add_co_u32_e32 v46, vcc, s28, v2
	v_addc_co_u32_e32 v47, vcc, v7, v3, vcc
	v_mov_b32_e32 v4, s27
	v_add_co_u32_e32 v2, vcc, s26, v2
	s_mov_b32 s30, 0
	v_addc_co_u32_e32 v3, vcc, v3, v4, vcc
	s_lshl_b32 s24, s31, 2
	s_mov_b32 s25, s30
	v_add_co_u32_e32 v48, vcc, 8, v2
	s_mov_b64 s[20:21], 0x10000
	s_lshl_b32 s33, s31, 1
	s_mov_b32 s34, s30
	s_mul_i32 s35, s31, 3
	s_mov_b32 s36, s30
	s_lshl_b32 s37, s31, 6
	s_mov_b32 s38, s30
	v_addc_co_u32_e32 v49, vcc, 0, v3, vcc
	s_mov_b64 s[26:27], s[24:25]
	s_branch .LBB84_89
.LBB84_88:                              ;   in Loop: Header=BB84_89 Depth=1
	s_or_b64 exec, exec, s[0:1]
	v_pk_mov_b32 v[2:3], s[18:19], s[18:19] op_sel:[0,1]
	v_cmp_ge_i64_e32 vcc, s[26:27], v[2:3]
	v_mov_b32_e32 v2, 0xffff
	v_mov_b32_e32 v3, 0
	v_cmp_gt_u64_e64 s[0:1], s[26:27], v[2:3]
	s_or_b64 s[0:1], vcc, s[0:1]
	v_mov_b32_e32 v2, s25
	v_add_co_u32_e32 v0, vcc, s24, v0
	v_addc_co_u32_e32 v1, vcc, v1, v2, vcc
	v_mov_b32_e32 v2, s38
	v_add_co_u32_e32 v34, vcc, s37, v34
	v_addc_co_u32_e32 v35, vcc, v35, v2, vcc
	v_add_co_u32_e32 v36, vcc, s37, v36
	v_addc_co_u32_e32 v37, vcc, v37, v2, vcc
	;; [unrolled: 2-line block ×7, first 2 shown]
	v_add_co_u32_e32 v48, vcc, s37, v48
	s_add_u32 s26, s26, s24
	v_addc_co_u32_e32 v49, vcc, v49, v2, vcc
	s_addc_u32 s27, s27, 0
	s_and_b64 vcc, exec, s[0:1]
	s_cbranch_vccnz .LBB84_185
.LBB84_89:                              ; =>This Inner Loop Header: Depth=1
	v_cmp_gt_i64_e32 vcc, s[18:19], v[0:1]
	v_cmp_gt_u64_e64 s[0:1], s[20:21], v[0:1]
	v_pk_mov_b32 v[28:29], 0, 0
	s_and_b64 s[2:3], vcc, s[0:1]
	v_pk_mov_b32 v[32:33], v[28:29], v[28:29] op_sel:[0,1]
	v_pk_mov_b32 v[30:31], v[28:29], v[28:29] op_sel:[0,1]
	;; [unrolled: 1-line block ×4, first 2 shown]
	s_and_saveexec_b64 s[0:1], s[2:3]
	s_cbranch_execz .LBB84_91
; %bb.90:                               ;   in Loop: Header=BB84_89 Depth=1
	v_mov_b32_e32 v2, s17
	v_add_co_u32_e32 v6, vcc, s16, v34
	v_addc_co_u32_e32 v7, vcc, v35, v2, vcc
	v_add_co_u32_e32 v8, vcc, s16, v38
	v_addc_co_u32_e32 v9, vcc, v39, v2, vcc
	global_load_dwordx4 v[2:5], v[8:9], off offset:-8
	global_load_dwordx4 v[30:33], v[6:7], off offset:-8
.LBB84_91:                              ;   in Loop: Header=BB84_89 Depth=1
	s_or_b64 exec, exec, s[0:1]
	v_mov_b32_e32 v6, s30
	v_add_co_u32_e32 v50, vcc, s31, v0
	v_addc_co_u32_e32 v51, vcc, v6, v1, vcc
	v_cmp_gt_i64_e32 vcc, s[18:19], v[50:51]
	v_cmp_gt_u64_e64 s[0:1], s[20:21], v[50:51]
	s_and_b64 s[2:3], vcc, s[0:1]
	v_pk_mov_b32 v[26:27], v[28:29], v[28:29] op_sel:[0,1]
	v_pk_mov_b32 v[8:9], v[28:29], v[28:29] op_sel:[0,1]
	v_pk_mov_b32 v[6:7], v[28:29], v[28:29] op_sel:[0,1]
	s_and_saveexec_b64 s[0:1], s[2:3]
	s_cbranch_execz .LBB84_93
; %bb.92:                               ;   in Loop: Header=BB84_89 Depth=1
	v_mov_b32_e32 v6, s17
	v_add_co_u32_e32 v10, vcc, s16, v40
	v_addc_co_u32_e32 v11, vcc, v41, v6, vcc
	v_add_co_u32_e32 v12, vcc, s16, v36
	v_addc_co_u32_e32 v13, vcc, v37, v6, vcc
	global_load_dwordx4 v[6:9], v[12:13], off
	global_load_dwordx4 v[26:29], v[10:11], off
.LBB84_93:                              ;   in Loop: Header=BB84_89 Depth=1
	s_or_b64 exec, exec, s[0:1]
	v_mov_b32_e32 v10, s34
	v_add_co_u32_e32 v52, vcc, s33, v0
	v_addc_co_u32_e32 v53, vcc, v10, v1, vcc
	v_cmp_gt_i64_e32 vcc, s[18:19], v[52:53]
	v_cmp_gt_u64_e64 s[0:1], s[20:21], v[52:53]
	v_pk_mov_b32 v[20:21], 0, 0
	s_and_b64 s[2:3], vcc, s[0:1]
	v_pk_mov_b32 v[24:25], v[20:21], v[20:21] op_sel:[0,1]
	v_pk_mov_b32 v[22:23], v[20:21], v[20:21] op_sel:[0,1]
	;; [unrolled: 1-line block ×4, first 2 shown]
	s_and_saveexec_b64 s[0:1], s[2:3]
	s_cbranch_execz .LBB84_95
; %bb.94:                               ;   in Loop: Header=BB84_89 Depth=1
	v_mov_b32_e32 v10, s17
	v_add_co_u32_e32 v14, vcc, s16, v48
	v_addc_co_u32_e32 v15, vcc, v49, v10, vcc
	v_add_co_u32_e32 v16, vcc, s16, v46
	v_addc_co_u32_e32 v17, vcc, v47, v10, vcc
	global_load_dwordx4 v[10:13], v[16:17], off
	global_load_dwordx4 v[22:25], v[14:15], off offset:-8
.LBB84_95:                              ;   in Loop: Header=BB84_89 Depth=1
	s_or_b64 exec, exec, s[0:1]
	v_mov_b32_e32 v14, s36
	v_add_co_u32_e32 v54, vcc, s35, v0
	v_addc_co_u32_e32 v55, vcc, v14, v1, vcc
	v_cmp_gt_i64_e32 vcc, s[18:19], v[54:55]
	v_cmp_gt_u64_e64 s[0:1], s[20:21], v[54:55]
	s_and_b64 s[2:3], vcc, s[0:1]
	v_pk_mov_b32 v[18:19], v[20:21], v[20:21] op_sel:[0,1]
	v_pk_mov_b32 v[16:17], v[20:21], v[20:21] op_sel:[0,1]
	;; [unrolled: 1-line block ×3, first 2 shown]
	s_and_saveexec_b64 s[0:1], s[2:3]
	s_cbranch_execz .LBB84_97
; %bb.96:                               ;   in Loop: Header=BB84_89 Depth=1
	v_mov_b32_e32 v14, s17
	v_add_co_u32_e32 v56, vcc, s16, v42
	v_addc_co_u32_e32 v57, vcc, v43, v14, vcc
	v_add_co_u32_e32 v58, vcc, s16, v44
	v_addc_co_u32_e32 v59, vcc, v45, v14, vcc
	global_load_dwordx4 v[14:17], v[58:59], off offset:-8
	global_load_dwordx4 v[18:21], v[56:57], off offset:-8
.LBB84_97:                              ;   in Loop: Header=BB84_89 Depth=1
	s_or_b64 exec, exec, s[0:1]
	s_waitcnt vmcnt(0)
	v_xor_b32_e32 v56, 0x80000000, v31
	v_cmp_gt_f64_e32 vcc, 0, v[30:31]
	v_cndmask_b32_e32 v63, v31, v56, vcc
	v_cndmask_b32_e32 v62, v30, v30, vcc
	v_xor_b32_e32 v56, 0x80000000, v33
	v_cmp_gt_f64_e32 vcc, 0, v[32:33]
	v_cndmask_b32_e32 v61, v33, v56, vcc
	v_cndmask_b32_e32 v60, v32, v32, vcc
	v_cmp_ge_f64_e64 s[0:1], v[62:63], v[60:61]
	s_and_b64 vcc, exec, s[6:7]
	s_cbranch_vccz .LBB84_107
; %bb.98:                               ;   in Loop: Header=BB84_89 Depth=1
                                        ; implicit-def: $vgpr58_vgpr59
                                        ; implicit-def: $vgpr64_vgpr65
	s_and_saveexec_b64 s[2:3], s[0:1]
	s_xor_b64 s[4:5], exec, s[2:3]
	s_cbranch_execz .LBB84_104
; %bb.99:                               ;   in Loop: Header=BB84_89 Depth=1
	v_cmp_neq_f64_e32 vcc, 0, v[30:31]
	v_cmp_neq_f64_e64 s[2:3], 0, v[32:33]
	s_or_b64 s[2:3], s[2:3], vcc
                                        ; implicit-def: $vgpr58_vgpr59
                                        ; implicit-def: $vgpr64_vgpr65
	s_and_saveexec_b64 s[28:29], s[2:3]
	s_xor_b64 s[2:3], exec, s[28:29]
	s_cbranch_execz .LBB84_101
; %bb.100:                              ;   in Loop: Header=BB84_89 Depth=1
	v_div_scale_f64 v[56:57], s[28:29], v[30:31], v[30:31], v[32:33]
	v_rcp_f64_e32 v[58:59], v[56:57]
	v_div_scale_f64 v[64:65], vcc, v[32:33], v[30:31], v[32:33]
	v_fma_f64 v[66:67], -v[56:57], v[58:59], 1.0
	v_fmac_f64_e32 v[58:59], v[58:59], v[66:67]
	v_fma_f64 v[66:67], -v[56:57], v[58:59], 1.0
	v_fmac_f64_e32 v[58:59], v[58:59], v[66:67]
	v_mul_f64 v[66:67], v[64:65], v[58:59]
	v_fma_f64 v[56:57], -v[56:57], v[66:67], v[64:65]
	v_div_fmas_f64 v[56:57], v[56:57], v[58:59], v[66:67]
	v_div_fixup_f64 v[56:57], v[56:57], v[30:31], v[32:33]
	v_fma_f64 v[58:59], v[32:33], v[56:57], v[30:31]
	v_div_scale_f64 v[64:65], s[28:29], v[58:59], v[58:59], 1.0
	v_rcp_f64_e32 v[66:67], v[64:65]
	v_fma_f64 v[68:69], -v[64:65], v[66:67], 1.0
	v_fmac_f64_e32 v[66:67], v[66:67], v[68:69]
	v_fma_f64 v[68:69], -v[64:65], v[66:67], 1.0
	v_fmac_f64_e32 v[66:67], v[66:67], v[68:69]
	v_div_scale_f64 v[68:69], vcc, 1.0, v[58:59], 1.0
	v_mul_f64 v[70:71], v[68:69], v[66:67]
	v_fma_f64 v[64:65], -v[64:65], v[70:71], v[68:69]
	s_nop 1
	v_div_fmas_f64 v[64:65], v[64:65], v[66:67], v[70:71]
	v_div_fixup_f64 v[58:59], v[64:65], v[58:59], 1.0
	v_pk_mov_b32 v[64:65], s[12:13], s[12:13] op_sel:[0,1]
	v_pk_mov_b32 v[66:67], s[14:15], s[14:15] op_sel:[0,1]
	v_fma_f64 v[64:65], s[14:15], v[56:57], v[64:65]
	v_fma_f64 v[56:57], -s[12:13], v[56:57], v[66:67]
	v_mul_f64 v[64:65], v[64:65], v[58:59]
	v_mul_f64 v[58:59], v[56:57], v[58:59]
.LBB84_101:                             ;   in Loop: Header=BB84_89 Depth=1
	s_andn2_saveexec_b64 s[2:3], s[2:3]
	s_cbranch_execz .LBB84_103
; %bb.102:                              ;   in Loop: Header=BB84_89 Depth=1
	v_div_scale_f64 v[56:57], s[28:29], v[62:63], v[62:63], s[12:13]
	v_rcp_f64_e32 v[58:59], v[56:57]
	v_div_scale_f64 v[68:69], s[28:29], v[60:61], v[60:61], s[14:15]
	v_div_scale_f64 v[64:65], vcc, s[12:13], v[62:63], s[12:13]
	v_fma_f64 v[66:67], -v[56:57], v[58:59], 1.0
	v_fmac_f64_e32 v[58:59], v[58:59], v[66:67]
	v_fma_f64 v[66:67], -v[56:57], v[58:59], 1.0
	v_fmac_f64_e32 v[58:59], v[58:59], v[66:67]
	v_rcp_f64_e32 v[70:71], v[68:69]
	v_mul_f64 v[66:67], v[64:65], v[58:59]
	v_fma_f64 v[56:57], -v[56:57], v[66:67], v[64:65]
	v_div_fmas_f64 v[56:57], v[56:57], v[58:59], v[66:67]
	v_div_fixup_f64 v[64:65], v[56:57], v[62:63], s[12:13]
	v_fma_f64 v[56:57], -v[68:69], v[70:71], 1.0
	v_fmac_f64_e32 v[70:71], v[70:71], v[56:57]
	v_fma_f64 v[56:57], -v[68:69], v[70:71], 1.0
	v_fmac_f64_e32 v[70:71], v[70:71], v[56:57]
	v_div_scale_f64 v[56:57], vcc, s[14:15], v[60:61], s[14:15]
	v_mul_f64 v[58:59], v[56:57], v[70:71]
	v_fma_f64 v[56:57], -v[68:69], v[58:59], v[56:57]
	s_nop 1
	v_div_fmas_f64 v[56:57], v[56:57], v[70:71], v[58:59]
	v_div_fixup_f64 v[58:59], v[56:57], v[60:61], s[14:15]
.LBB84_103:                             ;   in Loop: Header=BB84_89 Depth=1
	s_or_b64 exec, exec, s[2:3]
.LBB84_104:                             ;   in Loop: Header=BB84_89 Depth=1
	s_andn2_saveexec_b64 s[2:3], s[4:5]
	s_cbranch_execz .LBB84_106
; %bb.105:                              ;   in Loop: Header=BB84_89 Depth=1
	v_div_scale_f64 v[56:57], s[4:5], v[32:33], v[32:33], v[30:31]
	v_rcp_f64_e32 v[58:59], v[56:57]
	v_div_scale_f64 v[64:65], vcc, v[30:31], v[32:33], v[30:31]
	v_fma_f64 v[66:67], -v[56:57], v[58:59], 1.0
	v_fmac_f64_e32 v[58:59], v[58:59], v[66:67]
	v_fma_f64 v[66:67], -v[56:57], v[58:59], 1.0
	v_fmac_f64_e32 v[58:59], v[58:59], v[66:67]
	v_mul_f64 v[66:67], v[64:65], v[58:59]
	v_fma_f64 v[56:57], -v[56:57], v[66:67], v[64:65]
	v_div_fmas_f64 v[56:57], v[56:57], v[58:59], v[66:67]
	v_div_fixup_f64 v[56:57], v[56:57], v[32:33], v[30:31]
	v_fma_f64 v[58:59], v[30:31], v[56:57], v[32:33]
	v_div_scale_f64 v[64:65], s[4:5], v[58:59], v[58:59], 1.0
	v_rcp_f64_e32 v[66:67], v[64:65]
	v_fma_f64 v[68:69], -v[64:65], v[66:67], 1.0
	v_fmac_f64_e32 v[66:67], v[66:67], v[68:69]
	v_fma_f64 v[68:69], -v[64:65], v[66:67], 1.0
	v_fmac_f64_e32 v[66:67], v[66:67], v[68:69]
	v_div_scale_f64 v[68:69], vcc, 1.0, v[58:59], 1.0
	v_mul_f64 v[70:71], v[68:69], v[66:67]
	v_fma_f64 v[64:65], -v[64:65], v[70:71], v[68:69]
	s_nop 1
	v_div_fmas_f64 v[64:65], v[64:65], v[66:67], v[70:71]
	v_div_fixup_f64 v[58:59], v[64:65], v[58:59], 1.0
	v_pk_mov_b32 v[64:65], s[14:15], s[14:15] op_sel:[0,1]
	v_pk_mov_b32 v[66:67], s[12:13], s[12:13] op_sel:[0,1]
	v_fma_f64 v[64:65], s[12:13], v[56:57], v[64:65]
	v_fma_f64 v[56:57], s[14:15], v[56:57], -v[66:67]
	v_mul_f64 v[64:65], v[64:65], v[58:59]
	v_mul_f64 v[58:59], v[56:57], v[58:59]
.LBB84_106:                             ;   in Loop: Header=BB84_89 Depth=1
	s_or_b64 exec, exec, s[2:3]
	v_mul_f64 v[56:57], s[10:11], v[58:59]
	v_mul_f64 v[58:59], s[8:9], v[58:59]
	v_fma_f64 v[56:57], s[8:9], v[64:65], -v[56:57]
	v_fmac_f64_e32 v[58:59], s[10:11], v[64:65]
	s_branch .LBB84_117
.LBB84_107:                             ;   in Loop: Header=BB84_89 Depth=1
                                        ; implicit-def: $vgpr58_vgpr59
                                        ; implicit-def: $vgpr56_vgpr57
	s_cbranch_execz .LBB84_117
; %bb.108:                              ;   in Loop: Header=BB84_89 Depth=1
                                        ; implicit-def: $vgpr58_vgpr59
                                        ; implicit-def: $vgpr56_vgpr57
	s_and_saveexec_b64 s[2:3], s[0:1]
	s_xor_b64 s[2:3], exec, s[2:3]
	s_cbranch_execz .LBB84_114
; %bb.109:                              ;   in Loop: Header=BB84_89 Depth=1
	v_cmp_neq_f64_e32 vcc, 0, v[30:31]
	v_cmp_neq_f64_e64 s[0:1], 0, v[32:33]
	s_or_b64 s[0:1], s[0:1], vcc
                                        ; implicit-def: $vgpr58_vgpr59
                                        ; implicit-def: $vgpr56_vgpr57
	s_and_saveexec_b64 s[4:5], s[0:1]
	s_xor_b64 s[0:1], exec, s[4:5]
	s_cbranch_execz .LBB84_111
; %bb.110:                              ;   in Loop: Header=BB84_89 Depth=1
	v_div_scale_f64 v[56:57], s[4:5], v[30:31], v[30:31], v[32:33]
	v_rcp_f64_e32 v[58:59], v[56:57]
	v_div_scale_f64 v[60:61], vcc, v[32:33], v[30:31], v[32:33]
	v_fma_f64 v[62:63], -v[56:57], v[58:59], 1.0
	v_fmac_f64_e32 v[58:59], v[58:59], v[62:63]
	v_fma_f64 v[62:63], -v[56:57], v[58:59], 1.0
	v_fmac_f64_e32 v[58:59], v[58:59], v[62:63]
	v_mul_f64 v[62:63], v[60:61], v[58:59]
	v_fma_f64 v[56:57], -v[56:57], v[62:63], v[60:61]
	v_div_fmas_f64 v[56:57], v[56:57], v[58:59], v[62:63]
	v_div_fixup_f64 v[58:59], v[56:57], v[30:31], v[32:33]
	v_fmac_f64_e32 v[30:31], v[32:33], v[58:59]
	v_div_scale_f64 v[32:33], s[4:5], v[30:31], v[30:31], 1.0
	v_rcp_f64_e32 v[56:57], v[32:33]
	v_fma_f64 v[60:61], -v[32:33], v[56:57], 1.0
	v_fmac_f64_e32 v[56:57], v[56:57], v[60:61]
	v_fma_f64 v[60:61], -v[32:33], v[56:57], 1.0
	v_fmac_f64_e32 v[56:57], v[56:57], v[60:61]
	v_div_scale_f64 v[60:61], vcc, 1.0, v[30:31], 1.0
	v_mul_f64 v[62:63], v[60:61], v[56:57]
	v_fma_f64 v[32:33], -v[32:33], v[62:63], v[60:61]
                                        ; implicit-def: $vgpr60_vgpr61
	s_nop 1
	v_div_fmas_f64 v[32:33], v[32:33], v[56:57], v[62:63]
	v_div_fixup_f64 v[30:31], v[32:33], v[30:31], 1.0
	v_pk_mov_b32 v[32:33], s[12:13], s[12:13] op_sel:[0,1]
	v_fma_f64 v[32:33], s[14:15], v[58:59], v[32:33]
	v_mul_f64 v[56:57], v[32:33], v[30:31]
	v_pk_mov_b32 v[32:33], s[14:15], s[14:15] op_sel:[0,1]
	v_fma_f64 v[32:33], -s[12:13], v[58:59], v[32:33]
	v_mul_f64 v[58:59], v[32:33], v[30:31]
                                        ; implicit-def: $vgpr62_vgpr63
.LBB84_111:                             ;   in Loop: Header=BB84_89 Depth=1
	s_andn2_saveexec_b64 s[0:1], s[0:1]
	s_cbranch_execz .LBB84_113
; %bb.112:                              ;   in Loop: Header=BB84_89 Depth=1
	v_div_scale_f64 v[30:31], s[4:5], v[62:63], v[62:63], s[12:13]
	v_rcp_f64_e32 v[32:33], v[30:31]
	v_div_scale_f64 v[64:65], s[4:5], v[60:61], v[60:61], s[14:15]
	v_div_scale_f64 v[56:57], vcc, s[12:13], v[62:63], s[12:13]
	v_fma_f64 v[58:59], -v[30:31], v[32:33], 1.0
	v_fmac_f64_e32 v[32:33], v[32:33], v[58:59]
	v_fma_f64 v[58:59], -v[30:31], v[32:33], 1.0
	v_fmac_f64_e32 v[32:33], v[32:33], v[58:59]
	v_rcp_f64_e32 v[66:67], v[64:65]
	v_mul_f64 v[58:59], v[56:57], v[32:33]
	v_fma_f64 v[30:31], -v[30:31], v[58:59], v[56:57]
	v_div_fmas_f64 v[30:31], v[30:31], v[32:33], v[58:59]
	v_div_fixup_f64 v[56:57], v[30:31], v[62:63], s[12:13]
	v_fma_f64 v[30:31], -v[64:65], v[66:67], 1.0
	v_fmac_f64_e32 v[66:67], v[66:67], v[30:31]
	v_fma_f64 v[30:31], -v[64:65], v[66:67], 1.0
	v_fmac_f64_e32 v[66:67], v[66:67], v[30:31]
	v_div_scale_f64 v[30:31], vcc, s[14:15], v[60:61], s[14:15]
	v_mul_f64 v[32:33], v[30:31], v[66:67]
	v_fma_f64 v[30:31], -v[64:65], v[32:33], v[30:31]
	s_nop 1
	v_div_fmas_f64 v[30:31], v[30:31], v[66:67], v[32:33]
	v_div_fixup_f64 v[58:59], v[30:31], v[60:61], s[14:15]
.LBB84_113:                             ;   in Loop: Header=BB84_89 Depth=1
	s_or_b64 exec, exec, s[0:1]
                                        ; implicit-def: $vgpr32_vgpr33
.LBB84_114:                             ;   in Loop: Header=BB84_89 Depth=1
	s_andn2_saveexec_b64 s[0:1], s[2:3]
	s_cbranch_execz .LBB84_116
; %bb.115:                              ;   in Loop: Header=BB84_89 Depth=1
	v_div_scale_f64 v[56:57], s[2:3], v[32:33], v[32:33], v[30:31]
	v_rcp_f64_e32 v[58:59], v[56:57]
	v_div_scale_f64 v[60:61], vcc, v[30:31], v[32:33], v[30:31]
	v_fma_f64 v[62:63], -v[56:57], v[58:59], 1.0
	v_fmac_f64_e32 v[58:59], v[58:59], v[62:63]
	v_fma_f64 v[62:63], -v[56:57], v[58:59], 1.0
	v_fmac_f64_e32 v[58:59], v[58:59], v[62:63]
	v_mul_f64 v[62:63], v[60:61], v[58:59]
	v_fma_f64 v[56:57], -v[56:57], v[62:63], v[60:61]
	v_div_fmas_f64 v[56:57], v[56:57], v[58:59], v[62:63]
	v_div_fixup_f64 v[58:59], v[56:57], v[32:33], v[30:31]
	v_fmac_f64_e32 v[32:33], v[30:31], v[58:59]
	v_div_scale_f64 v[30:31], s[2:3], v[32:33], v[32:33], 1.0
	v_rcp_f64_e32 v[56:57], v[30:31]
	v_fma_f64 v[60:61], -v[30:31], v[56:57], 1.0
	v_fmac_f64_e32 v[56:57], v[56:57], v[60:61]
	v_fma_f64 v[60:61], -v[30:31], v[56:57], 1.0
	v_fmac_f64_e32 v[56:57], v[56:57], v[60:61]
	v_div_scale_f64 v[60:61], vcc, 1.0, v[32:33], 1.0
	v_mul_f64 v[62:63], v[60:61], v[56:57]
	v_fma_f64 v[30:31], -v[30:31], v[62:63], v[60:61]
	s_nop 1
	v_div_fmas_f64 v[30:31], v[30:31], v[56:57], v[62:63]
	v_div_fixup_f64 v[30:31], v[30:31], v[32:33], 1.0
	v_pk_mov_b32 v[32:33], s[14:15], s[14:15] op_sel:[0,1]
	v_fma_f64 v[32:33], s[12:13], v[58:59], v[32:33]
	v_mul_f64 v[56:57], v[32:33], v[30:31]
	v_pk_mov_b32 v[32:33], s[12:13], s[12:13] op_sel:[0,1]
	v_fma_f64 v[32:33], s[14:15], v[58:59], -v[32:33]
	v_mul_f64 v[58:59], v[32:33], v[30:31]
.LBB84_116:                             ;   in Loop: Header=BB84_89 Depth=1
	s_or_b64 exec, exec, s[0:1]
.LBB84_117:                             ;   in Loop: Header=BB84_89 Depth=1
	v_xor_b32_e32 v30, 0x80000000, v27
	v_cmp_gt_f64_e32 vcc, 0, v[26:27]
	v_cndmask_b32_e32 v63, v27, v30, vcc
	v_cndmask_b32_e32 v62, v26, v26, vcc
	v_xor_b32_e32 v30, 0x80000000, v29
	v_cmp_gt_f64_e32 vcc, 0, v[28:29]
	v_cndmask_b32_e32 v61, v29, v30, vcc
	v_cndmask_b32_e32 v60, v28, v28, vcc
	v_cndmask_b32_e64 v30, 0, 1, s[6:7]
	v_cmp_ne_u32_e64 s[0:1], 1, v30
	s_andn2_b64 vcc, exec, s[6:7]
	v_cmp_ge_f64_e64 s[2:3], v[62:63], v[60:61]
	s_cbranch_vccnz .LBB84_127
; %bb.118:                              ;   in Loop: Header=BB84_89 Depth=1
                                        ; implicit-def: $vgpr32_vgpr33
                                        ; implicit-def: $vgpr64_vgpr65
	s_and_saveexec_b64 s[4:5], s[2:3]
	s_xor_b64 s[28:29], exec, s[4:5]
	s_cbranch_execz .LBB84_124
; %bb.119:                              ;   in Loop: Header=BB84_89 Depth=1
	v_cmp_neq_f64_e32 vcc, 0, v[26:27]
	v_cmp_neq_f64_e64 s[4:5], 0, v[28:29]
	s_or_b64 s[4:5], s[4:5], vcc
                                        ; implicit-def: $vgpr32_vgpr33
                                        ; implicit-def: $vgpr64_vgpr65
	s_and_saveexec_b64 s[40:41], s[4:5]
	s_xor_b64 s[4:5], exec, s[40:41]
	s_cbranch_execz .LBB84_121
; %bb.120:                              ;   in Loop: Header=BB84_89 Depth=1
	v_div_scale_f64 v[30:31], s[40:41], v[26:27], v[26:27], v[28:29]
	v_rcp_f64_e32 v[32:33], v[30:31]
	v_div_scale_f64 v[64:65], vcc, v[28:29], v[26:27], v[28:29]
	v_fma_f64 v[66:67], -v[30:31], v[32:33], 1.0
	v_fmac_f64_e32 v[32:33], v[32:33], v[66:67]
	v_fma_f64 v[66:67], -v[30:31], v[32:33], 1.0
	v_fmac_f64_e32 v[32:33], v[32:33], v[66:67]
	v_mul_f64 v[66:67], v[64:65], v[32:33]
	v_fma_f64 v[30:31], -v[30:31], v[66:67], v[64:65]
	v_div_fmas_f64 v[30:31], v[30:31], v[32:33], v[66:67]
	v_div_fixup_f64 v[30:31], v[30:31], v[26:27], v[28:29]
	v_fma_f64 v[32:33], v[28:29], v[30:31], v[26:27]
	v_div_scale_f64 v[64:65], s[40:41], v[32:33], v[32:33], 1.0
	v_rcp_f64_e32 v[66:67], v[64:65]
	v_fma_f64 v[68:69], -v[64:65], v[66:67], 1.0
	v_fmac_f64_e32 v[66:67], v[66:67], v[68:69]
	v_fma_f64 v[68:69], -v[64:65], v[66:67], 1.0
	v_fmac_f64_e32 v[66:67], v[66:67], v[68:69]
	v_div_scale_f64 v[68:69], vcc, 1.0, v[32:33], 1.0
	v_mul_f64 v[70:71], v[68:69], v[66:67]
	v_fma_f64 v[64:65], -v[64:65], v[70:71], v[68:69]
	s_nop 1
	v_div_fmas_f64 v[64:65], v[64:65], v[66:67], v[70:71]
	v_div_fixup_f64 v[32:33], v[64:65], v[32:33], 1.0
	v_pk_mov_b32 v[64:65], s[12:13], s[12:13] op_sel:[0,1]
	v_pk_mov_b32 v[66:67], s[14:15], s[14:15] op_sel:[0,1]
	v_fma_f64 v[64:65], s[14:15], v[30:31], v[64:65]
	v_fma_f64 v[30:31], -s[12:13], v[30:31], v[66:67]
	v_mul_f64 v[64:65], v[64:65], v[32:33]
	v_mul_f64 v[32:33], v[30:31], v[32:33]
.LBB84_121:                             ;   in Loop: Header=BB84_89 Depth=1
	s_andn2_saveexec_b64 s[4:5], s[4:5]
	s_cbranch_execz .LBB84_123
; %bb.122:                              ;   in Loop: Header=BB84_89 Depth=1
	v_div_scale_f64 v[30:31], s[40:41], v[62:63], v[62:63], s[12:13]
	v_rcp_f64_e32 v[32:33], v[30:31]
	v_div_scale_f64 v[68:69], s[40:41], v[60:61], v[60:61], s[14:15]
	v_div_scale_f64 v[64:65], vcc, s[12:13], v[62:63], s[12:13]
	v_fma_f64 v[66:67], -v[30:31], v[32:33], 1.0
	v_fmac_f64_e32 v[32:33], v[32:33], v[66:67]
	v_fma_f64 v[66:67], -v[30:31], v[32:33], 1.0
	v_fmac_f64_e32 v[32:33], v[32:33], v[66:67]
	v_rcp_f64_e32 v[70:71], v[68:69]
	v_mul_f64 v[66:67], v[64:65], v[32:33]
	v_fma_f64 v[30:31], -v[30:31], v[66:67], v[64:65]
	v_div_fmas_f64 v[30:31], v[30:31], v[32:33], v[66:67]
	v_div_fixup_f64 v[64:65], v[30:31], v[62:63], s[12:13]
	v_fma_f64 v[30:31], -v[68:69], v[70:71], 1.0
	v_fmac_f64_e32 v[70:71], v[70:71], v[30:31]
	v_fma_f64 v[30:31], -v[68:69], v[70:71], 1.0
	v_fmac_f64_e32 v[70:71], v[70:71], v[30:31]
	v_div_scale_f64 v[30:31], vcc, s[14:15], v[60:61], s[14:15]
	v_mul_f64 v[32:33], v[30:31], v[70:71]
	v_fma_f64 v[30:31], -v[68:69], v[32:33], v[30:31]
	s_nop 1
	v_div_fmas_f64 v[30:31], v[30:31], v[70:71], v[32:33]
	v_div_fixup_f64 v[32:33], v[30:31], v[60:61], s[14:15]
.LBB84_123:                             ;   in Loop: Header=BB84_89 Depth=1
	s_or_b64 exec, exec, s[4:5]
.LBB84_124:                             ;   in Loop: Header=BB84_89 Depth=1
	s_andn2_saveexec_b64 s[4:5], s[28:29]
	s_cbranch_execz .LBB84_126
; %bb.125:                              ;   in Loop: Header=BB84_89 Depth=1
	v_div_scale_f64 v[30:31], s[28:29], v[28:29], v[28:29], v[26:27]
	v_rcp_f64_e32 v[32:33], v[30:31]
	v_div_scale_f64 v[64:65], vcc, v[26:27], v[28:29], v[26:27]
	v_fma_f64 v[66:67], -v[30:31], v[32:33], 1.0
	v_fmac_f64_e32 v[32:33], v[32:33], v[66:67]
	v_fma_f64 v[66:67], -v[30:31], v[32:33], 1.0
	v_fmac_f64_e32 v[32:33], v[32:33], v[66:67]
	v_mul_f64 v[66:67], v[64:65], v[32:33]
	v_fma_f64 v[30:31], -v[30:31], v[66:67], v[64:65]
	v_div_fmas_f64 v[30:31], v[30:31], v[32:33], v[66:67]
	v_div_fixup_f64 v[30:31], v[30:31], v[28:29], v[26:27]
	v_fma_f64 v[32:33], v[26:27], v[30:31], v[28:29]
	v_div_scale_f64 v[64:65], s[28:29], v[32:33], v[32:33], 1.0
	v_rcp_f64_e32 v[66:67], v[64:65]
	v_fma_f64 v[68:69], -v[64:65], v[66:67], 1.0
	v_fmac_f64_e32 v[66:67], v[66:67], v[68:69]
	v_fma_f64 v[68:69], -v[64:65], v[66:67], 1.0
	v_fmac_f64_e32 v[66:67], v[66:67], v[68:69]
	v_div_scale_f64 v[68:69], vcc, 1.0, v[32:33], 1.0
	v_mul_f64 v[70:71], v[68:69], v[66:67]
	v_fma_f64 v[64:65], -v[64:65], v[70:71], v[68:69]
	s_nop 1
	v_div_fmas_f64 v[64:65], v[64:65], v[66:67], v[70:71]
	v_div_fixup_f64 v[32:33], v[64:65], v[32:33], 1.0
	v_pk_mov_b32 v[64:65], s[14:15], s[14:15] op_sel:[0,1]
	v_pk_mov_b32 v[66:67], s[12:13], s[12:13] op_sel:[0,1]
	v_fma_f64 v[64:65], s[12:13], v[30:31], v[64:65]
	v_fma_f64 v[30:31], s[14:15], v[30:31], -v[66:67]
	v_mul_f64 v[64:65], v[64:65], v[32:33]
	v_mul_f64 v[32:33], v[30:31], v[32:33]
.LBB84_126:                             ;   in Loop: Header=BB84_89 Depth=1
	s_or_b64 exec, exec, s[4:5]
	v_mul_f64 v[30:31], s[10:11], v[32:33]
	v_mul_f64 v[32:33], s[8:9], v[32:33]
	v_fma_f64 v[30:31], s[8:9], v[64:65], -v[30:31]
	v_fmac_f64_e32 v[32:33], s[10:11], v[64:65]
	s_branch .LBB84_137
.LBB84_127:                             ;   in Loop: Header=BB84_89 Depth=1
                                        ; implicit-def: $vgpr32_vgpr33
                                        ; implicit-def: $vgpr30_vgpr31
	s_cbranch_execz .LBB84_137
; %bb.128:                              ;   in Loop: Header=BB84_89 Depth=1
                                        ; implicit-def: $vgpr32_vgpr33
                                        ; implicit-def: $vgpr30_vgpr31
	s_and_saveexec_b64 s[4:5], s[2:3]
	s_xor_b64 s[4:5], exec, s[4:5]
	s_cbranch_execz .LBB84_134
; %bb.129:                              ;   in Loop: Header=BB84_89 Depth=1
	v_cmp_neq_f64_e32 vcc, 0, v[26:27]
	v_cmp_neq_f64_e64 s[2:3], 0, v[28:29]
	s_or_b64 s[2:3], s[2:3], vcc
                                        ; implicit-def: $vgpr32_vgpr33
                                        ; implicit-def: $vgpr30_vgpr31
	s_and_saveexec_b64 s[28:29], s[2:3]
	s_xor_b64 s[2:3], exec, s[28:29]
	s_cbranch_execz .LBB84_131
; %bb.130:                              ;   in Loop: Header=BB84_89 Depth=1
	v_div_scale_f64 v[30:31], s[28:29], v[26:27], v[26:27], v[28:29]
	v_rcp_f64_e32 v[32:33], v[30:31]
	v_div_scale_f64 v[60:61], vcc, v[28:29], v[26:27], v[28:29]
	v_fma_f64 v[62:63], -v[30:31], v[32:33], 1.0
	v_fmac_f64_e32 v[32:33], v[32:33], v[62:63]
	v_fma_f64 v[62:63], -v[30:31], v[32:33], 1.0
	v_fmac_f64_e32 v[32:33], v[32:33], v[62:63]
	v_mul_f64 v[62:63], v[60:61], v[32:33]
	v_fma_f64 v[30:31], -v[30:31], v[62:63], v[60:61]
	v_div_fmas_f64 v[30:31], v[30:31], v[32:33], v[62:63]
	v_div_fixup_f64 v[32:33], v[30:31], v[26:27], v[28:29]
	v_fmac_f64_e32 v[26:27], v[28:29], v[32:33]
	v_div_scale_f64 v[28:29], s[28:29], v[26:27], v[26:27], 1.0
	v_rcp_f64_e32 v[30:31], v[28:29]
	v_fma_f64 v[60:61], -v[28:29], v[30:31], 1.0
	v_fmac_f64_e32 v[30:31], v[30:31], v[60:61]
	v_fma_f64 v[60:61], -v[28:29], v[30:31], 1.0
	v_fmac_f64_e32 v[30:31], v[30:31], v[60:61]
	v_div_scale_f64 v[60:61], vcc, 1.0, v[26:27], 1.0
	v_mul_f64 v[62:63], v[60:61], v[30:31]
	v_fma_f64 v[28:29], -v[28:29], v[62:63], v[60:61]
                                        ; implicit-def: $vgpr60_vgpr61
	s_nop 1
	v_div_fmas_f64 v[28:29], v[28:29], v[30:31], v[62:63]
	v_div_fixup_f64 v[26:27], v[28:29], v[26:27], 1.0
	v_pk_mov_b32 v[28:29], s[12:13], s[12:13] op_sel:[0,1]
	v_fma_f64 v[28:29], s[14:15], v[32:33], v[28:29]
	v_mul_f64 v[30:31], v[28:29], v[26:27]
	v_pk_mov_b32 v[28:29], s[14:15], s[14:15] op_sel:[0,1]
	v_fma_f64 v[28:29], -s[12:13], v[32:33], v[28:29]
	v_mul_f64 v[32:33], v[28:29], v[26:27]
                                        ; implicit-def: $vgpr62_vgpr63
.LBB84_131:                             ;   in Loop: Header=BB84_89 Depth=1
	s_andn2_saveexec_b64 s[2:3], s[2:3]
	s_cbranch_execz .LBB84_133
; %bb.132:                              ;   in Loop: Header=BB84_89 Depth=1
	v_div_scale_f64 v[26:27], s[28:29], v[62:63], v[62:63], s[12:13]
	v_rcp_f64_e32 v[28:29], v[26:27]
	v_div_scale_f64 v[64:65], s[28:29], v[60:61], v[60:61], s[14:15]
	v_div_scale_f64 v[30:31], vcc, s[12:13], v[62:63], s[12:13]
	v_fma_f64 v[32:33], -v[26:27], v[28:29], 1.0
	v_fmac_f64_e32 v[28:29], v[28:29], v[32:33]
	v_fma_f64 v[32:33], -v[26:27], v[28:29], 1.0
	v_fmac_f64_e32 v[28:29], v[28:29], v[32:33]
	v_rcp_f64_e32 v[66:67], v[64:65]
	v_mul_f64 v[32:33], v[30:31], v[28:29]
	v_fma_f64 v[26:27], -v[26:27], v[32:33], v[30:31]
	v_div_fmas_f64 v[26:27], v[26:27], v[28:29], v[32:33]
	v_div_fixup_f64 v[30:31], v[26:27], v[62:63], s[12:13]
	v_fma_f64 v[26:27], -v[64:65], v[66:67], 1.0
	v_fmac_f64_e32 v[66:67], v[66:67], v[26:27]
	v_fma_f64 v[26:27], -v[64:65], v[66:67], 1.0
	v_fmac_f64_e32 v[66:67], v[66:67], v[26:27]
	v_div_scale_f64 v[26:27], vcc, s[14:15], v[60:61], s[14:15]
	v_mul_f64 v[28:29], v[26:27], v[66:67]
	v_fma_f64 v[26:27], -v[64:65], v[28:29], v[26:27]
	s_nop 1
	v_div_fmas_f64 v[26:27], v[26:27], v[66:67], v[28:29]
	v_div_fixup_f64 v[32:33], v[26:27], v[60:61], s[14:15]
.LBB84_133:                             ;   in Loop: Header=BB84_89 Depth=1
	s_or_b64 exec, exec, s[2:3]
                                        ; implicit-def: $vgpr28_vgpr29
.LBB84_134:                             ;   in Loop: Header=BB84_89 Depth=1
	s_andn2_saveexec_b64 s[2:3], s[4:5]
	s_cbranch_execz .LBB84_136
; %bb.135:                              ;   in Loop: Header=BB84_89 Depth=1
	v_div_scale_f64 v[30:31], s[4:5], v[28:29], v[28:29], v[26:27]
	v_rcp_f64_e32 v[32:33], v[30:31]
	v_div_scale_f64 v[60:61], vcc, v[26:27], v[28:29], v[26:27]
	v_fma_f64 v[62:63], -v[30:31], v[32:33], 1.0
	v_fmac_f64_e32 v[32:33], v[32:33], v[62:63]
	v_fma_f64 v[62:63], -v[30:31], v[32:33], 1.0
	v_fmac_f64_e32 v[32:33], v[32:33], v[62:63]
	v_mul_f64 v[62:63], v[60:61], v[32:33]
	v_fma_f64 v[30:31], -v[30:31], v[62:63], v[60:61]
	v_div_fmas_f64 v[30:31], v[30:31], v[32:33], v[62:63]
	v_div_fixup_f64 v[32:33], v[30:31], v[28:29], v[26:27]
	v_fmac_f64_e32 v[28:29], v[26:27], v[32:33]
	v_div_scale_f64 v[26:27], s[4:5], v[28:29], v[28:29], 1.0
	v_rcp_f64_e32 v[30:31], v[26:27]
	v_fma_f64 v[60:61], -v[26:27], v[30:31], 1.0
	v_fmac_f64_e32 v[30:31], v[30:31], v[60:61]
	v_fma_f64 v[60:61], -v[26:27], v[30:31], 1.0
	v_fmac_f64_e32 v[30:31], v[30:31], v[60:61]
	v_div_scale_f64 v[60:61], vcc, 1.0, v[28:29], 1.0
	v_mul_f64 v[62:63], v[60:61], v[30:31]
	v_fma_f64 v[26:27], -v[26:27], v[62:63], v[60:61]
	s_nop 1
	v_div_fmas_f64 v[26:27], v[26:27], v[30:31], v[62:63]
	v_div_fixup_f64 v[26:27], v[26:27], v[28:29], 1.0
	v_pk_mov_b32 v[28:29], s[14:15], s[14:15] op_sel:[0,1]
	v_fma_f64 v[28:29], s[12:13], v[32:33], v[28:29]
	v_mul_f64 v[30:31], v[28:29], v[26:27]
	v_pk_mov_b32 v[28:29], s[12:13], s[12:13] op_sel:[0,1]
	v_fma_f64 v[28:29], s[14:15], v[32:33], -v[28:29]
	v_mul_f64 v[32:33], v[28:29], v[26:27]
.LBB84_136:                             ;   in Loop: Header=BB84_89 Depth=1
	s_or_b64 exec, exec, s[2:3]
.LBB84_137:                             ;   in Loop: Header=BB84_89 Depth=1
	v_xor_b32_e32 v26, 0x80000000, v23
	v_cmp_gt_f64_e32 vcc, 0, v[22:23]
	v_cndmask_b32_e32 v63, v23, v26, vcc
	v_cndmask_b32_e32 v62, v22, v22, vcc
	v_xor_b32_e32 v26, 0x80000000, v25
	v_cmp_gt_f64_e32 vcc, 0, v[24:25]
	v_cndmask_b32_e32 v61, v25, v26, vcc
	v_cndmask_b32_e32 v60, v24, v24, vcc
	s_and_b64 vcc, exec, s[0:1]
	v_cmp_ge_f64_e64 s[2:3], v[62:63], v[60:61]
	s_cbranch_vccnz .LBB84_147
; %bb.138:                              ;   in Loop: Header=BB84_89 Depth=1
                                        ; implicit-def: $vgpr28_vgpr29
                                        ; implicit-def: $vgpr64_vgpr65
	s_and_saveexec_b64 s[4:5], s[2:3]
	s_xor_b64 s[28:29], exec, s[4:5]
	s_cbranch_execz .LBB84_144
; %bb.139:                              ;   in Loop: Header=BB84_89 Depth=1
	v_cmp_neq_f64_e32 vcc, 0, v[22:23]
	v_cmp_neq_f64_e64 s[4:5], 0, v[24:25]
	s_or_b64 s[4:5], s[4:5], vcc
                                        ; implicit-def: $vgpr28_vgpr29
                                        ; implicit-def: $vgpr64_vgpr65
	s_and_saveexec_b64 s[40:41], s[4:5]
	s_xor_b64 s[4:5], exec, s[40:41]
	s_cbranch_execz .LBB84_141
; %bb.140:                              ;   in Loop: Header=BB84_89 Depth=1
	v_div_scale_f64 v[26:27], s[40:41], v[22:23], v[22:23], v[24:25]
	v_rcp_f64_e32 v[28:29], v[26:27]
	v_div_scale_f64 v[64:65], vcc, v[24:25], v[22:23], v[24:25]
	v_fma_f64 v[66:67], -v[26:27], v[28:29], 1.0
	v_fmac_f64_e32 v[28:29], v[28:29], v[66:67]
	v_fma_f64 v[66:67], -v[26:27], v[28:29], 1.0
	v_fmac_f64_e32 v[28:29], v[28:29], v[66:67]
	v_mul_f64 v[66:67], v[64:65], v[28:29]
	v_fma_f64 v[26:27], -v[26:27], v[66:67], v[64:65]
	v_div_fmas_f64 v[26:27], v[26:27], v[28:29], v[66:67]
	v_div_fixup_f64 v[26:27], v[26:27], v[22:23], v[24:25]
	v_fma_f64 v[28:29], v[24:25], v[26:27], v[22:23]
	v_div_scale_f64 v[64:65], s[40:41], v[28:29], v[28:29], 1.0
	v_rcp_f64_e32 v[66:67], v[64:65]
	v_fma_f64 v[68:69], -v[64:65], v[66:67], 1.0
	v_fmac_f64_e32 v[66:67], v[66:67], v[68:69]
	v_fma_f64 v[68:69], -v[64:65], v[66:67], 1.0
	v_fmac_f64_e32 v[66:67], v[66:67], v[68:69]
	v_div_scale_f64 v[68:69], vcc, 1.0, v[28:29], 1.0
	v_mul_f64 v[70:71], v[68:69], v[66:67]
	v_fma_f64 v[64:65], -v[64:65], v[70:71], v[68:69]
	s_nop 1
	v_div_fmas_f64 v[64:65], v[64:65], v[66:67], v[70:71]
	v_div_fixup_f64 v[28:29], v[64:65], v[28:29], 1.0
	v_pk_mov_b32 v[64:65], s[12:13], s[12:13] op_sel:[0,1]
	v_pk_mov_b32 v[66:67], s[14:15], s[14:15] op_sel:[0,1]
	v_fma_f64 v[64:65], s[14:15], v[26:27], v[64:65]
	v_fma_f64 v[26:27], -s[12:13], v[26:27], v[66:67]
	v_mul_f64 v[64:65], v[64:65], v[28:29]
	v_mul_f64 v[28:29], v[26:27], v[28:29]
.LBB84_141:                             ;   in Loop: Header=BB84_89 Depth=1
	s_andn2_saveexec_b64 s[4:5], s[4:5]
	s_cbranch_execz .LBB84_143
; %bb.142:                              ;   in Loop: Header=BB84_89 Depth=1
	v_div_scale_f64 v[26:27], s[40:41], v[62:63], v[62:63], s[12:13]
	v_rcp_f64_e32 v[28:29], v[26:27]
	v_div_scale_f64 v[68:69], s[40:41], v[60:61], v[60:61], s[14:15]
	v_div_scale_f64 v[64:65], vcc, s[12:13], v[62:63], s[12:13]
	v_fma_f64 v[66:67], -v[26:27], v[28:29], 1.0
	v_fmac_f64_e32 v[28:29], v[28:29], v[66:67]
	v_fma_f64 v[66:67], -v[26:27], v[28:29], 1.0
	v_fmac_f64_e32 v[28:29], v[28:29], v[66:67]
	v_rcp_f64_e32 v[70:71], v[68:69]
	v_mul_f64 v[66:67], v[64:65], v[28:29]
	v_fma_f64 v[26:27], -v[26:27], v[66:67], v[64:65]
	v_div_fmas_f64 v[26:27], v[26:27], v[28:29], v[66:67]
	v_div_fixup_f64 v[64:65], v[26:27], v[62:63], s[12:13]
	v_fma_f64 v[26:27], -v[68:69], v[70:71], 1.0
	v_fmac_f64_e32 v[70:71], v[70:71], v[26:27]
	v_fma_f64 v[26:27], -v[68:69], v[70:71], 1.0
	v_fmac_f64_e32 v[70:71], v[70:71], v[26:27]
	v_div_scale_f64 v[26:27], vcc, s[14:15], v[60:61], s[14:15]
	v_mul_f64 v[28:29], v[26:27], v[70:71]
	v_fma_f64 v[26:27], -v[68:69], v[28:29], v[26:27]
	s_nop 1
	v_div_fmas_f64 v[26:27], v[26:27], v[70:71], v[28:29]
	v_div_fixup_f64 v[28:29], v[26:27], v[60:61], s[14:15]
.LBB84_143:                             ;   in Loop: Header=BB84_89 Depth=1
	s_or_b64 exec, exec, s[4:5]
.LBB84_144:                             ;   in Loop: Header=BB84_89 Depth=1
	s_andn2_saveexec_b64 s[4:5], s[28:29]
	s_cbranch_execz .LBB84_146
; %bb.145:                              ;   in Loop: Header=BB84_89 Depth=1
	v_div_scale_f64 v[26:27], s[28:29], v[24:25], v[24:25], v[22:23]
	v_rcp_f64_e32 v[28:29], v[26:27]
	v_div_scale_f64 v[64:65], vcc, v[22:23], v[24:25], v[22:23]
	v_fma_f64 v[66:67], -v[26:27], v[28:29], 1.0
	v_fmac_f64_e32 v[28:29], v[28:29], v[66:67]
	v_fma_f64 v[66:67], -v[26:27], v[28:29], 1.0
	v_fmac_f64_e32 v[28:29], v[28:29], v[66:67]
	v_mul_f64 v[66:67], v[64:65], v[28:29]
	v_fma_f64 v[26:27], -v[26:27], v[66:67], v[64:65]
	v_div_fmas_f64 v[26:27], v[26:27], v[28:29], v[66:67]
	v_div_fixup_f64 v[26:27], v[26:27], v[24:25], v[22:23]
	v_fma_f64 v[28:29], v[22:23], v[26:27], v[24:25]
	v_div_scale_f64 v[64:65], s[28:29], v[28:29], v[28:29], 1.0
	v_rcp_f64_e32 v[66:67], v[64:65]
	v_fma_f64 v[68:69], -v[64:65], v[66:67], 1.0
	v_fmac_f64_e32 v[66:67], v[66:67], v[68:69]
	v_fma_f64 v[68:69], -v[64:65], v[66:67], 1.0
	v_fmac_f64_e32 v[66:67], v[66:67], v[68:69]
	v_div_scale_f64 v[68:69], vcc, 1.0, v[28:29], 1.0
	v_mul_f64 v[70:71], v[68:69], v[66:67]
	v_fma_f64 v[64:65], -v[64:65], v[70:71], v[68:69]
	s_nop 1
	v_div_fmas_f64 v[64:65], v[64:65], v[66:67], v[70:71]
	v_div_fixup_f64 v[28:29], v[64:65], v[28:29], 1.0
	v_pk_mov_b32 v[64:65], s[14:15], s[14:15] op_sel:[0,1]
	v_pk_mov_b32 v[66:67], s[12:13], s[12:13] op_sel:[0,1]
	v_fma_f64 v[64:65], s[12:13], v[26:27], v[64:65]
	v_fma_f64 v[26:27], s[14:15], v[26:27], -v[66:67]
	v_mul_f64 v[64:65], v[64:65], v[28:29]
	v_mul_f64 v[28:29], v[26:27], v[28:29]
.LBB84_146:                             ;   in Loop: Header=BB84_89 Depth=1
	s_or_b64 exec, exec, s[4:5]
	v_mul_f64 v[26:27], s[10:11], v[28:29]
	v_mul_f64 v[28:29], s[8:9], v[28:29]
	v_fma_f64 v[26:27], s[8:9], v[64:65], -v[26:27]
	v_fmac_f64_e32 v[28:29], s[10:11], v[64:65]
	s_branch .LBB84_157
.LBB84_147:                             ;   in Loop: Header=BB84_89 Depth=1
                                        ; implicit-def: $vgpr28_vgpr29
                                        ; implicit-def: $vgpr26_vgpr27
	s_cbranch_execz .LBB84_157
; %bb.148:                              ;   in Loop: Header=BB84_89 Depth=1
                                        ; implicit-def: $vgpr28_vgpr29
                                        ; implicit-def: $vgpr26_vgpr27
	s_and_saveexec_b64 s[4:5], s[2:3]
	s_xor_b64 s[4:5], exec, s[4:5]
	s_cbranch_execz .LBB84_154
; %bb.149:                              ;   in Loop: Header=BB84_89 Depth=1
	v_cmp_neq_f64_e32 vcc, 0, v[22:23]
	v_cmp_neq_f64_e64 s[2:3], 0, v[24:25]
	s_or_b64 s[2:3], s[2:3], vcc
                                        ; implicit-def: $vgpr28_vgpr29
                                        ; implicit-def: $vgpr26_vgpr27
	s_and_saveexec_b64 s[28:29], s[2:3]
	s_xor_b64 s[2:3], exec, s[28:29]
	s_cbranch_execz .LBB84_151
; %bb.150:                              ;   in Loop: Header=BB84_89 Depth=1
	v_div_scale_f64 v[26:27], s[28:29], v[22:23], v[22:23], v[24:25]
	v_rcp_f64_e32 v[28:29], v[26:27]
	v_div_scale_f64 v[60:61], vcc, v[24:25], v[22:23], v[24:25]
	v_fma_f64 v[62:63], -v[26:27], v[28:29], 1.0
	v_fmac_f64_e32 v[28:29], v[28:29], v[62:63]
	v_fma_f64 v[62:63], -v[26:27], v[28:29], 1.0
	v_fmac_f64_e32 v[28:29], v[28:29], v[62:63]
	v_mul_f64 v[62:63], v[60:61], v[28:29]
	v_fma_f64 v[26:27], -v[26:27], v[62:63], v[60:61]
	v_div_fmas_f64 v[26:27], v[26:27], v[28:29], v[62:63]
	v_div_fixup_f64 v[28:29], v[26:27], v[22:23], v[24:25]
	v_fmac_f64_e32 v[22:23], v[24:25], v[28:29]
	v_div_scale_f64 v[24:25], s[28:29], v[22:23], v[22:23], 1.0
	v_rcp_f64_e32 v[26:27], v[24:25]
	v_fma_f64 v[60:61], -v[24:25], v[26:27], 1.0
	v_fmac_f64_e32 v[26:27], v[26:27], v[60:61]
	v_fma_f64 v[60:61], -v[24:25], v[26:27], 1.0
	v_fmac_f64_e32 v[26:27], v[26:27], v[60:61]
	v_div_scale_f64 v[60:61], vcc, 1.0, v[22:23], 1.0
	v_mul_f64 v[62:63], v[60:61], v[26:27]
	v_fma_f64 v[24:25], -v[24:25], v[62:63], v[60:61]
                                        ; implicit-def: $vgpr60_vgpr61
	s_nop 1
	v_div_fmas_f64 v[24:25], v[24:25], v[26:27], v[62:63]
	v_div_fixup_f64 v[22:23], v[24:25], v[22:23], 1.0
	v_pk_mov_b32 v[24:25], s[12:13], s[12:13] op_sel:[0,1]
	v_fma_f64 v[24:25], s[14:15], v[28:29], v[24:25]
	v_mul_f64 v[26:27], v[24:25], v[22:23]
	v_pk_mov_b32 v[24:25], s[14:15], s[14:15] op_sel:[0,1]
	v_fma_f64 v[24:25], -s[12:13], v[28:29], v[24:25]
	v_mul_f64 v[28:29], v[24:25], v[22:23]
                                        ; implicit-def: $vgpr62_vgpr63
.LBB84_151:                             ;   in Loop: Header=BB84_89 Depth=1
	s_andn2_saveexec_b64 s[2:3], s[2:3]
	s_cbranch_execz .LBB84_153
; %bb.152:                              ;   in Loop: Header=BB84_89 Depth=1
	v_div_scale_f64 v[22:23], s[28:29], v[62:63], v[62:63], s[12:13]
	v_rcp_f64_e32 v[24:25], v[22:23]
	v_div_scale_f64 v[64:65], s[28:29], v[60:61], v[60:61], s[14:15]
	v_div_scale_f64 v[26:27], vcc, s[12:13], v[62:63], s[12:13]
	v_fma_f64 v[28:29], -v[22:23], v[24:25], 1.0
	v_fmac_f64_e32 v[24:25], v[24:25], v[28:29]
	v_fma_f64 v[28:29], -v[22:23], v[24:25], 1.0
	v_fmac_f64_e32 v[24:25], v[24:25], v[28:29]
	v_rcp_f64_e32 v[66:67], v[64:65]
	v_mul_f64 v[28:29], v[26:27], v[24:25]
	v_fma_f64 v[22:23], -v[22:23], v[28:29], v[26:27]
	v_div_fmas_f64 v[22:23], v[22:23], v[24:25], v[28:29]
	v_div_fixup_f64 v[26:27], v[22:23], v[62:63], s[12:13]
	v_fma_f64 v[22:23], -v[64:65], v[66:67], 1.0
	v_fmac_f64_e32 v[66:67], v[66:67], v[22:23]
	v_fma_f64 v[22:23], -v[64:65], v[66:67], 1.0
	v_fmac_f64_e32 v[66:67], v[66:67], v[22:23]
	v_div_scale_f64 v[22:23], vcc, s[14:15], v[60:61], s[14:15]
	v_mul_f64 v[24:25], v[22:23], v[66:67]
	v_fma_f64 v[22:23], -v[64:65], v[24:25], v[22:23]
	s_nop 1
	v_div_fmas_f64 v[22:23], v[22:23], v[66:67], v[24:25]
	v_div_fixup_f64 v[28:29], v[22:23], v[60:61], s[14:15]
.LBB84_153:                             ;   in Loop: Header=BB84_89 Depth=1
	s_or_b64 exec, exec, s[2:3]
                                        ; implicit-def: $vgpr24_vgpr25
.LBB84_154:                             ;   in Loop: Header=BB84_89 Depth=1
	s_andn2_saveexec_b64 s[2:3], s[4:5]
	s_cbranch_execz .LBB84_156
; %bb.155:                              ;   in Loop: Header=BB84_89 Depth=1
	v_div_scale_f64 v[26:27], s[4:5], v[24:25], v[24:25], v[22:23]
	v_rcp_f64_e32 v[28:29], v[26:27]
	v_div_scale_f64 v[60:61], vcc, v[22:23], v[24:25], v[22:23]
	v_fma_f64 v[62:63], -v[26:27], v[28:29], 1.0
	v_fmac_f64_e32 v[28:29], v[28:29], v[62:63]
	v_fma_f64 v[62:63], -v[26:27], v[28:29], 1.0
	v_fmac_f64_e32 v[28:29], v[28:29], v[62:63]
	v_mul_f64 v[62:63], v[60:61], v[28:29]
	v_fma_f64 v[26:27], -v[26:27], v[62:63], v[60:61]
	v_div_fmas_f64 v[26:27], v[26:27], v[28:29], v[62:63]
	v_div_fixup_f64 v[28:29], v[26:27], v[24:25], v[22:23]
	v_fmac_f64_e32 v[24:25], v[22:23], v[28:29]
	v_div_scale_f64 v[22:23], s[4:5], v[24:25], v[24:25], 1.0
	v_rcp_f64_e32 v[26:27], v[22:23]
	v_fma_f64 v[60:61], -v[22:23], v[26:27], 1.0
	v_fmac_f64_e32 v[26:27], v[26:27], v[60:61]
	v_fma_f64 v[60:61], -v[22:23], v[26:27], 1.0
	v_fmac_f64_e32 v[26:27], v[26:27], v[60:61]
	v_div_scale_f64 v[60:61], vcc, 1.0, v[24:25], 1.0
	v_mul_f64 v[62:63], v[60:61], v[26:27]
	v_fma_f64 v[22:23], -v[22:23], v[62:63], v[60:61]
	s_nop 1
	v_div_fmas_f64 v[22:23], v[22:23], v[26:27], v[62:63]
	v_div_fixup_f64 v[22:23], v[22:23], v[24:25], 1.0
	v_pk_mov_b32 v[24:25], s[14:15], s[14:15] op_sel:[0,1]
	v_fma_f64 v[24:25], s[12:13], v[28:29], v[24:25]
	v_mul_f64 v[26:27], v[24:25], v[22:23]
	v_pk_mov_b32 v[24:25], s[12:13], s[12:13] op_sel:[0,1]
	v_fma_f64 v[24:25], s[14:15], v[28:29], -v[24:25]
	v_mul_f64 v[28:29], v[24:25], v[22:23]
.LBB84_156:                             ;   in Loop: Header=BB84_89 Depth=1
	s_or_b64 exec, exec, s[2:3]
.LBB84_157:                             ;   in Loop: Header=BB84_89 Depth=1
	v_xor_b32_e32 v22, 0x80000000, v19
	v_cmp_gt_f64_e32 vcc, 0, v[18:19]
	v_cndmask_b32_e32 v25, v19, v22, vcc
	v_cndmask_b32_e32 v24, v18, v18, vcc
	v_xor_b32_e32 v22, 0x80000000, v21
	v_cmp_gt_f64_e32 vcc, 0, v[20:21]
	v_cndmask_b32_e32 v23, v21, v22, vcc
	v_cndmask_b32_e32 v22, v20, v20, vcc
	s_and_b64 vcc, exec, s[0:1]
	v_cmp_ge_f64_e64 s[0:1], v[24:25], v[22:23]
	s_cbranch_vccnz .LBB84_167
; %bb.158:                              ;   in Loop: Header=BB84_89 Depth=1
                                        ; implicit-def: $vgpr62_vgpr63
                                        ; implicit-def: $vgpr64_vgpr65
	s_and_saveexec_b64 s[2:3], s[0:1]
	s_xor_b64 s[4:5], exec, s[2:3]
	s_cbranch_execz .LBB84_164
; %bb.159:                              ;   in Loop: Header=BB84_89 Depth=1
	v_cmp_neq_f64_e32 vcc, 0, v[18:19]
	v_cmp_neq_f64_e64 s[2:3], 0, v[20:21]
	s_or_b64 s[2:3], s[2:3], vcc
                                        ; implicit-def: $vgpr62_vgpr63
                                        ; implicit-def: $vgpr64_vgpr65
	s_and_saveexec_b64 s[28:29], s[2:3]
	s_xor_b64 s[2:3], exec, s[28:29]
	s_cbranch_execz .LBB84_161
; %bb.160:                              ;   in Loop: Header=BB84_89 Depth=1
	v_div_scale_f64 v[60:61], s[28:29], v[18:19], v[18:19], v[20:21]
	v_rcp_f64_e32 v[62:63], v[60:61]
	v_div_scale_f64 v[64:65], vcc, v[20:21], v[18:19], v[20:21]
	v_fma_f64 v[66:67], -v[60:61], v[62:63], 1.0
	v_fmac_f64_e32 v[62:63], v[62:63], v[66:67]
	v_fma_f64 v[66:67], -v[60:61], v[62:63], 1.0
	v_fmac_f64_e32 v[62:63], v[62:63], v[66:67]
	v_mul_f64 v[66:67], v[64:65], v[62:63]
	v_fma_f64 v[60:61], -v[60:61], v[66:67], v[64:65]
	v_div_fmas_f64 v[60:61], v[60:61], v[62:63], v[66:67]
	v_div_fixup_f64 v[60:61], v[60:61], v[18:19], v[20:21]
	v_fma_f64 v[62:63], v[20:21], v[60:61], v[18:19]
	v_div_scale_f64 v[64:65], s[28:29], v[62:63], v[62:63], 1.0
	v_rcp_f64_e32 v[66:67], v[64:65]
	v_fma_f64 v[68:69], -v[64:65], v[66:67], 1.0
	v_fmac_f64_e32 v[66:67], v[66:67], v[68:69]
	v_fma_f64 v[68:69], -v[64:65], v[66:67], 1.0
	v_fmac_f64_e32 v[66:67], v[66:67], v[68:69]
	v_div_scale_f64 v[68:69], vcc, 1.0, v[62:63], 1.0
	v_mul_f64 v[70:71], v[68:69], v[66:67]
	v_fma_f64 v[64:65], -v[64:65], v[70:71], v[68:69]
	s_nop 1
	v_div_fmas_f64 v[64:65], v[64:65], v[66:67], v[70:71]
	v_div_fixup_f64 v[62:63], v[64:65], v[62:63], 1.0
	v_pk_mov_b32 v[64:65], s[12:13], s[12:13] op_sel:[0,1]
	v_pk_mov_b32 v[66:67], s[14:15], s[14:15] op_sel:[0,1]
	v_fma_f64 v[64:65], s[14:15], v[60:61], v[64:65]
	v_fma_f64 v[60:61], -s[12:13], v[60:61], v[66:67]
	v_mul_f64 v[64:65], v[64:65], v[62:63]
	v_mul_f64 v[62:63], v[60:61], v[62:63]
.LBB84_161:                             ;   in Loop: Header=BB84_89 Depth=1
	s_andn2_saveexec_b64 s[2:3], s[2:3]
	s_cbranch_execz .LBB84_163
; %bb.162:                              ;   in Loop: Header=BB84_89 Depth=1
	v_div_scale_f64 v[60:61], s[28:29], v[24:25], v[24:25], s[12:13]
	v_rcp_f64_e32 v[62:63], v[60:61]
	v_div_scale_f64 v[68:69], s[28:29], v[22:23], v[22:23], s[14:15]
	v_div_scale_f64 v[64:65], vcc, s[12:13], v[24:25], s[12:13]
	v_fma_f64 v[66:67], -v[60:61], v[62:63], 1.0
	v_fmac_f64_e32 v[62:63], v[62:63], v[66:67]
	v_fma_f64 v[66:67], -v[60:61], v[62:63], 1.0
	v_fmac_f64_e32 v[62:63], v[62:63], v[66:67]
	v_rcp_f64_e32 v[70:71], v[68:69]
	v_mul_f64 v[66:67], v[64:65], v[62:63]
	v_fma_f64 v[60:61], -v[60:61], v[66:67], v[64:65]
	v_div_fmas_f64 v[60:61], v[60:61], v[62:63], v[66:67]
	v_div_fixup_f64 v[64:65], v[60:61], v[24:25], s[12:13]
	v_fma_f64 v[60:61], -v[68:69], v[70:71], 1.0
	v_fmac_f64_e32 v[70:71], v[70:71], v[60:61]
	v_fma_f64 v[60:61], -v[68:69], v[70:71], 1.0
	v_fmac_f64_e32 v[70:71], v[70:71], v[60:61]
	v_div_scale_f64 v[60:61], vcc, s[14:15], v[22:23], s[14:15]
	v_mul_f64 v[62:63], v[60:61], v[70:71]
	v_fma_f64 v[60:61], -v[68:69], v[62:63], v[60:61]
	s_nop 1
	v_div_fmas_f64 v[60:61], v[60:61], v[70:71], v[62:63]
	v_div_fixup_f64 v[62:63], v[60:61], v[22:23], s[14:15]
.LBB84_163:                             ;   in Loop: Header=BB84_89 Depth=1
	s_or_b64 exec, exec, s[2:3]
.LBB84_164:                             ;   in Loop: Header=BB84_89 Depth=1
	s_andn2_saveexec_b64 s[2:3], s[4:5]
	s_cbranch_execz .LBB84_166
; %bb.165:                              ;   in Loop: Header=BB84_89 Depth=1
	v_div_scale_f64 v[60:61], s[4:5], v[20:21], v[20:21], v[18:19]
	v_rcp_f64_e32 v[62:63], v[60:61]
	v_div_scale_f64 v[64:65], vcc, v[18:19], v[20:21], v[18:19]
	v_fma_f64 v[66:67], -v[60:61], v[62:63], 1.0
	v_fmac_f64_e32 v[62:63], v[62:63], v[66:67]
	v_fma_f64 v[66:67], -v[60:61], v[62:63], 1.0
	v_fmac_f64_e32 v[62:63], v[62:63], v[66:67]
	v_mul_f64 v[66:67], v[64:65], v[62:63]
	v_fma_f64 v[60:61], -v[60:61], v[66:67], v[64:65]
	v_div_fmas_f64 v[60:61], v[60:61], v[62:63], v[66:67]
	v_div_fixup_f64 v[60:61], v[60:61], v[20:21], v[18:19]
	v_fma_f64 v[62:63], v[18:19], v[60:61], v[20:21]
	v_div_scale_f64 v[64:65], s[4:5], v[62:63], v[62:63], 1.0
	v_rcp_f64_e32 v[66:67], v[64:65]
	v_fma_f64 v[68:69], -v[64:65], v[66:67], 1.0
	v_fmac_f64_e32 v[66:67], v[66:67], v[68:69]
	v_fma_f64 v[68:69], -v[64:65], v[66:67], 1.0
	v_fmac_f64_e32 v[66:67], v[66:67], v[68:69]
	v_div_scale_f64 v[68:69], vcc, 1.0, v[62:63], 1.0
	v_mul_f64 v[70:71], v[68:69], v[66:67]
	v_fma_f64 v[64:65], -v[64:65], v[70:71], v[68:69]
	s_nop 1
	v_div_fmas_f64 v[64:65], v[64:65], v[66:67], v[70:71]
	v_div_fixup_f64 v[62:63], v[64:65], v[62:63], 1.0
	v_pk_mov_b32 v[64:65], s[14:15], s[14:15] op_sel:[0,1]
	v_pk_mov_b32 v[66:67], s[12:13], s[12:13] op_sel:[0,1]
	v_fma_f64 v[64:65], s[12:13], v[60:61], v[64:65]
	v_fma_f64 v[60:61], s[14:15], v[60:61], -v[66:67]
	v_mul_f64 v[64:65], v[64:65], v[62:63]
	v_mul_f64 v[62:63], v[60:61], v[62:63]
.LBB84_166:                             ;   in Loop: Header=BB84_89 Depth=1
	s_or_b64 exec, exec, s[2:3]
	v_mul_f64 v[60:61], s[10:11], v[62:63]
	v_mul_f64 v[62:63], s[8:9], v[62:63]
	v_fma_f64 v[60:61], s[8:9], v[64:65], -v[60:61]
	v_fmac_f64_e32 v[62:63], s[10:11], v[64:65]
	s_branch .LBB84_177
.LBB84_167:                             ;   in Loop: Header=BB84_89 Depth=1
                                        ; implicit-def: $vgpr62_vgpr63
                                        ; implicit-def: $vgpr60_vgpr61
	s_cbranch_execz .LBB84_177
; %bb.168:                              ;   in Loop: Header=BB84_89 Depth=1
                                        ; implicit-def: $vgpr62_vgpr63
                                        ; implicit-def: $vgpr60_vgpr61
	s_and_saveexec_b64 s[2:3], s[0:1]
	s_xor_b64 s[2:3], exec, s[2:3]
	s_cbranch_execz .LBB84_174
; %bb.169:                              ;   in Loop: Header=BB84_89 Depth=1
	v_cmp_neq_f64_e32 vcc, 0, v[18:19]
	v_cmp_neq_f64_e64 s[0:1], 0, v[20:21]
	s_or_b64 s[0:1], s[0:1], vcc
                                        ; implicit-def: $vgpr62_vgpr63
                                        ; implicit-def: $vgpr60_vgpr61
	s_and_saveexec_b64 s[4:5], s[0:1]
	s_xor_b64 s[0:1], exec, s[4:5]
	s_cbranch_execz .LBB84_171
; %bb.170:                              ;   in Loop: Header=BB84_89 Depth=1
	v_div_scale_f64 v[22:23], s[4:5], v[18:19], v[18:19], v[20:21]
	v_rcp_f64_e32 v[24:25], v[22:23]
	v_div_scale_f64 v[60:61], vcc, v[20:21], v[18:19], v[20:21]
	v_fma_f64 v[62:63], -v[22:23], v[24:25], 1.0
	v_fmac_f64_e32 v[24:25], v[24:25], v[62:63]
	v_fma_f64 v[62:63], -v[22:23], v[24:25], 1.0
	v_fmac_f64_e32 v[24:25], v[24:25], v[62:63]
	v_mul_f64 v[62:63], v[60:61], v[24:25]
	v_fma_f64 v[22:23], -v[22:23], v[62:63], v[60:61]
	v_div_fmas_f64 v[22:23], v[22:23], v[24:25], v[62:63]
	v_div_fixup_f64 v[22:23], v[22:23], v[18:19], v[20:21]
	v_fmac_f64_e32 v[18:19], v[20:21], v[22:23]
	v_div_scale_f64 v[20:21], s[4:5], v[18:19], v[18:19], 1.0
	v_rcp_f64_e32 v[24:25], v[20:21]
	v_fma_f64 v[60:61], -v[20:21], v[24:25], 1.0
	v_fmac_f64_e32 v[24:25], v[24:25], v[60:61]
	v_fma_f64 v[60:61], -v[20:21], v[24:25], 1.0
	v_fmac_f64_e32 v[24:25], v[24:25], v[60:61]
	v_div_scale_f64 v[60:61], vcc, 1.0, v[18:19], 1.0
	v_mul_f64 v[62:63], v[60:61], v[24:25]
	v_fma_f64 v[20:21], -v[20:21], v[62:63], v[60:61]
	s_nop 1
	v_div_fmas_f64 v[20:21], v[20:21], v[24:25], v[62:63]
	v_div_fixup_f64 v[18:19], v[20:21], v[18:19], 1.0
	v_pk_mov_b32 v[20:21], s[12:13], s[12:13] op_sel:[0,1]
	v_fma_f64 v[20:21], s[14:15], v[22:23], v[20:21]
	v_mul_f64 v[60:61], v[20:21], v[18:19]
	v_pk_mov_b32 v[20:21], s[14:15], s[14:15] op_sel:[0,1]
	v_fma_f64 v[20:21], -s[12:13], v[22:23], v[20:21]
	v_mul_f64 v[62:63], v[20:21], v[18:19]
                                        ; implicit-def: $vgpr24_vgpr25
                                        ; implicit-def: $vgpr22_vgpr23
.LBB84_171:                             ;   in Loop: Header=BB84_89 Depth=1
	s_andn2_saveexec_b64 s[0:1], s[0:1]
	s_cbranch_execz .LBB84_173
; %bb.172:                              ;   in Loop: Header=BB84_89 Depth=1
	v_div_scale_f64 v[18:19], s[4:5], v[24:25], v[24:25], s[12:13]
	v_rcp_f64_e32 v[20:21], v[18:19]
	v_div_scale_f64 v[64:65], s[4:5], v[22:23], v[22:23], s[14:15]
	v_div_scale_f64 v[60:61], vcc, s[12:13], v[24:25], s[12:13]
	v_fma_f64 v[62:63], -v[18:19], v[20:21], 1.0
	v_fmac_f64_e32 v[20:21], v[20:21], v[62:63]
	v_fma_f64 v[62:63], -v[18:19], v[20:21], 1.0
	v_fmac_f64_e32 v[20:21], v[20:21], v[62:63]
	v_rcp_f64_e32 v[66:67], v[64:65]
	v_mul_f64 v[62:63], v[60:61], v[20:21]
	v_fma_f64 v[18:19], -v[18:19], v[62:63], v[60:61]
	v_div_fmas_f64 v[18:19], v[18:19], v[20:21], v[62:63]
	v_div_fixup_f64 v[60:61], v[18:19], v[24:25], s[12:13]
	v_fma_f64 v[18:19], -v[64:65], v[66:67], 1.0
	v_fmac_f64_e32 v[66:67], v[66:67], v[18:19]
	v_fma_f64 v[18:19], -v[64:65], v[66:67], 1.0
	v_fmac_f64_e32 v[66:67], v[66:67], v[18:19]
	v_div_scale_f64 v[18:19], vcc, s[14:15], v[22:23], s[14:15]
	v_mul_f64 v[20:21], v[18:19], v[66:67]
	v_fma_f64 v[18:19], -v[64:65], v[20:21], v[18:19]
	s_nop 1
	v_div_fmas_f64 v[18:19], v[18:19], v[66:67], v[20:21]
	v_div_fixup_f64 v[62:63], v[18:19], v[22:23], s[14:15]
.LBB84_173:                             ;   in Loop: Header=BB84_89 Depth=1
	s_or_b64 exec, exec, s[0:1]
                                        ; implicit-def: $vgpr20_vgpr21
.LBB84_174:                             ;   in Loop: Header=BB84_89 Depth=1
	s_andn2_saveexec_b64 s[0:1], s[2:3]
	s_cbranch_execz .LBB84_176
; %bb.175:                              ;   in Loop: Header=BB84_89 Depth=1
	v_div_scale_f64 v[22:23], s[2:3], v[20:21], v[20:21], v[18:19]
	v_rcp_f64_e32 v[24:25], v[22:23]
	v_div_scale_f64 v[60:61], vcc, v[18:19], v[20:21], v[18:19]
	v_fma_f64 v[62:63], -v[22:23], v[24:25], 1.0
	v_fmac_f64_e32 v[24:25], v[24:25], v[62:63]
	v_fma_f64 v[62:63], -v[22:23], v[24:25], 1.0
	v_fmac_f64_e32 v[24:25], v[24:25], v[62:63]
	v_mul_f64 v[62:63], v[60:61], v[24:25]
	v_fma_f64 v[22:23], -v[22:23], v[62:63], v[60:61]
	v_div_fmas_f64 v[22:23], v[22:23], v[24:25], v[62:63]
	v_div_fixup_f64 v[22:23], v[22:23], v[20:21], v[18:19]
	v_fmac_f64_e32 v[20:21], v[18:19], v[22:23]
	v_div_scale_f64 v[18:19], s[2:3], v[20:21], v[20:21], 1.0
	v_rcp_f64_e32 v[24:25], v[18:19]
	v_fma_f64 v[60:61], -v[18:19], v[24:25], 1.0
	v_fmac_f64_e32 v[24:25], v[24:25], v[60:61]
	v_fma_f64 v[60:61], -v[18:19], v[24:25], 1.0
	v_fmac_f64_e32 v[24:25], v[24:25], v[60:61]
	v_div_scale_f64 v[60:61], vcc, 1.0, v[20:21], 1.0
	v_mul_f64 v[62:63], v[60:61], v[24:25]
	v_fma_f64 v[18:19], -v[18:19], v[62:63], v[60:61]
	s_nop 1
	v_div_fmas_f64 v[18:19], v[18:19], v[24:25], v[62:63]
	v_div_fixup_f64 v[18:19], v[18:19], v[20:21], 1.0
	v_pk_mov_b32 v[20:21], s[14:15], s[14:15] op_sel:[0,1]
	v_fma_f64 v[20:21], s[12:13], v[22:23], v[20:21]
	v_mul_f64 v[60:61], v[20:21], v[18:19]
	v_pk_mov_b32 v[20:21], s[12:13], s[12:13] op_sel:[0,1]
	v_fma_f64 v[20:21], s[14:15], v[22:23], -v[20:21]
	v_mul_f64 v[62:63], v[20:21], v[18:19]
.LBB84_176:                             ;   in Loop: Header=BB84_89 Depth=1
	s_or_b64 exec, exec, s[0:1]
.LBB84_177:                             ;   in Loop: Header=BB84_89 Depth=1
	v_cmp_gt_u64_e32 vcc, s[22:23], v[0:1]
	s_and_saveexec_b64 s[0:1], vcc
	s_xor_b64 s[0:1], exec, s[0:1]
	s_cbranch_execz .LBB84_179
; %bb.178:                              ;   in Loop: Header=BB84_89 Depth=1
	v_mov_b32_e32 v19, s17
	v_add_co_u32_e32 v18, vcc, s16, v38
	v_add_f64 v[4:5], v[4:5], v[58:59]
	v_add_f64 v[2:3], v[2:3], v[56:57]
	v_addc_co_u32_e32 v19, vcc, v39, v19, vcc
	global_store_dwordx4 v[18:19], v[2:5], off offset:-8
.LBB84_179:                             ;   in Loop: Header=BB84_89 Depth=1
	s_or_b64 exec, exec, s[0:1]
	v_cmp_gt_u64_e32 vcc, s[22:23], v[50:51]
	s_and_saveexec_b64 s[0:1], vcc
	s_cbranch_execnz .LBB84_182
; %bb.180:                              ;   in Loop: Header=BB84_89 Depth=1
	s_or_b64 exec, exec, s[0:1]
	v_cmp_gt_u64_e32 vcc, s[22:23], v[52:53]
	s_and_saveexec_b64 s[0:1], vcc
	s_cbranch_execnz .LBB84_183
.LBB84_181:                             ;   in Loop: Header=BB84_89 Depth=1
	s_or_b64 exec, exec, s[0:1]
	v_cmp_gt_u64_e32 vcc, s[22:23], v[54:55]
	s_and_saveexec_b64 s[0:1], vcc
	s_cbranch_execz .LBB84_88
	s_branch .LBB84_184
.LBB84_182:                             ;   in Loop: Header=BB84_89 Depth=1
	v_add_f64 v[2:3], v[6:7], v[30:31]
	v_mov_b32_e32 v7, s17
	v_add_co_u32_e32 v6, vcc, s16, v36
	v_add_f64 v[4:5], v[8:9], v[32:33]
	v_addc_co_u32_e32 v7, vcc, v37, v7, vcc
	global_store_dwordx4 v[6:7], v[2:5], off
	s_or_b64 exec, exec, s[0:1]
	v_cmp_gt_u64_e32 vcc, s[22:23], v[52:53]
	s_and_saveexec_b64 s[0:1], vcc
	s_cbranch_execz .LBB84_181
.LBB84_183:                             ;   in Loop: Header=BB84_89 Depth=1
	v_mov_b32_e32 v7, s17
	v_add_co_u32_e32 v6, vcc, s16, v46
	v_add_f64 v[4:5], v[12:13], v[28:29]
	v_add_f64 v[2:3], v[10:11], v[26:27]
	v_addc_co_u32_e32 v7, vcc, v47, v7, vcc
	global_store_dwordx4 v[6:7], v[2:5], off
	s_or_b64 exec, exec, s[0:1]
	v_cmp_gt_u64_e32 vcc, s[22:23], v[54:55]
	s_and_saveexec_b64 s[0:1], vcc
	s_cbranch_execz .LBB84_88
.LBB84_184:                             ;   in Loop: Header=BB84_89 Depth=1
	v_mov_b32_e32 v7, s17
	v_add_co_u32_e32 v6, vcc, s16, v44
	v_add_f64 v[4:5], v[16:17], v[62:63]
	v_add_f64 v[2:3], v[14:15], v[60:61]
	v_addc_co_u32_e32 v7, vcc, v45, v7, vcc
	global_store_dwordx4 v[6:7], v[2:5], off offset:-8
	s_branch .LBB84_88
.LBB84_185:
	s_endpgm
	.section	.rodata,"a",@progbits
	.p2align	6, 0x0
	.amdhsa_kernel _ZN2at6native12_GLOBAL__N_125multi_tensor_apply_kernelINS1_18TensorListMetadataILi3EEENS1_32PointwiseOpScalar0dTensorFunctorIN3c107complexIdEELi3ELi2ELi0EEEJSt7dividesIS8_ES8_EEEvT_T0_DpT1_
		.amdhsa_group_segment_fixed_size 0
		.amdhsa_private_segment_fixed_size 0
		.amdhsa_kernarg_size 3424
		.amdhsa_user_sgpr_count 6
		.amdhsa_user_sgpr_private_segment_buffer 1
		.amdhsa_user_sgpr_dispatch_ptr 0
		.amdhsa_user_sgpr_queue_ptr 0
		.amdhsa_user_sgpr_kernarg_segment_ptr 1
		.amdhsa_user_sgpr_dispatch_id 0
		.amdhsa_user_sgpr_flat_scratch_init 0
		.amdhsa_user_sgpr_kernarg_preload_length 0
		.amdhsa_user_sgpr_kernarg_preload_offset 0
		.amdhsa_user_sgpr_private_segment_size 0
		.amdhsa_uses_dynamic_stack 0
		.amdhsa_system_sgpr_private_segment_wavefront_offset 0
		.amdhsa_system_sgpr_workgroup_id_x 1
		.amdhsa_system_sgpr_workgroup_id_y 0
		.amdhsa_system_sgpr_workgroup_id_z 0
		.amdhsa_system_sgpr_workgroup_info 0
		.amdhsa_system_vgpr_workitem_id 0
		.amdhsa_next_free_vgpr 72
		.amdhsa_next_free_sgpr 44
		.amdhsa_accum_offset 72
		.amdhsa_reserve_vcc 1
		.amdhsa_reserve_flat_scratch 0
		.amdhsa_float_round_mode_32 0
		.amdhsa_float_round_mode_16_64 0
		.amdhsa_float_denorm_mode_32 3
		.amdhsa_float_denorm_mode_16_64 3
		.amdhsa_dx10_clamp 1
		.amdhsa_ieee_mode 1
		.amdhsa_fp16_overflow 0
		.amdhsa_tg_split 0
		.amdhsa_exception_fp_ieee_invalid_op 0
		.amdhsa_exception_fp_denorm_src 0
		.amdhsa_exception_fp_ieee_div_zero 0
		.amdhsa_exception_fp_ieee_overflow 0
		.amdhsa_exception_fp_ieee_underflow 0
		.amdhsa_exception_fp_ieee_inexact 0
		.amdhsa_exception_int_div_zero 0
	.end_amdhsa_kernel
	.section	.text._ZN2at6native12_GLOBAL__N_125multi_tensor_apply_kernelINS1_18TensorListMetadataILi3EEENS1_32PointwiseOpScalar0dTensorFunctorIN3c107complexIdEELi3ELi2ELi0EEEJSt7dividesIS8_ES8_EEEvT_T0_DpT1_,"axG",@progbits,_ZN2at6native12_GLOBAL__N_125multi_tensor_apply_kernelINS1_18TensorListMetadataILi3EEENS1_32PointwiseOpScalar0dTensorFunctorIN3c107complexIdEELi3ELi2ELi0EEEJSt7dividesIS8_ES8_EEEvT_T0_DpT1_,comdat
.Lfunc_end84:
	.size	_ZN2at6native12_GLOBAL__N_125multi_tensor_apply_kernelINS1_18TensorListMetadataILi3EEENS1_32PointwiseOpScalar0dTensorFunctorIN3c107complexIdEELi3ELi2ELi0EEEJSt7dividesIS8_ES8_EEEvT_T0_DpT1_, .Lfunc_end84-_ZN2at6native12_GLOBAL__N_125multi_tensor_apply_kernelINS1_18TensorListMetadataILi3EEENS1_32PointwiseOpScalar0dTensorFunctorIN3c107complexIdEELi3ELi2ELi0EEEJSt7dividesIS8_ES8_EEEvT_T0_DpT1_
                                        ; -- End function
	.section	.AMDGPU.csdata,"",@progbits
; Kernel info:
; codeLenInByte = 12688
; NumSgprs: 48
; NumVgprs: 72
; NumAgprs: 0
; TotalNumVgprs: 72
; ScratchSize: 0
; MemoryBound: 1
; FloatMode: 240
; IeeeMode: 1
; LDSByteSize: 0 bytes/workgroup (compile time only)
; SGPRBlocks: 5
; VGPRBlocks: 8
; NumSGPRsForWavesPerEU: 48
; NumVGPRsForWavesPerEU: 72
; AccumOffset: 72
; Occupancy: 7
; WaveLimiterHint : 0
; COMPUTE_PGM_RSRC2:SCRATCH_EN: 0
; COMPUTE_PGM_RSRC2:USER_SGPR: 6
; COMPUTE_PGM_RSRC2:TRAP_HANDLER: 0
; COMPUTE_PGM_RSRC2:TGID_X_EN: 1
; COMPUTE_PGM_RSRC2:TGID_Y_EN: 0
; COMPUTE_PGM_RSRC2:TGID_Z_EN: 0
; COMPUTE_PGM_RSRC2:TIDIG_COMP_CNT: 0
; COMPUTE_PGM_RSRC3_GFX90A:ACCUM_OFFSET: 17
; COMPUTE_PGM_RSRC3_GFX90A:TG_SPLIT: 0
	.section	.text._ZN2at6native12_GLOBAL__N_125multi_tensor_apply_kernelINS1_18TensorListMetadataILi3EEENS1_32PointwiseOpScalar0dTensorFunctorIN3c107complexIfEELi3ELi2ELi0EEEJSt7dividesIS8_ES8_EEEvT_T0_DpT1_,"axG",@progbits,_ZN2at6native12_GLOBAL__N_125multi_tensor_apply_kernelINS1_18TensorListMetadataILi3EEENS1_32PointwiseOpScalar0dTensorFunctorIN3c107complexIfEELi3ELi2ELi0EEEJSt7dividesIS8_ES8_EEEvT_T0_DpT1_,comdat
	.globl	_ZN2at6native12_GLOBAL__N_125multi_tensor_apply_kernelINS1_18TensorListMetadataILi3EEENS1_32PointwiseOpScalar0dTensorFunctorIN3c107complexIfEELi3ELi2ELi0EEEJSt7dividesIS8_ES8_EEEvT_T0_DpT1_ ; -- Begin function _ZN2at6native12_GLOBAL__N_125multi_tensor_apply_kernelINS1_18TensorListMetadataILi3EEENS1_32PointwiseOpScalar0dTensorFunctorIN3c107complexIfEELi3ELi2ELi0EEEJSt7dividesIS8_ES8_EEEvT_T0_DpT1_
	.p2align	8
	.type	_ZN2at6native12_GLOBAL__N_125multi_tensor_apply_kernelINS1_18TensorListMetadataILi3EEENS1_32PointwiseOpScalar0dTensorFunctorIN3c107complexIfEELi3ELi2ELi0EEEJSt7dividesIS8_ES8_EEEvT_T0_DpT1_,@function
_ZN2at6native12_GLOBAL__N_125multi_tensor_apply_kernelINS1_18TensorListMetadataILi3EEENS1_32PointwiseOpScalar0dTensorFunctorIN3c107complexIfEELi3ELi2ELi0EEEJSt7dividesIS8_ES8_EEEvT_T0_DpT1_: ; @_ZN2at6native12_GLOBAL__N_125multi_tensor_apply_kernelINS1_18TensorListMetadataILi3EEENS1_32PointwiseOpScalar0dTensorFunctorIN3c107complexIfEELi3ELi2ELi0EEEJSt7dividesIS8_ES8_EEEvT_T0_DpT1_
; %bb.0:
	v_mov_b32_e32 v1, s6
	global_load_ubyte v1, v1, s[4:5] offset:1536
	s_add_u32 s0, s4, s6
	s_mul_hi_u32 s1, s6, 3
	s_mul_i32 s6, s6, 3
	s_addc_u32 s2, s5, 0
	s_add_u32 s0, s0, s6
	s_addc_u32 s1, s2, s1
	s_load_dword s0, s[0:1], 0x740
	s_mov_b32 s17, 0
	s_load_dwordx2 s[8:9], s[4:5], 0xc50
	s_mov_b32 s3, s17
	s_waitcnt lgkmcnt(0)
	s_ashr_i32 s1, s0, 31
	s_lshl_b64 s[10:11], s[0:1], 19
	s_waitcnt vmcnt(0)
	v_lshlrev_b32_e32 v1, 3, v1
	v_readfirstlane_b32 s2, v1
	s_load_dwordx2 s[24:25], s[4:5], s2 offset:0x0
	s_load_dwordx2 s[6:7], s[4:5], s2 offset:0x180
	s_load_dwordx2 s[18:19], s[4:5], s2 offset:0x480
	s_load_dwordx2 s[26:27], s[4:5], s2 offset:0x300
	s_waitcnt lgkmcnt(0)
	s_add_u32 s33, s24, s10
	s_addc_u32 s36, s25, s11
	s_add_u32 s2, s6, s10
	s_add_u32 s37, s26, s10
	s_addc_u32 s38, s27, s11
	s_or_b32 s2, s37, s2
	s_lshl_b64 s[0:1], s[0:1], 16
	s_and_b32 s16, s33, 31
	s_and_b32 s2, s2, 31
	s_cmp_lg_u32 s2, 0
	s_load_dwordx2 s[12:13], s[6:7], 0x0
	s_cselect_b64 s[6:7], -1, 0
	s_sub_u32 s14, s18, s0
	s_subb_u32 s15, s19, s1
	s_and_b32 s2, s18, 3
	s_or_b64 s[0:1], s[16:17], s[2:3]
	s_cmp_lg_u64 s[0:1], 0
	s_cselect_b64 s[0:1], -1, 0
	s_or_b64 s[0:1], s[6:7], s[0:1]
	s_andn2_b64 vcc, exec, s[0:1]
	s_mov_b64 s[0:1], -1
	s_cbranch_vccz .LBB85_85
; %bb.1:
	v_mov_b32_e32 v19, 0
	v_lshlrev_b32_e32 v18, 2, v0
	v_cmp_gt_i64_e32 vcc, s[14:15], v[18:19]
	s_and_saveexec_b64 s[18:19], vcc
	s_cbranch_execz .LBB85_84
; %bb.2:
	s_load_dword s6, s[4:5], 0xc64
	s_and_b32 s0, s9, 0x7fffffff
	s_cmp_lg_u32 s0, 0
	s_cselect_b64 s[0:1], -1, 0
	v_cmp_neq_f32_e64 s[2:3], s8, 1.0
	s_or_b64 s[20:21], s[2:3], s[0:1]
	s_waitcnt lgkmcnt(0)
	s_and_b32 s0, s6, 0xffff
	s_mov_b32 s22, s13
	s_mov_b32 s23, s12
	v_add_lshl_u32 v18, v0, s0, 2
	s_lshl_b32 s16, s0, 2
	v_lshlrev_b32_e32 v20, 5, v0
	s_lshl_b32 s39, s0, 5
	s_mov_b64 s[28:29], 0
	s_mov_b64 s[30:31], 0xffff
	s_branch .LBB85_5
.LBB85_3:                               ;   in Loop: Header=BB85_5 Depth=1
	s_or_b64 exec, exec, s[0:1]
.LBB85_4:                               ;   in Loop: Header=BB85_5 Depth=1
	v_cmp_le_i64_e32 vcc, s[14:15], v[18:19]
	v_cmp_lt_u64_e64 s[0:1], s[30:31], v[18:19]
	s_or_b64 s[0:1], vcc, s[0:1]
	s_add_u32 s33, s33, s39
	s_addc_u32 s36, s36, 0
	s_add_u32 s37, s37, s39
	s_addc_u32 s38, s38, 0
	v_mov_b32_e32 v1, s17
	s_and_b64 s[0:1], exec, s[0:1]
	v_add_co_u32_e32 v18, vcc, s16, v18
	s_waitcnt vmcnt(0)
	v_pk_add_f32 v[8:9], v[8:9], v[26:27]
	v_pk_add_f32 v[6:7], v[6:7], v[24:25]
	s_or_b64 s[28:29], s[0:1], s[28:29]
	v_addc_co_u32_e32 v19, vcc, v19, v1, vcc
	v_pk_add_f32 v[2:3], v[2:3], v[14:15]
	v_pk_add_f32 v[4:5], v[4:5], v[16:17]
	global_store_dwordx4 v[22:23], v[6:9], off
	global_store_dwordx4 v[22:23], v[2:5], off offset:16
	s_andn2_b64 exec, exec, s[28:29]
	s_cbranch_execz .LBB85_84
.LBB85_5:                               ; =>This Inner Loop Header: Depth=1
	v_mov_b32_e32 v1, s38
	v_add_co_u32_e32 v2, vcc, s37, v20
	v_addc_co_u32_e32 v3, vcc, 0, v1, vcc
	global_load_dwordx4 v[10:13], v[2:3], off offset:16
	global_load_dwordx4 v[14:17], v[2:3], off
	v_mov_b32_e32 v1, s36
	v_add_co_u32_e32 v22, vcc, s33, v20
	v_addc_co_u32_e32 v23, vcc, 0, v1, vcc
	global_load_dwordx4 v[2:5], v[22:23], off offset:16
	global_load_dwordx4 v[6:9], v[22:23], off
	s_and_b64 vcc, exec, s[20:21]
	s_waitcnt vmcnt(2)
	v_cmp_gt_f32_e64 s[0:1], 0, v15
	v_cndmask_b32_e64 v1, v15, -v15, s[0:1]
	v_cmp_gt_f32_e64 s[0:1], 0, v14
	v_cndmask_b32_e64 v21, v14, -v14, s[0:1]
	v_cmp_ge_f32_e64 s[0:1], v21, v1
	s_cbranch_vccz .LBB85_15
; %bb.6:                                ;   in Loop: Header=BB85_5 Depth=1
                                        ; implicit-def: $vgpr26
                                        ; implicit-def: $vgpr24
	s_and_saveexec_b64 s[2:3], s[0:1]
	s_xor_b64 s[6:7], exec, s[2:3]
	s_cbranch_execz .LBB85_12
; %bb.7:                                ;   in Loop: Header=BB85_5 Depth=1
	v_cmp_neq_f32_e32 vcc, 0, v14
	v_cmp_neq_f32_e64 s[2:3], 0, v15
	s_or_b64 s[2:3], vcc, s[2:3]
                                        ; implicit-def: $vgpr26
                                        ; implicit-def: $vgpr24
	s_and_saveexec_b64 s[34:35], s[2:3]
	s_xor_b64 s[2:3], exec, s[34:35]
	s_cbranch_execz .LBB85_9
; %bb.8:                                ;   in Loop: Header=BB85_5 Depth=1
	v_div_scale_f32 v24, s[34:35], v14, v14, v15
	v_rcp_f32_e32 v25, v24
	v_div_scale_f32 v26, vcc, v15, v14, v15
	v_fma_f32 v27, -v24, v25, 1.0
	v_fmac_f32_e32 v25, v27, v25
	v_mul_f32_e32 v27, v26, v25
	v_fma_f32 v28, -v24, v27, v26
	v_fmac_f32_e32 v27, v28, v25
	v_fma_f32 v24, -v24, v27, v26
	v_div_fmas_f32 v24, v24, v25, v27
	v_div_fixup_f32 v25, v24, v14, v15
	v_fma_f32 v24, v15, v25, v14
	v_div_scale_f32 v26, s[34:35], v24, v24, 1.0
	v_rcp_f32_e32 v27, v26
	v_fma_f32 v28, -v26, v27, 1.0
	v_fmac_f32_e32 v27, v28, v27
	v_div_scale_f32 v28, vcc, 1.0, v24, 1.0
	v_mul_f32_e32 v29, v28, v27
	v_fma_f32 v30, -v26, v29, v28
	v_fmac_f32_e32 v29, v30, v27
	v_fma_f32 v26, -v26, v29, v28
	v_div_fmas_f32 v26, v26, v27, v29
	v_div_fixup_f32 v26, v26, v24, 1.0
	v_mov_b32_e32 v24, s12
	v_mov_b32_e32 v27, s13
	v_fma_f32 v24, s13, v25, v24
	v_fma_f32 v25, -v25, s12, v27
	v_mul_f32_e32 v24, v24, v26
	v_mul_f32_e32 v26, v25, v26
.LBB85_9:                               ;   in Loop: Header=BB85_5 Depth=1
	s_andn2_saveexec_b64 s[2:3], s[2:3]
	s_cbranch_execz .LBB85_11
; %bb.10:                               ;   in Loop: Header=BB85_5 Depth=1
	v_div_scale_f32 v24, s[34:35], v21, v21, s12
	v_rcp_f32_e32 v25, v24
	v_div_scale_f32 v26, vcc, s12, v21, s12
	v_fma_f32 v27, -v24, v25, 1.0
	v_fmac_f32_e32 v25, v27, v25
	v_mul_f32_e32 v27, v26, v25
	v_fma_f32 v28, -v24, v27, v26
	v_fmac_f32_e32 v27, v28, v25
	v_fma_f32 v24, -v24, v27, v26
	v_div_scale_f32 v26, s[34:35], v1, v1, s13
	v_rcp_f32_e32 v28, v26
	v_div_fmas_f32 v24, v24, v25, v27
	v_div_fixup_f32 v24, v24, v21, s12
	v_fma_f32 v25, -v26, v28, 1.0
	v_fmac_f32_e32 v28, v25, v28
	v_div_scale_f32 v25, vcc, s13, v1, s13
	v_mul_f32_e32 v27, v25, v28
	v_fma_f32 v29, -v26, v27, v25
	v_fmac_f32_e32 v27, v29, v28
	v_fma_f32 v25, -v26, v27, v25
	v_div_fmas_f32 v25, v25, v28, v27
	v_div_fixup_f32 v26, v25, v1, s13
.LBB85_11:                              ;   in Loop: Header=BB85_5 Depth=1
	s_or_b64 exec, exec, s[2:3]
.LBB85_12:                              ;   in Loop: Header=BB85_5 Depth=1
	s_andn2_saveexec_b64 s[2:3], s[6:7]
	s_cbranch_execz .LBB85_14
; %bb.13:                               ;   in Loop: Header=BB85_5 Depth=1
	v_div_scale_f32 v24, s[6:7], v15, v15, v14
	v_rcp_f32_e32 v25, v24
	v_div_scale_f32 v26, vcc, v14, v15, v14
	v_fma_f32 v27, -v24, v25, 1.0
	v_fmac_f32_e32 v25, v27, v25
	v_mul_f32_e32 v27, v26, v25
	v_fma_f32 v28, -v24, v27, v26
	v_fmac_f32_e32 v27, v28, v25
	v_fma_f32 v24, -v24, v27, v26
	v_div_fmas_f32 v24, v24, v25, v27
	v_div_fixup_f32 v25, v24, v15, v14
	v_fma_f32 v24, v14, v25, v15
	v_div_scale_f32 v26, s[6:7], v24, v24, 1.0
	v_rcp_f32_e32 v27, v26
	v_fma_f32 v28, -v26, v27, 1.0
	v_fmac_f32_e32 v27, v28, v27
	v_div_scale_f32 v28, vcc, 1.0, v24, 1.0
	v_mul_f32_e32 v29, v28, v27
	v_fma_f32 v30, -v26, v29, v28
	v_fmac_f32_e32 v29, v30, v27
	v_fma_f32 v26, -v26, v29, v28
	v_div_fmas_f32 v26, v26, v27, v29
	v_div_fixup_f32 v26, v26, v24, 1.0
	v_mov_b32_e32 v24, s13
	v_mov_b32_e32 v27, s12
	v_fma_f32 v24, s12, v25, v24
	v_fma_f32 v25, v25, s13, -v27
	v_mul_f32_e32 v24, v24, v26
	v_mul_f32_e32 v26, v25, v26
.LBB85_14:                              ;   in Loop: Header=BB85_5 Depth=1
	s_or_b64 exec, exec, s[2:3]
	v_pk_mul_f32 v[26:27], v[26:27], s[8:9] op_sel_hi:[0,1]
	v_pk_mul_f32 v[28:29], v[24:25], s[8:9] op_sel_hi:[0,1]
	v_pk_fma_f32 v[24:25], v[24:25], s[8:9], v[26:27] op_sel:[0,0,1] op_sel_hi:[0,1,0]
	v_sub_f32_e32 v24, v28, v27
	s_branch .LBB85_25
.LBB85_15:                              ;   in Loop: Header=BB85_5 Depth=1
                                        ; implicit-def: $vgpr25
	s_cbranch_execz .LBB85_25
; %bb.16:                               ;   in Loop: Header=BB85_5 Depth=1
                                        ; implicit-def: $vgpr25
	s_and_saveexec_b64 s[2:3], s[0:1]
	s_xor_b64 s[2:3], exec, s[2:3]
	s_cbranch_execz .LBB85_22
; %bb.17:                               ;   in Loop: Header=BB85_5 Depth=1
	v_cmp_neq_f32_e32 vcc, 0, v14
	v_cmp_neq_f32_e64 s[0:1], 0, v15
	s_or_b64 s[0:1], vcc, s[0:1]
                                        ; implicit-def: $vgpr25
	s_and_saveexec_b64 s[6:7], s[0:1]
	s_xor_b64 s[0:1], exec, s[6:7]
	s_cbranch_execz .LBB85_19
; %bb.18:                               ;   in Loop: Header=BB85_5 Depth=1
	v_div_scale_f32 v1, s[6:7], v14, v14, v15
	v_rcp_f32_e32 v21, v1
	v_div_scale_f32 v24, vcc, v15, v14, v15
	v_fma_f32 v25, -v1, v21, 1.0
	v_fmac_f32_e32 v21, v25, v21
	v_mul_f32_e32 v25, v24, v21
	v_fma_f32 v26, -v1, v25, v24
	v_fmac_f32_e32 v25, v26, v21
	v_fma_f32 v1, -v1, v25, v24
	v_div_fmas_f32 v1, v1, v21, v25
	v_div_fixup_f32 v24, v1, v14, v15
	v_fma_f32 v1, v15, v24, v14
	v_div_scale_f32 v21, s[6:7], v1, v1, 1.0
	v_rcp_f32_e32 v25, v21
	v_fma_f32 v26, -v21, v25, 1.0
	v_fmac_f32_e32 v25, v26, v25
	v_div_scale_f32 v26, vcc, 1.0, v1, 1.0
	v_mul_f32_e32 v27, v26, v25
	v_fma_f32 v28, -v21, v27, v26
	v_fmac_f32_e32 v27, v28, v25
	v_fma_f32 v21, -v21, v27, v26
	v_div_fmas_f32 v21, v21, v25, v27
	v_pk_mul_f32 v[24:25], v[24:25], s[12:13] op_sel_hi:[0,1]
	v_pk_add_f32 v[28:29], v[24:25], s[12:13] op_sel:[1,0] op_sel_hi:[0,1]
	v_pk_add_f32 v[24:25], s[12:13], v[24:25] op_sel:[0,1] op_sel_hi:[1,0] neg_lo:[0,1] neg_hi:[0,1]
	v_div_fixup_f32 v26, v21, v1, 1.0
	v_mov_b32_e32 v29, v25
	v_pk_mul_f32 v[24:25], v[28:29], v[26:27] op_sel_hi:[1,0]
                                        ; implicit-def: $vgpr21
                                        ; implicit-def: $vgpr1
.LBB85_19:                              ;   in Loop: Header=BB85_5 Depth=1
	s_andn2_saveexec_b64 s[0:1], s[0:1]
	s_cbranch_execz .LBB85_21
; %bb.20:                               ;   in Loop: Header=BB85_5 Depth=1
	v_div_scale_f32 v24, s[6:7], v21, v21, s12
	v_rcp_f32_e32 v25, v24
	v_div_scale_f32 v26, vcc, s12, v21, s12
	v_fma_f32 v27, -v24, v25, 1.0
	v_fmac_f32_e32 v25, v27, v25
	v_mul_f32_e32 v27, v26, v25
	v_fma_f32 v28, -v24, v27, v26
	v_fmac_f32_e32 v27, v28, v25
	v_fma_f32 v24, -v24, v27, v26
	v_div_scale_f32 v26, s[6:7], v1, v1, s13
	v_rcp_f32_e32 v28, v26
	v_div_fmas_f32 v24, v24, v25, v27
	v_div_fixup_f32 v24, v24, v21, s12
	v_fma_f32 v21, -v26, v28, 1.0
	v_fmac_f32_e32 v28, v21, v28
	v_div_scale_f32 v21, vcc, s13, v1, s13
	v_mul_f32_e32 v25, v21, v28
	v_fma_f32 v27, -v26, v25, v21
	v_fmac_f32_e32 v25, v27, v28
	v_fma_f32 v21, -v26, v25, v21
	v_div_fmas_f32 v21, v21, v28, v25
	v_div_fixup_f32 v25, v21, v1, s13
.LBB85_21:                              ;   in Loop: Header=BB85_5 Depth=1
	s_or_b64 exec, exec, s[0:1]
.LBB85_22:                              ;   in Loop: Header=BB85_5 Depth=1
	s_andn2_saveexec_b64 s[0:1], s[2:3]
	s_cbranch_execz .LBB85_24
; %bb.23:                               ;   in Loop: Header=BB85_5 Depth=1
	v_div_scale_f32 v1, s[2:3], v15, v15, v14
	v_rcp_f32_e32 v21, v1
	v_div_scale_f32 v24, vcc, v14, v15, v14
	v_fma_f32 v25, -v1, v21, 1.0
	v_fmac_f32_e32 v21, v25, v21
	v_mul_f32_e32 v25, v24, v21
	v_fma_f32 v26, -v1, v25, v24
	v_fmac_f32_e32 v25, v26, v21
	v_fma_f32 v1, -v1, v25, v24
	v_div_fmas_f32 v1, v1, v21, v25
	v_div_fixup_f32 v24, v1, v15, v14
	v_fma_f32 v1, v14, v24, v15
	v_div_scale_f32 v14, s[2:3], v1, v1, 1.0
	v_rcp_f32_e32 v15, v14
	v_fma_f32 v21, -v14, v15, 1.0
	v_fmac_f32_e32 v15, v21, v15
	v_div_scale_f32 v21, vcc, 1.0, v1, 1.0
	v_mul_f32_e32 v25, v21, v15
	v_fma_f32 v26, -v14, v25, v21
	v_fmac_f32_e32 v25, v26, v15
	v_fma_f32 v14, -v14, v25, v21
	v_pk_mov_b32 v[26:27], s[22:23], s[22:23] op_sel:[0,1]
	v_div_fmas_f32 v14, v14, v15, v25
	v_pk_fma_f32 v[28:29], v[24:25], s[12:13], v[26:27]
	v_pk_fma_f32 v[24:25], v[24:25], s[12:13], v[26:27] op_sel_hi:[0,1,1] neg_lo:[0,0,1] neg_hi:[0,0,1]
	v_div_fixup_f32 v14, v14, v1, 1.0
	v_mov_b32_e32 v29, v25
	v_pk_mul_f32 v[24:25], v[28:29], v[14:15] op_sel_hi:[1,0]
.LBB85_24:                              ;   in Loop: Header=BB85_5 Depth=1
	s_or_b64 exec, exec, s[0:1]
.LBB85_25:                              ;   in Loop: Header=BB85_5 Depth=1
	v_cmp_gt_f32_e32 vcc, 0, v17
	v_cndmask_b32_e64 v1, v17, -v17, vcc
	v_cmp_gt_f32_e32 vcc, 0, v16
	v_cndmask_b32_e64 v15, v16, -v16, vcc
	v_cndmask_b32_e64 v14, 0, 1, s[20:21]
	v_cmp_ne_u32_e64 s[0:1], 1, v14
	s_andn2_b64 vcc, exec, s[20:21]
	v_cmp_ge_f32_e64 s[2:3], v15, v1
	s_cbranch_vccnz .LBB85_35
; %bb.26:                               ;   in Loop: Header=BB85_5 Depth=1
                                        ; implicit-def: $vgpr26
                                        ; implicit-def: $vgpr14
	s_and_saveexec_b64 s[6:7], s[2:3]
	s_xor_b64 s[34:35], exec, s[6:7]
	s_cbranch_execz .LBB85_32
; %bb.27:                               ;   in Loop: Header=BB85_5 Depth=1
	v_cmp_neq_f32_e32 vcc, 0, v16
	v_cmp_neq_f32_e64 s[6:7], 0, v17
	s_or_b64 s[6:7], vcc, s[6:7]
                                        ; implicit-def: $vgpr26
                                        ; implicit-def: $vgpr14
	s_and_saveexec_b64 s[40:41], s[6:7]
	s_xor_b64 s[6:7], exec, s[40:41]
	s_cbranch_execz .LBB85_29
; %bb.28:                               ;   in Loop: Header=BB85_5 Depth=1
	v_div_scale_f32 v14, s[40:41], v16, v16, v17
	v_rcp_f32_e32 v21, v14
	v_div_scale_f32 v26, vcc, v17, v16, v17
	v_fma_f32 v27, -v14, v21, 1.0
	v_fmac_f32_e32 v21, v27, v21
	v_mul_f32_e32 v27, v26, v21
	v_fma_f32 v28, -v14, v27, v26
	v_fmac_f32_e32 v27, v28, v21
	v_fma_f32 v14, -v14, v27, v26
	v_div_fmas_f32 v14, v14, v21, v27
	v_div_fixup_f32 v21, v14, v16, v17
	v_fma_f32 v14, v17, v21, v16
	v_div_scale_f32 v26, s[40:41], v14, v14, 1.0
	v_rcp_f32_e32 v27, v26
	v_fma_f32 v28, -v26, v27, 1.0
	v_fmac_f32_e32 v27, v28, v27
	v_div_scale_f32 v28, vcc, 1.0, v14, 1.0
	v_mul_f32_e32 v29, v28, v27
	v_fma_f32 v30, -v26, v29, v28
	v_fmac_f32_e32 v29, v30, v27
	v_fma_f32 v26, -v26, v29, v28
	v_div_fmas_f32 v26, v26, v27, v29
	v_div_fixup_f32 v26, v26, v14, 1.0
	v_mov_b32_e32 v14, s12
	v_mov_b32_e32 v27, s13
	v_fma_f32 v14, s13, v21, v14
	v_fma_f32 v21, -v21, s12, v27
	v_mul_f32_e32 v14, v14, v26
	v_mul_f32_e32 v26, v21, v26
.LBB85_29:                              ;   in Loop: Header=BB85_5 Depth=1
	s_andn2_saveexec_b64 s[6:7], s[6:7]
	s_cbranch_execz .LBB85_31
; %bb.30:                               ;   in Loop: Header=BB85_5 Depth=1
	v_div_scale_f32 v14, s[40:41], v15, v15, s12
	v_rcp_f32_e32 v21, v14
	v_div_scale_f32 v26, vcc, s12, v15, s12
	v_fma_f32 v27, -v14, v21, 1.0
	v_fmac_f32_e32 v21, v27, v21
	v_mul_f32_e32 v27, v26, v21
	v_fma_f32 v28, -v14, v27, v26
	v_fmac_f32_e32 v27, v28, v21
	v_fma_f32 v14, -v14, v27, v26
	v_div_scale_f32 v26, s[40:41], v1, v1, s13
	v_rcp_f32_e32 v28, v26
	v_div_fmas_f32 v14, v14, v21, v27
	v_div_fixup_f32 v14, v14, v15, s12
	v_fma_f32 v21, -v26, v28, 1.0
	v_fmac_f32_e32 v28, v21, v28
	v_div_scale_f32 v21, vcc, s13, v1, s13
	v_mul_f32_e32 v27, v21, v28
	v_fma_f32 v29, -v26, v27, v21
	v_fmac_f32_e32 v27, v29, v28
	v_fma_f32 v21, -v26, v27, v21
	v_div_fmas_f32 v21, v21, v28, v27
	v_div_fixup_f32 v26, v21, v1, s13
.LBB85_31:                              ;   in Loop: Header=BB85_5 Depth=1
	s_or_b64 exec, exec, s[6:7]
.LBB85_32:                              ;   in Loop: Header=BB85_5 Depth=1
	s_andn2_saveexec_b64 s[6:7], s[34:35]
	s_cbranch_execz .LBB85_34
; %bb.33:                               ;   in Loop: Header=BB85_5 Depth=1
	v_div_scale_f32 v14, s[34:35], v17, v17, v16
	v_rcp_f32_e32 v21, v14
	v_div_scale_f32 v26, vcc, v16, v17, v16
	v_fma_f32 v27, -v14, v21, 1.0
	v_fmac_f32_e32 v21, v27, v21
	v_mul_f32_e32 v27, v26, v21
	v_fma_f32 v28, -v14, v27, v26
	v_fmac_f32_e32 v27, v28, v21
	v_fma_f32 v14, -v14, v27, v26
	v_div_fmas_f32 v14, v14, v21, v27
	v_div_fixup_f32 v21, v14, v17, v16
	v_fma_f32 v14, v16, v21, v17
	v_div_scale_f32 v26, s[34:35], v14, v14, 1.0
	v_rcp_f32_e32 v27, v26
	v_fma_f32 v28, -v26, v27, 1.0
	v_fmac_f32_e32 v27, v28, v27
	v_div_scale_f32 v28, vcc, 1.0, v14, 1.0
	v_mul_f32_e32 v29, v28, v27
	v_fma_f32 v30, -v26, v29, v28
	v_fmac_f32_e32 v29, v30, v27
	v_fma_f32 v26, -v26, v29, v28
	v_div_fmas_f32 v26, v26, v27, v29
	v_div_fixup_f32 v26, v26, v14, 1.0
	v_mov_b32_e32 v14, s13
	v_mov_b32_e32 v27, s12
	v_fma_f32 v14, s12, v21, v14
	v_fma_f32 v21, v21, s13, -v27
	v_mul_f32_e32 v14, v14, v26
	v_mul_f32_e32 v26, v21, v26
.LBB85_34:                              ;   in Loop: Header=BB85_5 Depth=1
	s_or_b64 exec, exec, s[6:7]
	v_pk_mul_f32 v[28:29], v[26:27], s[8:9] op_sel_hi:[0,1]
	v_pk_mul_f32 v[30:31], v[14:15], s[8:9] op_sel_hi:[0,1]
	v_pk_fma_f32 v[26:27], v[14:15], s[8:9], v[28:29] op_sel:[0,0,1] op_sel_hi:[0,1,0]
	v_sub_f32_e32 v26, v30, v29
	s_branch .LBB85_45
.LBB85_35:                              ;   in Loop: Header=BB85_5 Depth=1
                                        ; implicit-def: $vgpr27
	s_cbranch_execz .LBB85_45
; %bb.36:                               ;   in Loop: Header=BB85_5 Depth=1
                                        ; implicit-def: $vgpr27
	s_and_saveexec_b64 s[6:7], s[2:3]
	s_xor_b64 s[6:7], exec, s[6:7]
	s_cbranch_execz .LBB85_42
; %bb.37:                               ;   in Loop: Header=BB85_5 Depth=1
	v_cmp_neq_f32_e32 vcc, 0, v16
	v_cmp_neq_f32_e64 s[2:3], 0, v17
	s_or_b64 s[2:3], vcc, s[2:3]
                                        ; implicit-def: $vgpr27
	s_and_saveexec_b64 s[34:35], s[2:3]
	s_xor_b64 s[2:3], exec, s[34:35]
	s_cbranch_execz .LBB85_39
; %bb.38:                               ;   in Loop: Header=BB85_5 Depth=1
	v_div_scale_f32 v1, s[34:35], v16, v16, v17
	v_rcp_f32_e32 v14, v1
	v_div_scale_f32 v15, vcc, v17, v16, v17
	v_fma_f32 v21, -v1, v14, 1.0
	v_fmac_f32_e32 v14, v21, v14
	v_mul_f32_e32 v21, v15, v14
	v_fma_f32 v26, -v1, v21, v15
	v_fmac_f32_e32 v21, v26, v14
	v_fma_f32 v1, -v1, v21, v15
	v_div_fmas_f32 v1, v1, v14, v21
	v_div_fixup_f32 v14, v1, v16, v17
	v_fmac_f32_e32 v16, v17, v14
	v_div_scale_f32 v1, s[34:35], v16, v16, 1.0
	v_rcp_f32_e32 v15, v1
	v_fma_f32 v17, -v1, v15, 1.0
	v_fmac_f32_e32 v15, v17, v15
	v_div_scale_f32 v17, vcc, 1.0, v16, 1.0
	v_mul_f32_e32 v21, v17, v15
	v_fma_f32 v26, -v1, v21, v17
	v_fmac_f32_e32 v21, v26, v15
	v_fma_f32 v1, -v1, v21, v17
	v_div_fmas_f32 v1, v1, v15, v21
	v_pk_mul_f32 v[14:15], v[14:15], s[12:13] op_sel_hi:[0,1]
	v_pk_add_f32 v[26:27], v[14:15], s[12:13] op_sel:[1,0] op_sel_hi:[0,1]
	v_pk_add_f32 v[14:15], s[12:13], v[14:15] op_sel:[0,1] op_sel_hi:[1,0] neg_lo:[0,1] neg_hi:[0,1]
	v_div_fixup_f32 v16, v1, v16, 1.0
	v_mov_b32_e32 v27, v15
	v_pk_mul_f32 v[26:27], v[26:27], v[16:17] op_sel_hi:[1,0]
                                        ; implicit-def: $vgpr15
                                        ; implicit-def: $vgpr1
.LBB85_39:                              ;   in Loop: Header=BB85_5 Depth=1
	s_andn2_saveexec_b64 s[2:3], s[2:3]
	s_cbranch_execz .LBB85_41
; %bb.40:                               ;   in Loop: Header=BB85_5 Depth=1
	v_div_scale_f32 v14, s[34:35], v15, v15, s12
	v_rcp_f32_e32 v16, v14
	v_div_scale_f32 v17, vcc, s12, v15, s12
	v_fma_f32 v21, -v14, v16, 1.0
	v_fmac_f32_e32 v16, v21, v16
	v_mul_f32_e32 v21, v17, v16
	v_fma_f32 v26, -v14, v21, v17
	v_fmac_f32_e32 v21, v26, v16
	v_fma_f32 v14, -v14, v21, v17
	v_div_scale_f32 v17, s[34:35], v1, v1, s13
	v_rcp_f32_e32 v27, v17
	v_div_fmas_f32 v14, v14, v16, v21
	v_div_fixup_f32 v26, v14, v15, s12
	v_fma_f32 v14, -v17, v27, 1.0
	v_fmac_f32_e32 v27, v14, v27
	v_div_scale_f32 v14, vcc, s13, v1, s13
	v_mul_f32_e32 v15, v14, v27
	v_fma_f32 v16, -v17, v15, v14
	v_fmac_f32_e32 v15, v16, v27
	v_fma_f32 v14, -v17, v15, v14
	v_div_fmas_f32 v14, v14, v27, v15
	v_div_fixup_f32 v27, v14, v1, s13
.LBB85_41:                              ;   in Loop: Header=BB85_5 Depth=1
	s_or_b64 exec, exec, s[2:3]
                                        ; implicit-def: $vgpr14_vgpr15_vgpr16_vgpr17
.LBB85_42:                              ;   in Loop: Header=BB85_5 Depth=1
	s_andn2_saveexec_b64 s[2:3], s[6:7]
	s_cbranch_execz .LBB85_44
; %bb.43:                               ;   in Loop: Header=BB85_5 Depth=1
	v_div_scale_f32 v1, s[6:7], v17, v17, v16
	v_rcp_f32_e32 v14, v1
	v_div_scale_f32 v15, vcc, v16, v17, v16
	v_fma_f32 v21, -v1, v14, 1.0
	v_fmac_f32_e32 v14, v21, v14
	v_mul_f32_e32 v21, v15, v14
	v_fma_f32 v26, -v1, v21, v15
	v_fmac_f32_e32 v21, v26, v14
	v_fma_f32 v1, -v1, v21, v15
	v_div_fmas_f32 v1, v1, v14, v21
	v_div_fixup_f32 v14, v1, v17, v16
	v_fmac_f32_e32 v17, v16, v14
	v_div_scale_f32 v1, s[6:7], v17, v17, 1.0
	v_rcp_f32_e32 v15, v1
	v_fma_f32 v16, -v1, v15, 1.0
	v_fmac_f32_e32 v15, v16, v15
	v_div_scale_f32 v16, vcc, 1.0, v17, 1.0
	v_mul_f32_e32 v21, v16, v15
	v_fma_f32 v26, -v1, v21, v16
	v_fmac_f32_e32 v21, v26, v15
	v_fma_f32 v1, -v1, v21, v16
	v_pk_mov_b32 v[26:27], s[22:23], s[22:23] op_sel:[0,1]
	v_div_fmas_f32 v1, v1, v15, v21
	v_pk_fma_f32 v[28:29], v[14:15], s[12:13], v[26:27]
	v_pk_fma_f32 v[14:15], v[14:15], s[12:13], v[26:27] op_sel_hi:[0,1,1] neg_lo:[0,0,1] neg_hi:[0,0,1]
	v_div_fixup_f32 v16, v1, v17, 1.0
	v_mov_b32_e32 v29, v15
	v_pk_mul_f32 v[26:27], v[28:29], v[16:17] op_sel_hi:[1,0]
.LBB85_44:                              ;   in Loop: Header=BB85_5 Depth=1
	s_or_b64 exec, exec, s[2:3]
.LBB85_45:                              ;   in Loop: Header=BB85_5 Depth=1
	v_cmp_gt_f32_e32 vcc, 0, v11
	v_cndmask_b32_e64 v1, v11, -v11, vcc
	v_cmp_gt_f32_e32 vcc, 0, v10
	v_cndmask_b32_e64 v17, v10, -v10, vcc
	s_and_b64 vcc, exec, s[0:1]
	v_cmp_ge_f32_e64 s[2:3], v17, v1
	s_cbranch_vccnz .LBB85_55
; %bb.46:                               ;   in Loop: Header=BB85_5 Depth=1
                                        ; implicit-def: $vgpr16
                                        ; implicit-def: $vgpr14
	s_and_saveexec_b64 s[6:7], s[2:3]
	s_xor_b64 s[34:35], exec, s[6:7]
	s_cbranch_execz .LBB85_52
; %bb.47:                               ;   in Loop: Header=BB85_5 Depth=1
	v_cmp_neq_f32_e32 vcc, 0, v10
	v_cmp_neq_f32_e64 s[6:7], 0, v11
	s_or_b64 s[6:7], vcc, s[6:7]
                                        ; implicit-def: $vgpr16
                                        ; implicit-def: $vgpr14
	s_and_saveexec_b64 s[40:41], s[6:7]
	s_xor_b64 s[6:7], exec, s[40:41]
	s_cbranch_execz .LBB85_49
; %bb.48:                               ;   in Loop: Header=BB85_5 Depth=1
	v_div_scale_f32 v14, s[40:41], v10, v10, v11
	v_rcp_f32_e32 v15, v14
	v_div_scale_f32 v16, vcc, v11, v10, v11
	v_fma_f32 v21, -v14, v15, 1.0
	v_fmac_f32_e32 v15, v21, v15
	v_mul_f32_e32 v21, v16, v15
	v_fma_f32 v28, -v14, v21, v16
	v_fmac_f32_e32 v21, v28, v15
	v_fma_f32 v14, -v14, v21, v16
	v_div_fmas_f32 v14, v14, v15, v21
	v_div_fixup_f32 v15, v14, v10, v11
	v_fma_f32 v14, v11, v15, v10
	v_div_scale_f32 v16, s[40:41], v14, v14, 1.0
	v_rcp_f32_e32 v21, v16
	v_fma_f32 v28, -v16, v21, 1.0
	v_fmac_f32_e32 v21, v28, v21
	v_div_scale_f32 v28, vcc, 1.0, v14, 1.0
	v_mul_f32_e32 v29, v28, v21
	v_fma_f32 v30, -v16, v29, v28
	v_fmac_f32_e32 v29, v30, v21
	v_fma_f32 v16, -v16, v29, v28
	v_div_fmas_f32 v16, v16, v21, v29
	v_div_fixup_f32 v16, v16, v14, 1.0
	v_mov_b32_e32 v14, s12
	v_mov_b32_e32 v21, s13
	v_fma_f32 v14, s13, v15, v14
	v_fma_f32 v15, -v15, s12, v21
	v_mul_f32_e32 v14, v14, v16
	v_mul_f32_e32 v16, v15, v16
.LBB85_49:                              ;   in Loop: Header=BB85_5 Depth=1
	s_andn2_saveexec_b64 s[6:7], s[6:7]
	s_cbranch_execz .LBB85_51
; %bb.50:                               ;   in Loop: Header=BB85_5 Depth=1
	v_div_scale_f32 v14, s[40:41], v17, v17, s12
	v_rcp_f32_e32 v15, v14
	v_div_scale_f32 v16, vcc, s12, v17, s12
	v_fma_f32 v21, -v14, v15, 1.0
	v_fmac_f32_e32 v15, v21, v15
	v_mul_f32_e32 v21, v16, v15
	v_fma_f32 v28, -v14, v21, v16
	v_fmac_f32_e32 v21, v28, v15
	v_fma_f32 v14, -v14, v21, v16
	v_div_scale_f32 v16, s[40:41], v1, v1, s13
	v_rcp_f32_e32 v28, v16
	v_div_fmas_f32 v14, v14, v15, v21
	v_div_fixup_f32 v14, v14, v17, s12
	v_fma_f32 v15, -v16, v28, 1.0
	v_fmac_f32_e32 v28, v15, v28
	v_div_scale_f32 v15, vcc, s13, v1, s13
	v_mul_f32_e32 v21, v15, v28
	v_fma_f32 v29, -v16, v21, v15
	v_fmac_f32_e32 v21, v29, v28
	v_fma_f32 v15, -v16, v21, v15
	v_div_fmas_f32 v15, v15, v28, v21
	v_div_fixup_f32 v16, v15, v1, s13
.LBB85_51:                              ;   in Loop: Header=BB85_5 Depth=1
	s_or_b64 exec, exec, s[6:7]
.LBB85_52:                              ;   in Loop: Header=BB85_5 Depth=1
	s_andn2_saveexec_b64 s[6:7], s[34:35]
	s_cbranch_execz .LBB85_54
; %bb.53:                               ;   in Loop: Header=BB85_5 Depth=1
	v_div_scale_f32 v14, s[34:35], v11, v11, v10
	v_rcp_f32_e32 v15, v14
	v_div_scale_f32 v16, vcc, v10, v11, v10
	v_fma_f32 v21, -v14, v15, 1.0
	v_fmac_f32_e32 v15, v21, v15
	v_mul_f32_e32 v21, v16, v15
	v_fma_f32 v28, -v14, v21, v16
	v_fmac_f32_e32 v21, v28, v15
	v_fma_f32 v14, -v14, v21, v16
	v_div_fmas_f32 v14, v14, v15, v21
	v_div_fixup_f32 v15, v14, v11, v10
	v_fma_f32 v14, v10, v15, v11
	v_div_scale_f32 v16, s[34:35], v14, v14, 1.0
	v_rcp_f32_e32 v21, v16
	v_fma_f32 v28, -v16, v21, 1.0
	v_fmac_f32_e32 v21, v28, v21
	v_div_scale_f32 v28, vcc, 1.0, v14, 1.0
	v_mul_f32_e32 v29, v28, v21
	v_fma_f32 v30, -v16, v29, v28
	v_fmac_f32_e32 v29, v30, v21
	v_fma_f32 v16, -v16, v29, v28
	v_div_fmas_f32 v16, v16, v21, v29
	v_div_fixup_f32 v16, v16, v14, 1.0
	v_mov_b32_e32 v14, s13
	v_mov_b32_e32 v21, s12
	v_fma_f32 v14, s12, v15, v14
	v_fma_f32 v15, v15, s13, -v21
	v_mul_f32_e32 v14, v14, v16
	v_mul_f32_e32 v16, v15, v16
.LBB85_54:                              ;   in Loop: Header=BB85_5 Depth=1
	s_or_b64 exec, exec, s[6:7]
	v_pk_mul_f32 v[28:29], v[16:17], s[8:9] op_sel_hi:[0,1]
	v_pk_mul_f32 v[30:31], v[14:15], s[8:9] op_sel_hi:[0,1]
	v_pk_fma_f32 v[14:15], v[14:15], s[8:9], v[28:29] op_sel:[0,0,1] op_sel_hi:[0,1,0]
	v_sub_f32_e32 v14, v30, v29
	s_branch .LBB85_65
.LBB85_55:                              ;   in Loop: Header=BB85_5 Depth=1
                                        ; implicit-def: $vgpr15
	s_cbranch_execz .LBB85_65
; %bb.56:                               ;   in Loop: Header=BB85_5 Depth=1
                                        ; implicit-def: $vgpr15
	s_and_saveexec_b64 s[6:7], s[2:3]
	s_xor_b64 s[6:7], exec, s[6:7]
	s_cbranch_execz .LBB85_62
; %bb.57:                               ;   in Loop: Header=BB85_5 Depth=1
	v_cmp_neq_f32_e32 vcc, 0, v10
	v_cmp_neq_f32_e64 s[2:3], 0, v11
	s_or_b64 s[2:3], vcc, s[2:3]
                                        ; implicit-def: $vgpr15
	s_and_saveexec_b64 s[34:35], s[2:3]
	s_xor_b64 s[2:3], exec, s[34:35]
	s_cbranch_execz .LBB85_59
; %bb.58:                               ;   in Loop: Header=BB85_5 Depth=1
	v_div_scale_f32 v1, s[34:35], v10, v10, v11
	v_rcp_f32_e32 v14, v1
	v_div_scale_f32 v15, vcc, v11, v10, v11
	v_fma_f32 v16, -v1, v14, 1.0
	v_fmac_f32_e32 v14, v16, v14
	v_mul_f32_e32 v16, v15, v14
	v_fma_f32 v17, -v1, v16, v15
	v_fmac_f32_e32 v16, v17, v14
	v_fma_f32 v1, -v1, v16, v15
	v_div_fmas_f32 v1, v1, v14, v16
	v_div_fixup_f32 v14, v1, v10, v11
	v_fma_f32 v1, v11, v14, v10
	v_div_scale_f32 v15, s[34:35], v1, v1, 1.0
	v_rcp_f32_e32 v16, v15
	v_fma_f32 v17, -v15, v16, 1.0
	v_fmac_f32_e32 v16, v17, v16
	v_div_scale_f32 v17, vcc, 1.0, v1, 1.0
	v_mul_f32_e32 v21, v17, v16
	v_fma_f32 v28, -v15, v21, v17
	v_fmac_f32_e32 v21, v28, v16
	v_fma_f32 v15, -v15, v21, v17
	v_div_fmas_f32 v15, v15, v16, v21
	v_div_fixup_f32 v16, v15, v1, 1.0
	v_pk_mul_f32 v[14:15], v[14:15], s[12:13] op_sel_hi:[0,1]
	v_pk_add_f32 v[28:29], v[14:15], s[12:13] op_sel:[1,0] op_sel_hi:[0,1]
	v_pk_add_f32 v[14:15], s[12:13], v[14:15] op_sel:[0,1] op_sel_hi:[1,0] neg_lo:[0,1] neg_hi:[0,1]
	v_mov_b32_e32 v29, v15
	v_pk_mul_f32 v[14:15], v[28:29], v[16:17] op_sel_hi:[1,0]
                                        ; implicit-def: $vgpr17
                                        ; implicit-def: $vgpr1
.LBB85_59:                              ;   in Loop: Header=BB85_5 Depth=1
	s_andn2_saveexec_b64 s[2:3], s[2:3]
	s_cbranch_execz .LBB85_61
; %bb.60:                               ;   in Loop: Header=BB85_5 Depth=1
	v_div_scale_f32 v14, s[34:35], v17, v17, s12
	v_rcp_f32_e32 v15, v14
	v_div_scale_f32 v16, vcc, s12, v17, s12
	v_fma_f32 v21, -v14, v15, 1.0
	v_fmac_f32_e32 v15, v21, v15
	v_mul_f32_e32 v21, v16, v15
	v_fma_f32 v28, -v14, v21, v16
	v_fmac_f32_e32 v21, v28, v15
	v_fma_f32 v14, -v14, v21, v16
	v_div_scale_f32 v16, s[34:35], v1, v1, s13
	v_rcp_f32_e32 v28, v16
	v_div_fmas_f32 v14, v14, v15, v21
	v_div_fixup_f32 v14, v14, v17, s12
	v_fma_f32 v15, -v16, v28, 1.0
	v_fmac_f32_e32 v28, v15, v28
	v_div_scale_f32 v15, vcc, s13, v1, s13
	v_mul_f32_e32 v17, v15, v28
	v_fma_f32 v21, -v16, v17, v15
	v_fmac_f32_e32 v17, v21, v28
	v_fma_f32 v15, -v16, v17, v15
	v_div_fmas_f32 v15, v15, v28, v17
	v_div_fixup_f32 v15, v15, v1, s13
.LBB85_61:                              ;   in Loop: Header=BB85_5 Depth=1
	s_or_b64 exec, exec, s[2:3]
.LBB85_62:                              ;   in Loop: Header=BB85_5 Depth=1
	s_andn2_saveexec_b64 s[2:3], s[6:7]
	s_cbranch_execz .LBB85_64
; %bb.63:                               ;   in Loop: Header=BB85_5 Depth=1
	v_div_scale_f32 v1, s[6:7], v11, v11, v10
	v_rcp_f32_e32 v14, v1
	v_div_scale_f32 v15, vcc, v10, v11, v10
	v_fma_f32 v16, -v1, v14, 1.0
	v_fmac_f32_e32 v14, v16, v14
	v_mul_f32_e32 v16, v15, v14
	v_fma_f32 v17, -v1, v16, v15
	v_fmac_f32_e32 v16, v17, v14
	v_fma_f32 v1, -v1, v16, v15
	v_div_fmas_f32 v1, v1, v14, v16
	v_div_fixup_f32 v14, v1, v11, v10
	v_fma_f32 v1, v10, v14, v11
	v_div_scale_f32 v10, s[6:7], v1, v1, 1.0
	v_rcp_f32_e32 v11, v10
	v_fma_f32 v15, -v10, v11, 1.0
	v_fmac_f32_e32 v11, v15, v11
	v_div_scale_f32 v15, vcc, 1.0, v1, 1.0
	v_mul_f32_e32 v16, v15, v11
	v_fma_f32 v17, -v10, v16, v15
	v_fmac_f32_e32 v16, v17, v11
	v_fma_f32 v10, -v10, v16, v15
	v_div_fmas_f32 v10, v10, v11, v16
	v_pk_mov_b32 v[16:17], s[22:23], s[22:23] op_sel:[0,1]
	v_pk_fma_f32 v[28:29], v[14:15], s[12:13], v[16:17]
	v_pk_fma_f32 v[14:15], v[14:15], s[12:13], v[16:17] op_sel_hi:[0,1,1] neg_lo:[0,0,1] neg_hi:[0,0,1]
	v_div_fixup_f32 v10, v10, v1, 1.0
	v_mov_b32_e32 v29, v15
	v_pk_mul_f32 v[14:15], v[28:29], v[10:11] op_sel_hi:[1,0]
.LBB85_64:                              ;   in Loop: Header=BB85_5 Depth=1
	s_or_b64 exec, exec, s[2:3]
.LBB85_65:                              ;   in Loop: Header=BB85_5 Depth=1
	v_cmp_gt_f32_e32 vcc, 0, v13
	v_cndmask_b32_e64 v1, v13, -v13, vcc
	v_cmp_gt_f32_e32 vcc, 0, v12
	v_cndmask_b32_e64 v11, v12, -v12, vcc
	s_and_b64 vcc, exec, s[0:1]
	v_cmp_ge_f32_e64 s[0:1], v11, v1
	s_cbranch_vccnz .LBB85_75
; %bb.66:                               ;   in Loop: Header=BB85_5 Depth=1
                                        ; implicit-def: $vgpr16
                                        ; implicit-def: $vgpr10
	s_and_saveexec_b64 s[2:3], s[0:1]
	s_xor_b64 s[6:7], exec, s[2:3]
	s_cbranch_execz .LBB85_72
; %bb.67:                               ;   in Loop: Header=BB85_5 Depth=1
	v_cmp_neq_f32_e32 vcc, 0, v12
	v_cmp_neq_f32_e64 s[2:3], 0, v13
	s_or_b64 s[2:3], vcc, s[2:3]
                                        ; implicit-def: $vgpr16
                                        ; implicit-def: $vgpr10
	s_and_saveexec_b64 s[34:35], s[2:3]
	s_xor_b64 s[2:3], exec, s[34:35]
	s_cbranch_execz .LBB85_69
; %bb.68:                               ;   in Loop: Header=BB85_5 Depth=1
	v_div_scale_f32 v10, s[34:35], v12, v12, v13
	v_rcp_f32_e32 v16, v10
	v_div_scale_f32 v17, vcc, v13, v12, v13
	v_fma_f32 v21, -v10, v16, 1.0
	v_fmac_f32_e32 v16, v21, v16
	v_mul_f32_e32 v21, v17, v16
	v_fma_f32 v28, -v10, v21, v17
	v_fmac_f32_e32 v21, v28, v16
	v_fma_f32 v10, -v10, v21, v17
	v_div_fmas_f32 v10, v10, v16, v21
	v_div_fixup_f32 v16, v10, v12, v13
	v_fma_f32 v10, v13, v16, v12
	v_div_scale_f32 v17, s[34:35], v10, v10, 1.0
	v_rcp_f32_e32 v21, v17
	v_fma_f32 v28, -v17, v21, 1.0
	v_fmac_f32_e32 v21, v28, v21
	v_div_scale_f32 v28, vcc, 1.0, v10, 1.0
	v_mul_f32_e32 v29, v28, v21
	v_fma_f32 v30, -v17, v29, v28
	v_fmac_f32_e32 v29, v30, v21
	v_fma_f32 v17, -v17, v29, v28
	v_div_fmas_f32 v17, v17, v21, v29
	v_div_fixup_f32 v17, v17, v10, 1.0
	v_mov_b32_e32 v10, s12
	v_mov_b32_e32 v21, s13
	v_fma_f32 v10, s13, v16, v10
	v_fma_f32 v16, -v16, s12, v21
	v_mul_f32_e32 v10, v10, v17
	v_mul_f32_e32 v16, v16, v17
.LBB85_69:                              ;   in Loop: Header=BB85_5 Depth=1
	s_andn2_saveexec_b64 s[2:3], s[2:3]
	s_cbranch_execz .LBB85_71
; %bb.70:                               ;   in Loop: Header=BB85_5 Depth=1
	v_div_scale_f32 v10, s[34:35], v11, v11, s12
	v_rcp_f32_e32 v16, v10
	v_div_scale_f32 v17, vcc, s12, v11, s12
	v_fma_f32 v21, -v10, v16, 1.0
	v_fmac_f32_e32 v16, v21, v16
	v_mul_f32_e32 v21, v17, v16
	v_fma_f32 v28, -v10, v21, v17
	v_fmac_f32_e32 v21, v28, v16
	v_fma_f32 v10, -v10, v21, v17
	v_div_scale_f32 v17, s[34:35], v1, v1, s13
	v_rcp_f32_e32 v28, v17
	v_div_fmas_f32 v10, v10, v16, v21
	v_div_fixup_f32 v10, v10, v11, s12
	v_fma_f32 v16, -v17, v28, 1.0
	v_fmac_f32_e32 v28, v16, v28
	v_div_scale_f32 v16, vcc, s13, v1, s13
	v_mul_f32_e32 v21, v16, v28
	v_fma_f32 v29, -v17, v21, v16
	v_fmac_f32_e32 v21, v29, v28
	v_fma_f32 v16, -v17, v21, v16
	v_div_fmas_f32 v16, v16, v28, v21
	v_div_fixup_f32 v16, v16, v1, s13
.LBB85_71:                              ;   in Loop: Header=BB85_5 Depth=1
	s_or_b64 exec, exec, s[2:3]
.LBB85_72:                              ;   in Loop: Header=BB85_5 Depth=1
	s_andn2_saveexec_b64 s[2:3], s[6:7]
	s_cbranch_execz .LBB85_74
; %bb.73:                               ;   in Loop: Header=BB85_5 Depth=1
	v_div_scale_f32 v10, s[6:7], v13, v13, v12
	v_rcp_f32_e32 v16, v10
	v_div_scale_f32 v17, vcc, v12, v13, v12
	v_fma_f32 v21, -v10, v16, 1.0
	v_fmac_f32_e32 v16, v21, v16
	v_mul_f32_e32 v21, v17, v16
	v_fma_f32 v28, -v10, v21, v17
	v_fmac_f32_e32 v21, v28, v16
	v_fma_f32 v10, -v10, v21, v17
	v_div_fmas_f32 v10, v10, v16, v21
	v_div_fixup_f32 v16, v10, v13, v12
	v_fma_f32 v10, v12, v16, v13
	v_div_scale_f32 v17, s[6:7], v10, v10, 1.0
	v_rcp_f32_e32 v21, v17
	v_fma_f32 v28, -v17, v21, 1.0
	v_fmac_f32_e32 v21, v28, v21
	v_div_scale_f32 v28, vcc, 1.0, v10, 1.0
	v_mul_f32_e32 v29, v28, v21
	v_fma_f32 v30, -v17, v29, v28
	v_fmac_f32_e32 v29, v30, v21
	v_fma_f32 v17, -v17, v29, v28
	v_div_fmas_f32 v17, v17, v21, v29
	v_div_fixup_f32 v17, v17, v10, 1.0
	v_mov_b32_e32 v10, s13
	v_mov_b32_e32 v21, s12
	v_fma_f32 v10, s12, v16, v10
	v_fma_f32 v16, v16, s13, -v21
	v_mul_f32_e32 v10, v10, v17
	v_mul_f32_e32 v16, v16, v17
.LBB85_74:                              ;   in Loop: Header=BB85_5 Depth=1
	s_or_b64 exec, exec, s[2:3]
	v_pk_mul_f32 v[28:29], v[16:17], s[8:9] op_sel_hi:[0,1]
	v_pk_mul_f32 v[30:31], v[10:11], s[8:9] op_sel_hi:[0,1]
	v_pk_fma_f32 v[16:17], v[10:11], s[8:9], v[28:29] op_sel:[0,0,1] op_sel_hi:[0,1,0]
	v_sub_f32_e32 v16, v30, v29
	s_branch .LBB85_4
.LBB85_75:                              ;   in Loop: Header=BB85_5 Depth=1
                                        ; implicit-def: $vgpr17
	s_cbranch_execz .LBB85_4
; %bb.76:                               ;   in Loop: Header=BB85_5 Depth=1
                                        ; implicit-def: $vgpr17
	s_and_saveexec_b64 s[2:3], s[0:1]
	s_xor_b64 s[2:3], exec, s[2:3]
	s_cbranch_execz .LBB85_82
; %bb.77:                               ;   in Loop: Header=BB85_5 Depth=1
	v_cmp_neq_f32_e32 vcc, 0, v12
	v_cmp_neq_f32_e64 s[0:1], 0, v13
	s_or_b64 s[0:1], vcc, s[0:1]
                                        ; implicit-def: $vgpr17
	s_and_saveexec_b64 s[6:7], s[0:1]
	s_xor_b64 s[0:1], exec, s[6:7]
	s_cbranch_execz .LBB85_79
; %bb.78:                               ;   in Loop: Header=BB85_5 Depth=1
	v_div_scale_f32 v1, s[6:7], v12, v12, v13
	v_rcp_f32_e32 v10, v1
	v_div_scale_f32 v11, vcc, v13, v12, v13
	v_fma_f32 v16, -v1, v10, 1.0
	v_fmac_f32_e32 v10, v16, v10
	v_mul_f32_e32 v16, v11, v10
	v_fma_f32 v17, -v1, v16, v11
	v_fmac_f32_e32 v16, v17, v10
	v_fma_f32 v1, -v1, v16, v11
	v_div_fmas_f32 v1, v1, v10, v16
	v_div_fixup_f32 v10, v1, v12, v13
	v_fmac_f32_e32 v12, v13, v10
	v_div_scale_f32 v1, s[6:7], v12, v12, 1.0
	v_rcp_f32_e32 v11, v1
	v_fma_f32 v13, -v1, v11, 1.0
	v_fmac_f32_e32 v11, v13, v11
	v_div_scale_f32 v13, vcc, 1.0, v12, 1.0
	v_mul_f32_e32 v16, v13, v11
	v_fma_f32 v17, -v1, v16, v13
	v_fmac_f32_e32 v16, v17, v11
	v_fma_f32 v1, -v1, v16, v13
	v_div_fmas_f32 v1, v1, v11, v16
	v_pk_mul_f32 v[10:11], v[10:11], s[12:13] op_sel_hi:[0,1]
	v_pk_add_f32 v[16:17], v[10:11], s[12:13] op_sel:[1,0] op_sel_hi:[0,1]
	v_pk_add_f32 v[10:11], s[12:13], v[10:11] op_sel:[0,1] op_sel_hi:[1,0] neg_lo:[0,1] neg_hi:[0,1]
	v_div_fixup_f32 v12, v1, v12, 1.0
	v_mov_b32_e32 v17, v11
	v_pk_mul_f32 v[16:17], v[16:17], v[12:13] op_sel_hi:[1,0]
                                        ; implicit-def: $vgpr11
                                        ; implicit-def: $vgpr1
.LBB85_79:                              ;   in Loop: Header=BB85_5 Depth=1
	s_andn2_saveexec_b64 s[0:1], s[0:1]
	s_cbranch_execz .LBB85_81
; %bb.80:                               ;   in Loop: Header=BB85_5 Depth=1
	v_div_scale_f32 v10, s[6:7], v11, v11, s12
	v_rcp_f32_e32 v12, v10
	v_div_scale_f32 v13, vcc, s12, v11, s12
	v_fma_f32 v16, -v10, v12, 1.0
	v_fmac_f32_e32 v12, v16, v12
	v_mul_f32_e32 v16, v13, v12
	v_fma_f32 v17, -v10, v16, v13
	v_fmac_f32_e32 v16, v17, v12
	v_fma_f32 v10, -v10, v16, v13
	v_div_scale_f32 v13, s[6:7], v1, v1, s13
	v_rcp_f32_e32 v17, v13
	v_div_fmas_f32 v10, v10, v12, v16
	v_div_fixup_f32 v16, v10, v11, s12
	v_fma_f32 v10, -v13, v17, 1.0
	v_fmac_f32_e32 v17, v10, v17
	v_div_scale_f32 v10, vcc, s13, v1, s13
	v_mul_f32_e32 v11, v10, v17
	v_fma_f32 v12, -v13, v11, v10
	v_fmac_f32_e32 v11, v12, v17
	v_fma_f32 v10, -v13, v11, v10
	v_div_fmas_f32 v10, v10, v17, v11
	v_div_fixup_f32 v17, v10, v1, s13
.LBB85_81:                              ;   in Loop: Header=BB85_5 Depth=1
	s_or_b64 exec, exec, s[0:1]
                                        ; implicit-def: $vgpr10_vgpr11_vgpr12_vgpr13
.LBB85_82:                              ;   in Loop: Header=BB85_5 Depth=1
	s_andn2_saveexec_b64 s[0:1], s[2:3]
	s_cbranch_execz .LBB85_3
; %bb.83:                               ;   in Loop: Header=BB85_5 Depth=1
	v_div_scale_f32 v1, s[2:3], v13, v13, v12
	v_rcp_f32_e32 v10, v1
	v_div_scale_f32 v11, vcc, v12, v13, v12
	v_fma_f32 v16, -v1, v10, 1.0
	v_fmac_f32_e32 v10, v16, v10
	v_mul_f32_e32 v16, v11, v10
	v_fma_f32 v17, -v1, v16, v11
	v_fmac_f32_e32 v16, v17, v10
	v_fma_f32 v1, -v1, v16, v11
	v_div_fmas_f32 v1, v1, v10, v16
	v_div_fixup_f32 v10, v1, v13, v12
	v_fmac_f32_e32 v13, v12, v10
	v_div_scale_f32 v1, s[2:3], v13, v13, 1.0
	v_rcp_f32_e32 v11, v1
	v_fma_f32 v12, -v1, v11, 1.0
	v_fmac_f32_e32 v11, v12, v11
	v_div_scale_f32 v12, vcc, 1.0, v13, 1.0
	v_mul_f32_e32 v16, v12, v11
	v_fma_f32 v17, -v1, v16, v12
	v_fmac_f32_e32 v16, v17, v11
	v_fma_f32 v1, -v1, v16, v12
	v_div_fmas_f32 v1, v1, v11, v16
	v_pk_mov_b32 v[16:17], s[22:23], s[22:23] op_sel:[0,1]
	v_pk_fma_f32 v[28:29], v[10:11], s[12:13], v[16:17]
	v_pk_fma_f32 v[10:11], v[10:11], s[12:13], v[16:17] op_sel_hi:[0,1,1] neg_lo:[0,0,1] neg_hi:[0,0,1]
	v_div_fixup_f32 v12, v1, v13, 1.0
	v_mov_b32_e32 v29, v11
	v_pk_mul_f32 v[16:17], v[28:29], v[12:13] op_sel_hi:[1,0]
	s_branch .LBB85_3
.LBB85_84:
	s_or_b64 exec, exec, s[18:19]
	s_mov_b64 s[0:1], 0
.LBB85_85:
	s_andn2_b64 vcc, exec, s[0:1]
	s_cbranch_vccnz .LBB85_185
; %bb.86:
	v_cmp_lt_i64_e64 s[0:1], s[14:15], 1
	s_and_b64 vcc, exec, s[0:1]
	s_cbranch_vccnz .LBB85_185
; %bb.87:
	s_load_dword s2, s[4:5], 0xc64
	s_and_b32 s3, s9, 0x7fffffff
	v_mov_b32_e32 v2, 0x10000
	v_cmp_neq_f32_e64 s[0:1], s8, 1.0
	v_mov_b32_e32 v3, 0
	s_waitcnt lgkmcnt(0)
	s_and_b32 s29, s2, 0xffff
	s_cmp_lg_u32 s3, 0
	s_cselect_b64 s[2:3], -1, 0
	s_or_b64 s[6:7], s[0:1], s[2:3]
	v_cmp_lt_u64_e32 vcc, s[14:15], v[2:3]
	v_lshlrev_b32_e32 v10, 3, v0
	s_and_b64 s[0:1], vcc, exec
	v_mov_b32_e32 v15, s25
	v_add_co_u32_e32 v2, vcc, s24, v10
	v_mov_b32_e32 v1, 0
	v_addc_co_u32_e32 v3, vcc, 0, v15, vcc
	v_mov_b32_e32 v11, v1
	v_mov_b32_e32 v17, s27
	v_add_co_u32_e32 v4, vcc, s26, v10
	v_addc_co_u32_e32 v5, vcc, 0, v17, vcc
	v_mad_u64_u32 v[8:9], s[0:1], s29, 24, v[10:11]
	v_add_co_u32_e32 v6, vcc, s24, v8
	v_addc_co_u32_e32 v7, vcc, v15, v9, vcc
	v_add_co_u32_e32 v8, vcc, s26, v8
	s_cselect_b32 s21, s15, 0
	s_cselect_b32 s20, s14, 0x10000
	v_addc_co_u32_e32 v9, vcc, v17, v9, vcc
	s_lshl_b32 s0, s29, 4
	v_add_co_u32_e32 v12, vcc, s0, v10
	v_addc_co_u32_e64 v13, s[0:1], 0, 0, vcc
	v_add_co_u32_e32 v10, vcc, s24, v12
	v_addc_co_u32_e32 v11, vcc, v15, v13, vcc
	v_add_co_u32_e32 v12, vcc, s26, v12
	v_addc_co_u32_e32 v13, vcc, v17, v13, vcc
	v_add_lshl_u32 v16, v0, s29, 3
	v_add_co_u32_e32 v14, vcc, s24, v16
	s_mov_b32 s28, 0
	v_addc_co_u32_e32 v15, vcc, 0, v15, vcc
	s_lshl_b32 s22, s29, 2
	s_mov_b32 s23, s28
	v_add_co_u32_e32 v16, vcc, s26, v16
	s_mov_b32 s16, s13
	s_mov_b32 s17, s12
	s_mov_b64 s[18:19], 0x10000
	s_lshl_b32 s30, s29, 1
	s_mov_b32 s31, s28
	s_mul_i32 s33, s29, 3
	s_mov_b32 s34, s28
	s_lshl_b32 s35, s29, 5
	s_mov_b32 s36, s28
	v_addc_co_u32_e32 v17, vcc, 0, v17, vcc
	s_mov_b64 s[24:25], s[22:23]
	s_branch .LBB85_89
.LBB85_88:                              ;   in Loop: Header=BB85_89 Depth=1
	s_or_b64 exec, exec, s[0:1]
	v_pk_mov_b32 v[18:19], s[14:15], s[14:15] op_sel:[0,1]
	v_cmp_ge_i64_e32 vcc, s[24:25], v[18:19]
	v_mov_b32_e32 v18, 0xffff
	v_mov_b32_e32 v19, 0
	v_cmp_gt_u64_e64 s[0:1], s[24:25], v[18:19]
	s_or_b64 s[0:1], vcc, s[0:1]
	v_mov_b32_e32 v18, s36
	v_add_co_u32_e32 v2, vcc, s35, v2
	v_addc_co_u32_e32 v3, vcc, v3, v18, vcc
	v_add_co_u32_e32 v4, vcc, s35, v4
	v_addc_co_u32_e32 v5, vcc, v5, v18, vcc
	v_mov_b32_e32 v19, s23
	v_add_co_u32_e32 v0, vcc, s22, v0
	v_addc_co_u32_e32 v1, vcc, v1, v19, vcc
	v_add_co_u32_e32 v6, vcc, s35, v6
	v_addc_co_u32_e32 v7, vcc, v7, v18, vcc
	;; [unrolled: 2-line block ×6, first 2 shown]
	v_add_co_u32_e32 v16, vcc, s35, v16
	s_add_u32 s24, s24, s22
	v_addc_co_u32_e32 v17, vcc, v17, v18, vcc
	s_addc_u32 s25, s25, 0
	s_and_b64 vcc, exec, s[0:1]
	s_cbranch_vccnz .LBB85_185
.LBB85_89:                              ; =>This Inner Loop Header: Depth=1
	v_cmp_gt_i64_e32 vcc, s[14:15], v[0:1]
	v_cmp_gt_u64_e64 s[0:1], s[18:19], v[0:1]
	s_and_b64 s[2:3], vcc, s[0:1]
	v_mov_b32_e32 v18, 0
	v_mov_b32_e32 v19, 0
	;; [unrolled: 1-line block ×4, first 2 shown]
	s_and_saveexec_b64 s[0:1], s[2:3]
	s_cbranch_execz .LBB85_91
; %bb.90:                               ;   in Loop: Header=BB85_89 Depth=1
	v_mov_b32_e32 v18, s11
	v_add_co_u32_e32 v20, vcc, s10, v4
	v_addc_co_u32_e32 v21, vcc, v5, v18, vcc
	v_add_co_u32_e32 v22, vcc, s10, v2
	v_addc_co_u32_e32 v23, vcc, v3, v18, vcc
	global_load_dwordx2 v[18:19], v[22:23], off
	global_load_dwordx2 v[38:39], v[20:21], off
.LBB85_91:                              ;   in Loop: Header=BB85_89 Depth=1
	s_or_b64 exec, exec, s[0:1]
	v_mov_b32_e32 v20, s28
	v_add_co_u32_e32 v22, vcc, s29, v0
	v_addc_co_u32_e32 v23, vcc, v20, v1, vcc
	v_cmp_gt_i64_e32 vcc, s[14:15], v[22:23]
	v_cmp_gt_u64_e64 s[0:1], s[18:19], v[22:23]
	s_and_b64 s[2:3], vcc, s[0:1]
	v_mov_b32_e32 v20, 0
	v_mov_b32_e32 v24, 0
	;; [unrolled: 1-line block ×5, first 2 shown]
	s_and_saveexec_b64 s[0:1], s[2:3]
	s_cbranch_execz .LBB85_93
; %bb.92:                               ;   in Loop: Header=BB85_89 Depth=1
	v_mov_b32_e32 v21, s11
	v_add_co_u32_e32 v26, vcc, s10, v16
	v_addc_co_u32_e32 v27, vcc, v17, v21, vcc
	v_add_co_u32_e32 v28, vcc, s10, v14
	v_addc_co_u32_e32 v29, vcc, v15, v21, vcc
	global_load_dwordx2 v[24:25], v[28:29], off
	global_load_dwordx2 v[40:41], v[26:27], off
.LBB85_93:                              ;   in Loop: Header=BB85_89 Depth=1
	s_or_b64 exec, exec, s[0:1]
	v_mov_b32_e32 v21, s31
	v_add_co_u32_e32 v26, vcc, s30, v0
	v_addc_co_u32_e32 v27, vcc, v21, v1, vcc
	v_cmp_gt_i64_e32 vcc, s[14:15], v[26:27]
	v_cmp_gt_u64_e64 s[0:1], s[18:19], v[26:27]
	s_and_b64 s[2:3], vcc, s[0:1]
	v_mov_b32_e32 v21, 0
	v_mov_b32_e32 v36, 0
	;; [unrolled: 1-line block ×3, first 2 shown]
	s_and_saveexec_b64 s[0:1], s[2:3]
	s_cbranch_execz .LBB85_95
; %bb.94:                               ;   in Loop: Header=BB85_89 Depth=1
	v_mov_b32_e32 v20, s11
	v_add_co_u32_e32 v28, vcc, s10, v12
	v_addc_co_u32_e32 v29, vcc, v13, v20, vcc
	v_add_co_u32_e32 v30, vcc, s10, v10
	v_addc_co_u32_e32 v31, vcc, v11, v20, vcc
	global_load_dwordx2 v[20:21], v[30:31], off
	global_load_dwordx2 v[36:37], v[28:29], off
.LBB85_95:                              ;   in Loop: Header=BB85_89 Depth=1
	s_or_b64 exec, exec, s[0:1]
	v_mov_b32_e32 v29, s34
	v_add_co_u32_e32 v28, vcc, s33, v0
	v_addc_co_u32_e32 v29, vcc, v29, v1, vcc
	v_cmp_gt_i64_e32 vcc, s[14:15], v[28:29]
	v_cmp_gt_u64_e64 s[0:1], s[18:19], v[28:29]
	s_and_b64 s[2:3], vcc, s[0:1]
	v_mov_b32_e32 v30, 0
	v_mov_b32_e32 v31, 0
	;; [unrolled: 1-line block ×4, first 2 shown]
	s_and_saveexec_b64 s[0:1], s[2:3]
	s_cbranch_execz .LBB85_97
; %bb.96:                               ;   in Loop: Header=BB85_89 Depth=1
	v_mov_b32_e32 v30, s11
	v_add_co_u32_e32 v34, vcc, s10, v8
	v_addc_co_u32_e32 v35, vcc, v9, v30, vcc
	v_add_co_u32_e32 v42, vcc, s10, v6
	v_addc_co_u32_e32 v43, vcc, v7, v30, vcc
	global_load_dwordx2 v[30:31], v[42:43], off
	global_load_dwordx2 v[32:33], v[34:35], off
.LBB85_97:                              ;   in Loop: Header=BB85_89 Depth=1
	s_or_b64 exec, exec, s[0:1]
	s_waitcnt vmcnt(0)
	v_cmp_gt_f32_e32 vcc, 0, v39
	v_cndmask_b32_e64 v43, v39, -v39, vcc
	v_cmp_gt_f32_e32 vcc, 0, v38
	v_cndmask_b32_e64 v44, v38, -v38, vcc
	v_cmp_ge_f32_e64 s[0:1], v44, v43
	s_and_b64 vcc, exec, s[6:7]
	s_cbranch_vccz .LBB85_107
; %bb.98:                               ;   in Loop: Header=BB85_89 Depth=1
                                        ; implicit-def: $vgpr42
                                        ; implicit-def: $vgpr34
	s_and_saveexec_b64 s[2:3], s[0:1]
	s_xor_b64 s[4:5], exec, s[2:3]
	s_cbranch_execz .LBB85_104
; %bb.99:                               ;   in Loop: Header=BB85_89 Depth=1
	v_cmp_neq_f32_e32 vcc, 0, v38
	v_cmp_neq_f32_e64 s[2:3], 0, v39
	s_or_b64 s[2:3], s[2:3], vcc
                                        ; implicit-def: $vgpr42
                                        ; implicit-def: $vgpr34
	s_and_saveexec_b64 s[26:27], s[2:3]
	s_xor_b64 s[2:3], exec, s[26:27]
	s_cbranch_execz .LBB85_101
; %bb.100:                              ;   in Loop: Header=BB85_89 Depth=1
	v_div_scale_f32 v34, s[26:27], v38, v38, v39
	v_rcp_f32_e32 v35, v34
	v_div_scale_f32 v42, vcc, v39, v38, v39
	v_fma_f32 v45, -v34, v35, 1.0
	v_fmac_f32_e32 v35, v45, v35
	v_mul_f32_e32 v45, v42, v35
	v_fma_f32 v46, -v34, v45, v42
	v_fmac_f32_e32 v45, v46, v35
	v_fma_f32 v34, -v34, v45, v42
	v_div_fmas_f32 v34, v34, v35, v45
	v_div_fixup_f32 v35, v34, v38, v39
	v_fma_f32 v34, v39, v35, v38
	v_div_scale_f32 v42, s[26:27], v34, v34, 1.0
	v_rcp_f32_e32 v45, v42
	v_fma_f32 v46, -v42, v45, 1.0
	v_fmac_f32_e32 v45, v46, v45
	v_div_scale_f32 v46, vcc, 1.0, v34, 1.0
	v_mul_f32_e32 v47, v46, v45
	v_fma_f32 v48, -v42, v47, v46
	v_fmac_f32_e32 v47, v48, v45
	v_fma_f32 v42, -v42, v47, v46
	v_div_fmas_f32 v42, v42, v45, v47
	v_div_fixup_f32 v42, v42, v34, 1.0
	v_mov_b32_e32 v34, s12
	v_mov_b32_e32 v45, s13
	v_fma_f32 v34, s13, v35, v34
	v_fma_f32 v35, -v35, s12, v45
	v_mul_f32_e32 v34, v34, v42
	v_mul_f32_e32 v42, v35, v42
.LBB85_101:                             ;   in Loop: Header=BB85_89 Depth=1
	s_andn2_saveexec_b64 s[2:3], s[2:3]
	s_cbranch_execz .LBB85_103
; %bb.102:                              ;   in Loop: Header=BB85_89 Depth=1
	v_div_scale_f32 v34, s[26:27], v44, v44, s12
	v_rcp_f32_e32 v35, v34
	v_div_scale_f32 v42, vcc, s12, v44, s12
	v_fma_f32 v45, -v34, v35, 1.0
	v_fmac_f32_e32 v35, v45, v35
	v_mul_f32_e32 v45, v42, v35
	v_fma_f32 v46, -v34, v45, v42
	v_fmac_f32_e32 v45, v46, v35
	v_fma_f32 v34, -v34, v45, v42
	v_div_scale_f32 v42, s[26:27], v43, v43, s13
	v_rcp_f32_e32 v46, v42
	v_div_fmas_f32 v34, v34, v35, v45
	v_div_fixup_f32 v34, v34, v44, s12
	v_fma_f32 v35, -v42, v46, 1.0
	v_fmac_f32_e32 v46, v35, v46
	v_div_scale_f32 v35, vcc, s13, v43, s13
	v_mul_f32_e32 v45, v35, v46
	v_fma_f32 v47, -v42, v45, v35
	v_fmac_f32_e32 v45, v47, v46
	v_fma_f32 v35, -v42, v45, v35
	v_div_fmas_f32 v35, v35, v46, v45
	v_div_fixup_f32 v42, v35, v43, s13
.LBB85_103:                             ;   in Loop: Header=BB85_89 Depth=1
	s_or_b64 exec, exec, s[2:3]
.LBB85_104:                             ;   in Loop: Header=BB85_89 Depth=1
	s_andn2_saveexec_b64 s[2:3], s[4:5]
	s_cbranch_execz .LBB85_106
; %bb.105:                              ;   in Loop: Header=BB85_89 Depth=1
	v_div_scale_f32 v34, s[4:5], v39, v39, v38
	v_rcp_f32_e32 v35, v34
	v_div_scale_f32 v42, vcc, v38, v39, v38
	v_fma_f32 v45, -v34, v35, 1.0
	v_fmac_f32_e32 v35, v45, v35
	v_mul_f32_e32 v45, v42, v35
	v_fma_f32 v46, -v34, v45, v42
	v_fmac_f32_e32 v45, v46, v35
	v_fma_f32 v34, -v34, v45, v42
	v_div_fmas_f32 v34, v34, v35, v45
	v_div_fixup_f32 v35, v34, v39, v38
	v_fma_f32 v34, v38, v35, v39
	v_div_scale_f32 v42, s[4:5], v34, v34, 1.0
	v_rcp_f32_e32 v45, v42
	v_fma_f32 v46, -v42, v45, 1.0
	v_fmac_f32_e32 v45, v46, v45
	v_div_scale_f32 v46, vcc, 1.0, v34, 1.0
	v_mul_f32_e32 v47, v46, v45
	v_fma_f32 v48, -v42, v47, v46
	v_fmac_f32_e32 v47, v48, v45
	v_fma_f32 v42, -v42, v47, v46
	v_div_fmas_f32 v42, v42, v45, v47
	v_div_fixup_f32 v42, v42, v34, 1.0
	v_mov_b32_e32 v34, s13
	v_mov_b32_e32 v45, s12
	v_fma_f32 v34, s12, v35, v34
	v_fma_f32 v35, v35, s13, -v45
	v_mul_f32_e32 v34, v34, v42
	v_mul_f32_e32 v42, v35, v42
.LBB85_106:                             ;   in Loop: Header=BB85_89 Depth=1
	s_or_b64 exec, exec, s[2:3]
	v_pk_mul_f32 v[46:47], v[42:43], s[8:9] op_sel_hi:[0,1]
	v_pk_mul_f32 v[48:49], v[34:35], s[8:9] op_sel_hi:[0,1]
	v_pk_fma_f32 v[34:35], v[34:35], s[8:9], v[46:47] op_sel:[0,0,1] op_sel_hi:[0,1,0]
	v_sub_f32_e32 v34, v48, v47
	s_branch .LBB85_117
.LBB85_107:                             ;   in Loop: Header=BB85_89 Depth=1
                                        ; implicit-def: $vgpr35
	s_cbranch_execz .LBB85_117
; %bb.108:                              ;   in Loop: Header=BB85_89 Depth=1
                                        ; implicit-def: $vgpr35
	s_and_saveexec_b64 s[2:3], s[0:1]
	s_xor_b64 s[2:3], exec, s[2:3]
	s_cbranch_execz .LBB85_114
; %bb.109:                              ;   in Loop: Header=BB85_89 Depth=1
	v_cmp_neq_f32_e32 vcc, 0, v38
	v_cmp_neq_f32_e64 s[0:1], 0, v39
	s_or_b64 s[0:1], s[0:1], vcc
                                        ; implicit-def: $vgpr35
	s_and_saveexec_b64 s[4:5], s[0:1]
	s_xor_b64 s[0:1], exec, s[4:5]
	s_cbranch_execz .LBB85_111
; %bb.110:                              ;   in Loop: Header=BB85_89 Depth=1
	v_div_scale_f32 v34, s[4:5], v38, v38, v39
	v_rcp_f32_e32 v35, v34
	v_div_scale_f32 v42, vcc, v39, v38, v39
	v_fma_f32 v43, -v34, v35, 1.0
	v_fmac_f32_e32 v35, v43, v35
	v_mul_f32_e32 v43, v42, v35
	v_fma_f32 v44, -v34, v43, v42
	v_fmac_f32_e32 v43, v44, v35
	v_fma_f32 v34, -v34, v43, v42
	v_div_fmas_f32 v34, v34, v35, v43
	v_div_fixup_f32 v34, v34, v38, v39
	v_fmac_f32_e32 v38, v39, v34
	v_div_scale_f32 v35, s[4:5], v38, v38, 1.0
	v_rcp_f32_e32 v39, v35
	v_fma_f32 v42, -v35, v39, 1.0
	v_fmac_f32_e32 v39, v42, v39
	v_div_scale_f32 v42, vcc, 1.0, v38, 1.0
	v_mul_f32_e32 v43, v42, v39
	v_fma_f32 v44, -v35, v43, v42
	v_fmac_f32_e32 v43, v44, v39
	v_fma_f32 v35, -v35, v43, v42
	v_div_fmas_f32 v35, v35, v39, v43
	v_div_fixup_f32 v38, v35, v38, 1.0
	v_pk_mul_f32 v[34:35], v[34:35], s[12:13] op_sel_hi:[0,1]
	v_pk_add_f32 v[42:43], v[34:35], s[12:13] op_sel:[1,0] op_sel_hi:[0,1]
	v_pk_add_f32 v[34:35], s[12:13], v[34:35] op_sel:[0,1] op_sel_hi:[1,0] neg_lo:[0,1] neg_hi:[0,1]
	v_mov_b32_e32 v43, v35
	v_pk_mul_f32 v[34:35], v[42:43], v[38:39] op_sel_hi:[1,0]
                                        ; implicit-def: $vgpr44
                                        ; implicit-def: $vgpr43
.LBB85_111:                             ;   in Loop: Header=BB85_89 Depth=1
	s_andn2_saveexec_b64 s[0:1], s[0:1]
	s_cbranch_execz .LBB85_113
; %bb.112:                              ;   in Loop: Header=BB85_89 Depth=1
	v_div_scale_f32 v34, s[4:5], v44, v44, s12
	v_rcp_f32_e32 v35, v34
	v_div_scale_f32 v38, vcc, s12, v44, s12
	v_fma_f32 v39, -v34, v35, 1.0
	v_fmac_f32_e32 v35, v39, v35
	v_mul_f32_e32 v39, v38, v35
	v_fma_f32 v42, -v34, v39, v38
	v_fmac_f32_e32 v39, v42, v35
	v_fma_f32 v34, -v34, v39, v38
	v_div_scale_f32 v38, s[4:5], v43, v43, s13
	v_rcp_f32_e32 v42, v38
	v_div_fmas_f32 v34, v34, v35, v39
	v_div_fixup_f32 v34, v34, v44, s12
	v_fma_f32 v35, -v38, v42, 1.0
	v_fmac_f32_e32 v42, v35, v42
	v_div_scale_f32 v35, vcc, s13, v43, s13
	v_mul_f32_e32 v39, v35, v42
	v_fma_f32 v44, -v38, v39, v35
	v_fmac_f32_e32 v39, v44, v42
	v_fma_f32 v35, -v38, v39, v35
	v_div_fmas_f32 v35, v35, v42, v39
	v_div_fixup_f32 v35, v35, v43, s13
.LBB85_113:                             ;   in Loop: Header=BB85_89 Depth=1
	s_or_b64 exec, exec, s[0:1]
                                        ; implicit-def: $vgpr39
.LBB85_114:                             ;   in Loop: Header=BB85_89 Depth=1
	s_andn2_saveexec_b64 s[0:1], s[2:3]
	s_cbranch_execz .LBB85_116
; %bb.115:                              ;   in Loop: Header=BB85_89 Depth=1
	v_div_scale_f32 v34, s[2:3], v39, v39, v38
	v_rcp_f32_e32 v35, v34
	v_div_scale_f32 v42, vcc, v38, v39, v38
	v_fma_f32 v43, -v34, v35, 1.0
	v_fmac_f32_e32 v35, v43, v35
	v_mul_f32_e32 v43, v42, v35
	v_fma_f32 v44, -v34, v43, v42
	v_fmac_f32_e32 v43, v44, v35
	v_fma_f32 v34, -v34, v43, v42
	v_div_fmas_f32 v34, v34, v35, v43
	v_div_fixup_f32 v34, v34, v39, v38
	v_fmac_f32_e32 v39, v38, v34
	v_div_scale_f32 v35, s[2:3], v39, v39, 1.0
	v_rcp_f32_e32 v38, v35
	v_fma_f32 v42, -v35, v38, 1.0
	v_fmac_f32_e32 v38, v42, v38
	v_div_scale_f32 v42, vcc, 1.0, v39, 1.0
	v_mul_f32_e32 v43, v42, v38
	v_fma_f32 v44, -v35, v43, v42
	v_fmac_f32_e32 v43, v44, v38
	v_fma_f32 v35, -v35, v43, v42
	v_div_fmas_f32 v35, v35, v38, v43
	v_pk_mov_b32 v[42:43], s[16:17], s[16:17] op_sel:[0,1]
	v_div_fixup_f32 v38, v35, v39, 1.0
	v_pk_fma_f32 v[44:45], v[34:35], s[12:13], v[42:43]
	v_pk_fma_f32 v[34:35], v[34:35], s[12:13], v[42:43] op_sel_hi:[0,1,1] neg_lo:[0,0,1] neg_hi:[0,0,1]
	v_mov_b32_e32 v45, v35
	v_pk_mul_f32 v[34:35], v[44:45], v[38:39] op_sel_hi:[1,0]
.LBB85_116:                             ;   in Loop: Header=BB85_89 Depth=1
	s_or_b64 exec, exec, s[0:1]
.LBB85_117:                             ;   in Loop: Header=BB85_89 Depth=1
	v_cmp_gt_f32_e32 vcc, 0, v41
	v_cndmask_b32_e64 v43, v41, -v41, vcc
	v_cmp_gt_f32_e32 vcc, 0, v40
	v_cndmask_b32_e64 v44, v40, -v40, vcc
	v_cndmask_b32_e64 v38, 0, 1, s[6:7]
	v_cmp_ne_u32_e64 s[0:1], 1, v38
	s_andn2_b64 vcc, exec, s[6:7]
	v_cmp_ge_f32_e64 s[2:3], v44, v43
	s_cbranch_vccnz .LBB85_127
; %bb.118:                              ;   in Loop: Header=BB85_89 Depth=1
                                        ; implicit-def: $vgpr42
                                        ; implicit-def: $vgpr38
	s_and_saveexec_b64 s[4:5], s[2:3]
	s_xor_b64 s[26:27], exec, s[4:5]
	s_cbranch_execz .LBB85_124
; %bb.119:                              ;   in Loop: Header=BB85_89 Depth=1
	v_cmp_neq_f32_e32 vcc, 0, v40
	v_cmp_neq_f32_e64 s[4:5], 0, v41
	s_or_b64 s[4:5], s[4:5], vcc
                                        ; implicit-def: $vgpr42
                                        ; implicit-def: $vgpr38
	s_and_saveexec_b64 s[38:39], s[4:5]
	s_xor_b64 s[4:5], exec, s[38:39]
	s_cbranch_execz .LBB85_121
; %bb.120:                              ;   in Loop: Header=BB85_89 Depth=1
	v_div_scale_f32 v38, s[38:39], v40, v40, v41
	v_rcp_f32_e32 v39, v38
	v_div_scale_f32 v42, vcc, v41, v40, v41
	v_fma_f32 v45, -v38, v39, 1.0
	v_fmac_f32_e32 v39, v45, v39
	v_mul_f32_e32 v45, v42, v39
	v_fma_f32 v46, -v38, v45, v42
	v_fmac_f32_e32 v45, v46, v39
	v_fma_f32 v38, -v38, v45, v42
	v_div_fmas_f32 v38, v38, v39, v45
	v_div_fixup_f32 v39, v38, v40, v41
	v_fma_f32 v38, v41, v39, v40
	v_div_scale_f32 v42, s[38:39], v38, v38, 1.0
	v_rcp_f32_e32 v45, v42
	v_fma_f32 v46, -v42, v45, 1.0
	v_fmac_f32_e32 v45, v46, v45
	v_div_scale_f32 v46, vcc, 1.0, v38, 1.0
	v_mul_f32_e32 v47, v46, v45
	v_fma_f32 v48, -v42, v47, v46
	v_fmac_f32_e32 v47, v48, v45
	v_fma_f32 v42, -v42, v47, v46
	v_div_fmas_f32 v42, v42, v45, v47
	v_div_fixup_f32 v42, v42, v38, 1.0
	v_mov_b32_e32 v38, s12
	v_mov_b32_e32 v45, s13
	v_fma_f32 v38, s13, v39, v38
	v_fma_f32 v39, -v39, s12, v45
	v_mul_f32_e32 v38, v38, v42
	v_mul_f32_e32 v42, v39, v42
.LBB85_121:                             ;   in Loop: Header=BB85_89 Depth=1
	s_andn2_saveexec_b64 s[4:5], s[4:5]
	s_cbranch_execz .LBB85_123
; %bb.122:                              ;   in Loop: Header=BB85_89 Depth=1
	v_div_scale_f32 v38, s[38:39], v44, v44, s12
	v_rcp_f32_e32 v39, v38
	v_div_scale_f32 v42, vcc, s12, v44, s12
	v_fma_f32 v45, -v38, v39, 1.0
	v_fmac_f32_e32 v39, v45, v39
	v_mul_f32_e32 v45, v42, v39
	v_fma_f32 v46, -v38, v45, v42
	v_fmac_f32_e32 v45, v46, v39
	v_fma_f32 v38, -v38, v45, v42
	v_div_scale_f32 v42, s[38:39], v43, v43, s13
	v_rcp_f32_e32 v46, v42
	v_div_fmas_f32 v38, v38, v39, v45
	v_div_fixup_f32 v38, v38, v44, s12
	v_fma_f32 v39, -v42, v46, 1.0
	v_fmac_f32_e32 v46, v39, v46
	v_div_scale_f32 v39, vcc, s13, v43, s13
	v_mul_f32_e32 v45, v39, v46
	v_fma_f32 v47, -v42, v45, v39
	v_fmac_f32_e32 v45, v47, v46
	v_fma_f32 v39, -v42, v45, v39
	v_div_fmas_f32 v39, v39, v46, v45
	v_div_fixup_f32 v42, v39, v43, s13
.LBB85_123:                             ;   in Loop: Header=BB85_89 Depth=1
	s_or_b64 exec, exec, s[4:5]
.LBB85_124:                             ;   in Loop: Header=BB85_89 Depth=1
	s_andn2_saveexec_b64 s[4:5], s[26:27]
	s_cbranch_execz .LBB85_126
; %bb.125:                              ;   in Loop: Header=BB85_89 Depth=1
	v_div_scale_f32 v38, s[26:27], v41, v41, v40
	v_rcp_f32_e32 v39, v38
	v_div_scale_f32 v42, vcc, v40, v41, v40
	v_fma_f32 v45, -v38, v39, 1.0
	v_fmac_f32_e32 v39, v45, v39
	v_mul_f32_e32 v45, v42, v39
	v_fma_f32 v46, -v38, v45, v42
	v_fmac_f32_e32 v45, v46, v39
	v_fma_f32 v38, -v38, v45, v42
	v_div_fmas_f32 v38, v38, v39, v45
	v_div_fixup_f32 v39, v38, v41, v40
	v_fma_f32 v38, v40, v39, v41
	v_div_scale_f32 v42, s[26:27], v38, v38, 1.0
	v_rcp_f32_e32 v45, v42
	v_fma_f32 v46, -v42, v45, 1.0
	v_fmac_f32_e32 v45, v46, v45
	v_div_scale_f32 v46, vcc, 1.0, v38, 1.0
	v_mul_f32_e32 v47, v46, v45
	v_fma_f32 v48, -v42, v47, v46
	v_fmac_f32_e32 v47, v48, v45
	v_fma_f32 v42, -v42, v47, v46
	v_div_fmas_f32 v42, v42, v45, v47
	v_div_fixup_f32 v42, v42, v38, 1.0
	v_mov_b32_e32 v38, s13
	v_mov_b32_e32 v45, s12
	v_fma_f32 v38, s12, v39, v38
	v_fma_f32 v39, v39, s13, -v45
	v_mul_f32_e32 v38, v38, v42
	v_mul_f32_e32 v42, v39, v42
.LBB85_126:                             ;   in Loop: Header=BB85_89 Depth=1
	s_or_b64 exec, exec, s[4:5]
	v_pk_mul_f32 v[46:47], v[42:43], s[8:9] op_sel_hi:[0,1]
	v_pk_mul_f32 v[48:49], v[38:39], s[8:9] op_sel_hi:[0,1]
	v_pk_fma_f32 v[38:39], v[38:39], s[8:9], v[46:47] op_sel:[0,0,1] op_sel_hi:[0,1,0]
	v_sub_f32_e32 v38, v48, v47
	s_branch .LBB85_137
.LBB85_127:                             ;   in Loop: Header=BB85_89 Depth=1
                                        ; implicit-def: $vgpr39
	s_cbranch_execz .LBB85_137
; %bb.128:                              ;   in Loop: Header=BB85_89 Depth=1
                                        ; implicit-def: $vgpr39
	s_and_saveexec_b64 s[4:5], s[2:3]
	s_xor_b64 s[4:5], exec, s[4:5]
	s_cbranch_execz .LBB85_134
; %bb.129:                              ;   in Loop: Header=BB85_89 Depth=1
	v_cmp_neq_f32_e32 vcc, 0, v40
	v_cmp_neq_f32_e64 s[2:3], 0, v41
	s_or_b64 s[2:3], s[2:3], vcc
                                        ; implicit-def: $vgpr39
	s_and_saveexec_b64 s[26:27], s[2:3]
	s_xor_b64 s[2:3], exec, s[26:27]
	s_cbranch_execz .LBB85_131
; %bb.130:                              ;   in Loop: Header=BB85_89 Depth=1
	v_div_scale_f32 v38, s[26:27], v40, v40, v41
	v_rcp_f32_e32 v39, v38
	v_div_scale_f32 v42, vcc, v41, v40, v41
	v_fma_f32 v43, -v38, v39, 1.0
	v_fmac_f32_e32 v39, v43, v39
	v_mul_f32_e32 v43, v42, v39
	v_fma_f32 v44, -v38, v43, v42
	v_fmac_f32_e32 v43, v44, v39
	v_fma_f32 v38, -v38, v43, v42
	v_div_fmas_f32 v38, v38, v39, v43
	v_div_fixup_f32 v38, v38, v40, v41
	v_fmac_f32_e32 v40, v41, v38
	v_div_scale_f32 v39, s[26:27], v40, v40, 1.0
	v_rcp_f32_e32 v41, v39
	v_fma_f32 v42, -v39, v41, 1.0
	v_fmac_f32_e32 v41, v42, v41
	v_div_scale_f32 v42, vcc, 1.0, v40, 1.0
	v_mul_f32_e32 v43, v42, v41
	v_fma_f32 v44, -v39, v43, v42
	v_fmac_f32_e32 v43, v44, v41
	v_fma_f32 v39, -v39, v43, v42
	v_div_fmas_f32 v39, v39, v41, v43
	v_div_fixup_f32 v40, v39, v40, 1.0
	v_pk_mul_f32 v[38:39], v[38:39], s[12:13] op_sel_hi:[0,1]
	v_pk_add_f32 v[42:43], v[38:39], s[12:13] op_sel:[1,0] op_sel_hi:[0,1]
	v_pk_add_f32 v[38:39], s[12:13], v[38:39] op_sel:[0,1] op_sel_hi:[1,0] neg_lo:[0,1] neg_hi:[0,1]
	v_mov_b32_e32 v43, v39
	v_pk_mul_f32 v[38:39], v[42:43], v[40:41] op_sel_hi:[1,0]
                                        ; implicit-def: $vgpr44
                                        ; implicit-def: $vgpr43
.LBB85_131:                             ;   in Loop: Header=BB85_89 Depth=1
	s_andn2_saveexec_b64 s[2:3], s[2:3]
	s_cbranch_execz .LBB85_133
; %bb.132:                              ;   in Loop: Header=BB85_89 Depth=1
	v_div_scale_f32 v38, s[26:27], v44, v44, s12
	v_rcp_f32_e32 v39, v38
	v_div_scale_f32 v40, vcc, s12, v44, s12
	v_fma_f32 v41, -v38, v39, 1.0
	v_fmac_f32_e32 v39, v41, v39
	v_mul_f32_e32 v41, v40, v39
	v_fma_f32 v42, -v38, v41, v40
	v_fmac_f32_e32 v41, v42, v39
	v_fma_f32 v38, -v38, v41, v40
	v_div_scale_f32 v40, s[26:27], v43, v43, s13
	v_rcp_f32_e32 v42, v40
	v_div_fmas_f32 v38, v38, v39, v41
	v_div_fixup_f32 v38, v38, v44, s12
	v_fma_f32 v39, -v40, v42, 1.0
	v_fmac_f32_e32 v42, v39, v42
	v_div_scale_f32 v39, vcc, s13, v43, s13
	v_mul_f32_e32 v41, v39, v42
	v_fma_f32 v44, -v40, v41, v39
	v_fmac_f32_e32 v41, v44, v42
	v_fma_f32 v39, -v40, v41, v39
	v_div_fmas_f32 v39, v39, v42, v41
	v_div_fixup_f32 v39, v39, v43, s13
.LBB85_133:                             ;   in Loop: Header=BB85_89 Depth=1
	s_or_b64 exec, exec, s[2:3]
                                        ; implicit-def: $vgpr41
.LBB85_134:                             ;   in Loop: Header=BB85_89 Depth=1
	s_andn2_saveexec_b64 s[2:3], s[4:5]
	s_cbranch_execz .LBB85_136
; %bb.135:                              ;   in Loop: Header=BB85_89 Depth=1
	v_div_scale_f32 v38, s[4:5], v41, v41, v40
	v_rcp_f32_e32 v39, v38
	v_div_scale_f32 v42, vcc, v40, v41, v40
	v_fma_f32 v43, -v38, v39, 1.0
	v_fmac_f32_e32 v39, v43, v39
	v_mul_f32_e32 v43, v42, v39
	v_fma_f32 v44, -v38, v43, v42
	v_fmac_f32_e32 v43, v44, v39
	v_fma_f32 v38, -v38, v43, v42
	v_div_fmas_f32 v38, v38, v39, v43
	v_div_fixup_f32 v38, v38, v41, v40
	v_fmac_f32_e32 v41, v40, v38
	v_div_scale_f32 v39, s[4:5], v41, v41, 1.0
	v_rcp_f32_e32 v40, v39
	v_fma_f32 v42, -v39, v40, 1.0
	v_fmac_f32_e32 v40, v42, v40
	v_div_scale_f32 v42, vcc, 1.0, v41, 1.0
	v_mul_f32_e32 v43, v42, v40
	v_fma_f32 v44, -v39, v43, v42
	v_fmac_f32_e32 v43, v44, v40
	v_fma_f32 v39, -v39, v43, v42
	v_div_fmas_f32 v39, v39, v40, v43
	v_pk_mov_b32 v[42:43], s[16:17], s[16:17] op_sel:[0,1]
	v_div_fixup_f32 v40, v39, v41, 1.0
	v_pk_fma_f32 v[44:45], v[38:39], s[12:13], v[42:43]
	v_pk_fma_f32 v[38:39], v[38:39], s[12:13], v[42:43] op_sel_hi:[0,1,1] neg_lo:[0,0,1] neg_hi:[0,0,1]
	v_mov_b32_e32 v45, v39
	v_pk_mul_f32 v[38:39], v[44:45], v[40:41] op_sel_hi:[1,0]
.LBB85_136:                             ;   in Loop: Header=BB85_89 Depth=1
	s_or_b64 exec, exec, s[2:3]
.LBB85_137:                             ;   in Loop: Header=BB85_89 Depth=1
	v_cmp_gt_f32_e32 vcc, 0, v37
	v_cndmask_b32_e64 v43, v37, -v37, vcc
	v_cmp_gt_f32_e32 vcc, 0, v36
	v_cndmask_b32_e64 v44, v36, -v36, vcc
	s_and_b64 vcc, exec, s[0:1]
	v_cmp_ge_f32_e64 s[2:3], v44, v43
	s_cbranch_vccnz .LBB85_147
; %bb.138:                              ;   in Loop: Header=BB85_89 Depth=1
                                        ; implicit-def: $vgpr42
                                        ; implicit-def: $vgpr40
	s_and_saveexec_b64 s[4:5], s[2:3]
	s_xor_b64 s[26:27], exec, s[4:5]
	s_cbranch_execz .LBB85_144
; %bb.139:                              ;   in Loop: Header=BB85_89 Depth=1
	v_cmp_neq_f32_e32 vcc, 0, v36
	v_cmp_neq_f32_e64 s[4:5], 0, v37
	s_or_b64 s[4:5], s[4:5], vcc
                                        ; implicit-def: $vgpr42
                                        ; implicit-def: $vgpr40
	s_and_saveexec_b64 s[38:39], s[4:5]
	s_xor_b64 s[4:5], exec, s[38:39]
	s_cbranch_execz .LBB85_141
; %bb.140:                              ;   in Loop: Header=BB85_89 Depth=1
	v_div_scale_f32 v40, s[38:39], v36, v36, v37
	v_rcp_f32_e32 v41, v40
	v_div_scale_f32 v42, vcc, v37, v36, v37
	v_fma_f32 v45, -v40, v41, 1.0
	v_fmac_f32_e32 v41, v45, v41
	v_mul_f32_e32 v45, v42, v41
	v_fma_f32 v46, -v40, v45, v42
	v_fmac_f32_e32 v45, v46, v41
	v_fma_f32 v40, -v40, v45, v42
	v_div_fmas_f32 v40, v40, v41, v45
	v_div_fixup_f32 v41, v40, v36, v37
	v_fma_f32 v40, v37, v41, v36
	v_div_scale_f32 v42, s[38:39], v40, v40, 1.0
	v_rcp_f32_e32 v45, v42
	v_fma_f32 v46, -v42, v45, 1.0
	v_fmac_f32_e32 v45, v46, v45
	v_div_scale_f32 v46, vcc, 1.0, v40, 1.0
	v_mul_f32_e32 v47, v46, v45
	v_fma_f32 v48, -v42, v47, v46
	v_fmac_f32_e32 v47, v48, v45
	v_fma_f32 v42, -v42, v47, v46
	v_div_fmas_f32 v42, v42, v45, v47
	v_div_fixup_f32 v42, v42, v40, 1.0
	v_mov_b32_e32 v40, s12
	v_mov_b32_e32 v45, s13
	v_fma_f32 v40, s13, v41, v40
	v_fma_f32 v41, -v41, s12, v45
	v_mul_f32_e32 v40, v40, v42
	v_mul_f32_e32 v42, v41, v42
.LBB85_141:                             ;   in Loop: Header=BB85_89 Depth=1
	s_andn2_saveexec_b64 s[4:5], s[4:5]
	s_cbranch_execz .LBB85_143
; %bb.142:                              ;   in Loop: Header=BB85_89 Depth=1
	v_div_scale_f32 v40, s[38:39], v44, v44, s12
	v_rcp_f32_e32 v41, v40
	v_div_scale_f32 v42, vcc, s12, v44, s12
	v_fma_f32 v45, -v40, v41, 1.0
	v_fmac_f32_e32 v41, v45, v41
	v_mul_f32_e32 v45, v42, v41
	v_fma_f32 v46, -v40, v45, v42
	v_fmac_f32_e32 v45, v46, v41
	v_fma_f32 v40, -v40, v45, v42
	v_div_scale_f32 v42, s[38:39], v43, v43, s13
	v_rcp_f32_e32 v46, v42
	v_div_fmas_f32 v40, v40, v41, v45
	v_div_fixup_f32 v40, v40, v44, s12
	v_fma_f32 v41, -v42, v46, 1.0
	v_fmac_f32_e32 v46, v41, v46
	v_div_scale_f32 v41, vcc, s13, v43, s13
	v_mul_f32_e32 v45, v41, v46
	v_fma_f32 v47, -v42, v45, v41
	v_fmac_f32_e32 v45, v47, v46
	v_fma_f32 v41, -v42, v45, v41
	v_div_fmas_f32 v41, v41, v46, v45
	v_div_fixup_f32 v42, v41, v43, s13
.LBB85_143:                             ;   in Loop: Header=BB85_89 Depth=1
	s_or_b64 exec, exec, s[4:5]
.LBB85_144:                             ;   in Loop: Header=BB85_89 Depth=1
	s_andn2_saveexec_b64 s[4:5], s[26:27]
	s_cbranch_execz .LBB85_146
; %bb.145:                              ;   in Loop: Header=BB85_89 Depth=1
	v_div_scale_f32 v40, s[26:27], v37, v37, v36
	v_rcp_f32_e32 v41, v40
	v_div_scale_f32 v42, vcc, v36, v37, v36
	v_fma_f32 v45, -v40, v41, 1.0
	v_fmac_f32_e32 v41, v45, v41
	v_mul_f32_e32 v45, v42, v41
	v_fma_f32 v46, -v40, v45, v42
	v_fmac_f32_e32 v45, v46, v41
	v_fma_f32 v40, -v40, v45, v42
	v_div_fmas_f32 v40, v40, v41, v45
	v_div_fixup_f32 v41, v40, v37, v36
	v_fma_f32 v40, v36, v41, v37
	v_div_scale_f32 v42, s[26:27], v40, v40, 1.0
	v_rcp_f32_e32 v45, v42
	v_fma_f32 v46, -v42, v45, 1.0
	v_fmac_f32_e32 v45, v46, v45
	v_div_scale_f32 v46, vcc, 1.0, v40, 1.0
	v_mul_f32_e32 v47, v46, v45
	v_fma_f32 v48, -v42, v47, v46
	v_fmac_f32_e32 v47, v48, v45
	v_fma_f32 v42, -v42, v47, v46
	v_div_fmas_f32 v42, v42, v45, v47
	v_div_fixup_f32 v42, v42, v40, 1.0
	v_mov_b32_e32 v40, s13
	v_mov_b32_e32 v45, s12
	v_fma_f32 v40, s12, v41, v40
	v_fma_f32 v41, v41, s13, -v45
	v_mul_f32_e32 v40, v40, v42
	v_mul_f32_e32 v42, v41, v42
.LBB85_146:                             ;   in Loop: Header=BB85_89 Depth=1
	s_or_b64 exec, exec, s[4:5]
	v_pk_mul_f32 v[46:47], v[42:43], s[8:9] op_sel_hi:[0,1]
	v_pk_mul_f32 v[48:49], v[40:41], s[8:9] op_sel_hi:[0,1]
	v_pk_fma_f32 v[40:41], v[40:41], s[8:9], v[46:47] op_sel:[0,0,1] op_sel_hi:[0,1,0]
	v_sub_f32_e32 v40, v48, v47
	s_branch .LBB85_157
.LBB85_147:                             ;   in Loop: Header=BB85_89 Depth=1
                                        ; implicit-def: $vgpr41
	s_cbranch_execz .LBB85_157
; %bb.148:                              ;   in Loop: Header=BB85_89 Depth=1
                                        ; implicit-def: $vgpr41
	s_and_saveexec_b64 s[4:5], s[2:3]
	s_xor_b64 s[4:5], exec, s[4:5]
	s_cbranch_execz .LBB85_154
; %bb.149:                              ;   in Loop: Header=BB85_89 Depth=1
	v_cmp_neq_f32_e32 vcc, 0, v36
	v_cmp_neq_f32_e64 s[2:3], 0, v37
	s_or_b64 s[2:3], s[2:3], vcc
                                        ; implicit-def: $vgpr41
	s_and_saveexec_b64 s[26:27], s[2:3]
	s_xor_b64 s[2:3], exec, s[26:27]
	s_cbranch_execz .LBB85_151
; %bb.150:                              ;   in Loop: Header=BB85_89 Depth=1
	v_div_scale_f32 v40, s[26:27], v36, v36, v37
	v_rcp_f32_e32 v41, v40
	v_div_scale_f32 v42, vcc, v37, v36, v37
	v_fma_f32 v43, -v40, v41, 1.0
	v_fmac_f32_e32 v41, v43, v41
	v_mul_f32_e32 v43, v42, v41
	v_fma_f32 v44, -v40, v43, v42
	v_fmac_f32_e32 v43, v44, v41
	v_fma_f32 v40, -v40, v43, v42
	v_div_fmas_f32 v40, v40, v41, v43
	v_div_fixup_f32 v40, v40, v36, v37
	v_fmac_f32_e32 v36, v37, v40
	v_div_scale_f32 v37, s[26:27], v36, v36, 1.0
	v_rcp_f32_e32 v41, v37
	v_fma_f32 v42, -v37, v41, 1.0
	v_fmac_f32_e32 v41, v42, v41
	v_div_scale_f32 v42, vcc, 1.0, v36, 1.0
	v_mul_f32_e32 v43, v42, v41
	v_fma_f32 v44, -v37, v43, v42
	v_fmac_f32_e32 v43, v44, v41
	v_fma_f32 v37, -v37, v43, v42
	v_div_fmas_f32 v37, v37, v41, v43
	v_pk_mul_f32 v[40:41], v[40:41], s[12:13] op_sel_hi:[0,1]
	v_pk_add_f32 v[42:43], v[40:41], s[12:13] op_sel:[1,0] op_sel_hi:[0,1]
	v_pk_add_f32 v[40:41], s[12:13], v[40:41] op_sel:[0,1] op_sel_hi:[1,0] neg_lo:[0,1] neg_hi:[0,1]
	v_div_fixup_f32 v36, v37, v36, 1.0
	v_mov_b32_e32 v43, v41
	v_pk_mul_f32 v[40:41], v[42:43], v[36:37] op_sel_hi:[1,0]
                                        ; implicit-def: $vgpr44
                                        ; implicit-def: $vgpr43
.LBB85_151:                             ;   in Loop: Header=BB85_89 Depth=1
	s_andn2_saveexec_b64 s[2:3], s[2:3]
	s_cbranch_execz .LBB85_153
; %bb.152:                              ;   in Loop: Header=BB85_89 Depth=1
	v_div_scale_f32 v36, s[26:27], v44, v44, s12
	v_rcp_f32_e32 v37, v36
	v_div_scale_f32 v40, vcc, s12, v44, s12
	v_fma_f32 v41, -v36, v37, 1.0
	v_fmac_f32_e32 v37, v41, v37
	v_mul_f32_e32 v41, v40, v37
	v_fma_f32 v42, -v36, v41, v40
	v_fmac_f32_e32 v41, v42, v37
	v_div_scale_f32 v42, s[26:27], v43, v43, s13
	v_rcp_f32_e32 v45, v42
	v_fma_f32 v36, -v36, v41, v40
	v_div_fmas_f32 v36, v36, v37, v41
	v_div_fixup_f32 v40, v36, v44, s12
	v_fma_f32 v36, -v42, v45, 1.0
	v_fmac_f32_e32 v45, v36, v45
	v_div_scale_f32 v36, vcc, s13, v43, s13
	v_mul_f32_e32 v37, v36, v45
	v_fma_f32 v41, -v42, v37, v36
	v_fmac_f32_e32 v37, v41, v45
	v_fma_f32 v36, -v42, v37, v36
	v_div_fmas_f32 v36, v36, v45, v37
	v_div_fixup_f32 v41, v36, v43, s13
.LBB85_153:                             ;   in Loop: Header=BB85_89 Depth=1
	s_or_b64 exec, exec, s[2:3]
                                        ; implicit-def: $vgpr37
.LBB85_154:                             ;   in Loop: Header=BB85_89 Depth=1
	s_andn2_saveexec_b64 s[2:3], s[4:5]
	s_cbranch_execz .LBB85_156
; %bb.155:                              ;   in Loop: Header=BB85_89 Depth=1
	v_div_scale_f32 v40, s[4:5], v37, v37, v36
	v_rcp_f32_e32 v41, v40
	v_div_scale_f32 v42, vcc, v36, v37, v36
	v_fma_f32 v43, -v40, v41, 1.0
	v_fmac_f32_e32 v41, v43, v41
	v_mul_f32_e32 v43, v42, v41
	v_fma_f32 v44, -v40, v43, v42
	v_fmac_f32_e32 v43, v44, v41
	v_fma_f32 v40, -v40, v43, v42
	v_div_fmas_f32 v40, v40, v41, v43
	v_div_fixup_f32 v40, v40, v37, v36
	v_fmac_f32_e32 v37, v36, v40
	v_div_scale_f32 v36, s[4:5], v37, v37, 1.0
	v_rcp_f32_e32 v41, v36
	v_fma_f32 v42, -v36, v41, 1.0
	v_fmac_f32_e32 v41, v42, v41
	v_div_scale_f32 v42, vcc, 1.0, v37, 1.0
	v_mul_f32_e32 v43, v42, v41
	v_fma_f32 v44, -v36, v43, v42
	v_fmac_f32_e32 v43, v44, v41
	v_fma_f32 v36, -v36, v43, v42
	v_div_fmas_f32 v36, v36, v41, v43
	v_pk_mov_b32 v[42:43], s[16:17], s[16:17] op_sel:[0,1]
	v_pk_fma_f32 v[44:45], v[40:41], s[12:13], v[42:43]
	v_pk_fma_f32 v[40:41], v[40:41], s[12:13], v[42:43] op_sel_hi:[0,1,1] neg_lo:[0,0,1] neg_hi:[0,0,1]
	v_div_fixup_f32 v36, v36, v37, 1.0
	v_mov_b32_e32 v45, v41
	v_pk_mul_f32 v[40:41], v[44:45], v[36:37] op_sel_hi:[1,0]
.LBB85_156:                             ;   in Loop: Header=BB85_89 Depth=1
	s_or_b64 exec, exec, s[2:3]
.LBB85_157:                             ;   in Loop: Header=BB85_89 Depth=1
	v_cmp_gt_f32_e32 vcc, 0, v33
	v_cndmask_b32_e64 v43, v33, -v33, vcc
	v_cmp_gt_f32_e32 vcc, 0, v32
	v_cndmask_b32_e64 v44, v32, -v32, vcc
	s_and_b64 vcc, exec, s[0:1]
	v_cmp_ge_f32_e64 s[0:1], v44, v43
	s_cbranch_vccnz .LBB85_167
; %bb.158:                              ;   in Loop: Header=BB85_89 Depth=1
                                        ; implicit-def: $vgpr42
                                        ; implicit-def: $vgpr36
	s_and_saveexec_b64 s[2:3], s[0:1]
	s_xor_b64 s[4:5], exec, s[2:3]
	s_cbranch_execz .LBB85_164
; %bb.159:                              ;   in Loop: Header=BB85_89 Depth=1
	v_cmp_neq_f32_e32 vcc, 0, v32
	v_cmp_neq_f32_e64 s[2:3], 0, v33
	s_or_b64 s[2:3], s[2:3], vcc
                                        ; implicit-def: $vgpr42
                                        ; implicit-def: $vgpr36
	s_and_saveexec_b64 s[26:27], s[2:3]
	s_xor_b64 s[2:3], exec, s[26:27]
	s_cbranch_execz .LBB85_161
; %bb.160:                              ;   in Loop: Header=BB85_89 Depth=1
	v_div_scale_f32 v36, s[26:27], v32, v32, v33
	v_rcp_f32_e32 v37, v36
	v_div_scale_f32 v42, vcc, v33, v32, v33
	v_fma_f32 v45, -v36, v37, 1.0
	v_fmac_f32_e32 v37, v45, v37
	v_mul_f32_e32 v45, v42, v37
	v_fma_f32 v46, -v36, v45, v42
	v_fmac_f32_e32 v45, v46, v37
	v_fma_f32 v36, -v36, v45, v42
	v_div_fmas_f32 v36, v36, v37, v45
	v_div_fixup_f32 v37, v36, v32, v33
	v_fma_f32 v36, v33, v37, v32
	v_div_scale_f32 v42, s[26:27], v36, v36, 1.0
	v_rcp_f32_e32 v45, v42
	v_fma_f32 v46, -v42, v45, 1.0
	v_fmac_f32_e32 v45, v46, v45
	v_div_scale_f32 v46, vcc, 1.0, v36, 1.0
	v_mul_f32_e32 v47, v46, v45
	v_fma_f32 v48, -v42, v47, v46
	v_fmac_f32_e32 v47, v48, v45
	v_fma_f32 v42, -v42, v47, v46
	v_div_fmas_f32 v42, v42, v45, v47
	v_div_fixup_f32 v42, v42, v36, 1.0
	v_mov_b32_e32 v36, s12
	v_mov_b32_e32 v45, s13
	v_fma_f32 v36, s13, v37, v36
	v_fma_f32 v37, -v37, s12, v45
	v_mul_f32_e32 v36, v36, v42
	v_mul_f32_e32 v42, v37, v42
.LBB85_161:                             ;   in Loop: Header=BB85_89 Depth=1
	s_andn2_saveexec_b64 s[2:3], s[2:3]
	s_cbranch_execz .LBB85_163
; %bb.162:                              ;   in Loop: Header=BB85_89 Depth=1
	v_div_scale_f32 v36, s[26:27], v44, v44, s12
	v_rcp_f32_e32 v37, v36
	v_div_scale_f32 v42, vcc, s12, v44, s12
	v_fma_f32 v45, -v36, v37, 1.0
	v_fmac_f32_e32 v37, v45, v37
	v_mul_f32_e32 v45, v42, v37
	v_fma_f32 v46, -v36, v45, v42
	v_fmac_f32_e32 v45, v46, v37
	v_fma_f32 v36, -v36, v45, v42
	v_div_scale_f32 v42, s[26:27], v43, v43, s13
	v_rcp_f32_e32 v46, v42
	v_div_fmas_f32 v36, v36, v37, v45
	v_div_fixup_f32 v36, v36, v44, s12
	v_fma_f32 v37, -v42, v46, 1.0
	v_fmac_f32_e32 v46, v37, v46
	v_div_scale_f32 v37, vcc, s13, v43, s13
	v_mul_f32_e32 v45, v37, v46
	v_fma_f32 v47, -v42, v45, v37
	v_fmac_f32_e32 v45, v47, v46
	v_fma_f32 v37, -v42, v45, v37
	v_div_fmas_f32 v37, v37, v46, v45
	v_div_fixup_f32 v42, v37, v43, s13
.LBB85_163:                             ;   in Loop: Header=BB85_89 Depth=1
	s_or_b64 exec, exec, s[2:3]
.LBB85_164:                             ;   in Loop: Header=BB85_89 Depth=1
	s_andn2_saveexec_b64 s[2:3], s[4:5]
	s_cbranch_execz .LBB85_166
; %bb.165:                              ;   in Loop: Header=BB85_89 Depth=1
	v_div_scale_f32 v36, s[4:5], v33, v33, v32
	v_rcp_f32_e32 v37, v36
	v_div_scale_f32 v42, vcc, v32, v33, v32
	v_fma_f32 v45, -v36, v37, 1.0
	v_fmac_f32_e32 v37, v45, v37
	v_mul_f32_e32 v45, v42, v37
	v_fma_f32 v46, -v36, v45, v42
	v_fmac_f32_e32 v45, v46, v37
	v_fma_f32 v36, -v36, v45, v42
	v_div_fmas_f32 v36, v36, v37, v45
	v_div_fixup_f32 v37, v36, v33, v32
	v_fma_f32 v36, v32, v37, v33
	v_div_scale_f32 v42, s[4:5], v36, v36, 1.0
	v_rcp_f32_e32 v45, v42
	v_fma_f32 v46, -v42, v45, 1.0
	v_fmac_f32_e32 v45, v46, v45
	v_div_scale_f32 v46, vcc, 1.0, v36, 1.0
	v_mul_f32_e32 v47, v46, v45
	v_fma_f32 v48, -v42, v47, v46
	v_fmac_f32_e32 v47, v48, v45
	v_fma_f32 v42, -v42, v47, v46
	v_div_fmas_f32 v42, v42, v45, v47
	v_div_fixup_f32 v42, v42, v36, 1.0
	v_mov_b32_e32 v36, s13
	v_mov_b32_e32 v45, s12
	v_fma_f32 v36, s12, v37, v36
	v_fma_f32 v37, v37, s13, -v45
	v_mul_f32_e32 v36, v36, v42
	v_mul_f32_e32 v42, v37, v42
.LBB85_166:                             ;   in Loop: Header=BB85_89 Depth=1
	s_or_b64 exec, exec, s[2:3]
	v_pk_mul_f32 v[48:49], v[42:43], s[8:9] op_sel_hi:[0,1]
	v_pk_mul_f32 v[46:47], v[36:37], s[8:9] op_sel_hi:[0,1]
	v_pk_fma_f32 v[36:37], v[36:37], s[8:9], v[48:49] op_sel:[0,0,1] op_sel_hi:[0,1,0]
	v_sub_f32_e32 v36, v46, v49
	s_branch .LBB85_177
.LBB85_167:                             ;   in Loop: Header=BB85_89 Depth=1
                                        ; implicit-def: $vgpr37
	s_cbranch_execz .LBB85_177
; %bb.168:                              ;   in Loop: Header=BB85_89 Depth=1
                                        ; implicit-def: $vgpr37
	s_and_saveexec_b64 s[2:3], s[0:1]
	s_xor_b64 s[2:3], exec, s[2:3]
	s_cbranch_execz .LBB85_174
; %bb.169:                              ;   in Loop: Header=BB85_89 Depth=1
	v_cmp_neq_f32_e32 vcc, 0, v32
	v_cmp_neq_f32_e64 s[0:1], 0, v33
	s_or_b64 s[0:1], s[0:1], vcc
                                        ; implicit-def: $vgpr37
	s_and_saveexec_b64 s[4:5], s[0:1]
	s_xor_b64 s[0:1], exec, s[4:5]
	s_cbranch_execz .LBB85_171
; %bb.170:                              ;   in Loop: Header=BB85_89 Depth=1
	v_div_scale_f32 v36, s[4:5], v32, v32, v33
	v_rcp_f32_e32 v37, v36
	v_div_scale_f32 v42, vcc, v33, v32, v33
	v_fma_f32 v43, -v36, v37, 1.0
	v_fmac_f32_e32 v37, v43, v37
	v_mul_f32_e32 v43, v42, v37
	v_fma_f32 v44, -v36, v43, v42
	v_fmac_f32_e32 v43, v44, v37
	v_fma_f32 v36, -v36, v43, v42
	v_div_fmas_f32 v36, v36, v37, v43
	v_div_fixup_f32 v36, v36, v32, v33
	v_fmac_f32_e32 v32, v33, v36
	v_div_scale_f32 v33, s[4:5], v32, v32, 1.0
	v_rcp_f32_e32 v37, v33
	v_fma_f32 v42, -v33, v37, 1.0
	v_fmac_f32_e32 v37, v42, v37
	v_div_scale_f32 v42, vcc, 1.0, v32, 1.0
	v_mul_f32_e32 v43, v42, v37
	v_fma_f32 v44, -v33, v43, v42
	v_fmac_f32_e32 v43, v44, v37
	v_fma_f32 v33, -v33, v43, v42
	v_div_fmas_f32 v33, v33, v37, v43
	v_pk_mov_b32 v[42:43], s[12:13], s[12:13] op_sel:[0,1]
	v_pk_fma_f32 v[44:45], v[36:37], s[16:17], v[42:43]
	v_pk_fma_f32 v[36:37], v[36:37], s[16:17], v[42:43] op_sel_hi:[0,1,1] neg_lo:[1,0,0] neg_hi:[1,0,0]
	v_div_fixup_f32 v32, v33, v32, 1.0
	v_mov_b32_e32 v45, v37
	v_pk_mul_f32 v[36:37], v[44:45], v[32:33] op_sel_hi:[1,0]
                                        ; implicit-def: $vgpr44
                                        ; implicit-def: $vgpr43
.LBB85_171:                             ;   in Loop: Header=BB85_89 Depth=1
	s_andn2_saveexec_b64 s[0:1], s[0:1]
	s_cbranch_execz .LBB85_173
; %bb.172:                              ;   in Loop: Header=BB85_89 Depth=1
	v_div_scale_f32 v32, s[4:5], v44, v44, s12
	v_rcp_f32_e32 v33, v32
	v_div_scale_f32 v36, vcc, s12, v44, s12
	v_fma_f32 v37, -v32, v33, 1.0
	v_fmac_f32_e32 v33, v37, v33
	v_mul_f32_e32 v37, v36, v33
	v_fma_f32 v42, -v32, v37, v36
	v_fmac_f32_e32 v37, v42, v33
	v_div_scale_f32 v42, s[4:5], v43, v43, s13
	v_rcp_f32_e32 v45, v42
	v_fma_f32 v32, -v32, v37, v36
	v_div_fmas_f32 v32, v32, v33, v37
	v_div_fixup_f32 v36, v32, v44, s12
	v_fma_f32 v32, -v42, v45, 1.0
	v_fmac_f32_e32 v45, v32, v45
	v_div_scale_f32 v32, vcc, s13, v43, s13
	v_mul_f32_e32 v33, v32, v45
	v_fma_f32 v37, -v42, v33, v32
	v_fmac_f32_e32 v33, v37, v45
	v_fma_f32 v32, -v42, v33, v32
	v_div_fmas_f32 v32, v32, v45, v33
	v_div_fixup_f32 v37, v32, v43, s13
.LBB85_173:                             ;   in Loop: Header=BB85_89 Depth=1
	s_or_b64 exec, exec, s[0:1]
                                        ; implicit-def: $vgpr33
.LBB85_174:                             ;   in Loop: Header=BB85_89 Depth=1
	s_andn2_saveexec_b64 s[0:1], s[2:3]
	s_cbranch_execz .LBB85_176
; %bb.175:                              ;   in Loop: Header=BB85_89 Depth=1
	v_div_scale_f32 v36, s[2:3], v33, v33, v32
	v_rcp_f32_e32 v37, v36
	v_div_scale_f32 v42, vcc, v32, v33, v32
	v_fma_f32 v43, -v36, v37, 1.0
	v_fmac_f32_e32 v37, v43, v37
	v_mul_f32_e32 v43, v42, v37
	v_fma_f32 v44, -v36, v43, v42
	v_fmac_f32_e32 v43, v44, v37
	v_fma_f32 v36, -v36, v43, v42
	v_div_fmas_f32 v36, v36, v37, v43
	v_div_fixup_f32 v36, v36, v33, v32
	v_fmac_f32_e32 v33, v32, v36
	v_div_scale_f32 v32, s[2:3], v33, v33, 1.0
	v_rcp_f32_e32 v37, v32
	v_fma_f32 v42, -v32, v37, 1.0
	v_fmac_f32_e32 v37, v42, v37
	v_div_scale_f32 v42, vcc, 1.0, v33, 1.0
	v_mul_f32_e32 v43, v42, v37
	v_fma_f32 v44, -v32, v43, v42
	v_fmac_f32_e32 v43, v44, v37
	v_fma_f32 v32, -v32, v43, v42
	v_div_fmas_f32 v32, v32, v37, v43
	v_pk_mov_b32 v[42:43], s[16:17], s[16:17] op_sel:[0,1]
	v_pk_fma_f32 v[44:45], v[36:37], s[12:13], v[42:43]
	v_pk_fma_f32 v[36:37], v[36:37], s[12:13], v[42:43] op_sel_hi:[0,1,1] neg_lo:[0,0,1] neg_hi:[0,0,1]
	v_div_fixup_f32 v32, v32, v33, 1.0
	v_mov_b32_e32 v45, v37
	v_pk_mul_f32 v[36:37], v[44:45], v[32:33] op_sel_hi:[1,0]
.LBB85_176:                             ;   in Loop: Header=BB85_89 Depth=1
	s_or_b64 exec, exec, s[0:1]
.LBB85_177:                             ;   in Loop: Header=BB85_89 Depth=1
	v_cmp_gt_u64_e32 vcc, s[20:21], v[0:1]
	s_and_saveexec_b64 s[0:1], vcc
	s_xor_b64 s[0:1], exec, s[0:1]
	s_cbranch_execz .LBB85_179
; %bb.178:                              ;   in Loop: Header=BB85_89 Depth=1
	v_mov_b32_e32 v33, s11
	v_add_co_u32_e32 v32, vcc, s10, v2
	v_pk_add_f32 v[18:19], v[18:19], v[34:35]
	v_addc_co_u32_e32 v33, vcc, v3, v33, vcc
	global_store_dwordx2 v[32:33], v[18:19], off
.LBB85_179:                             ;   in Loop: Header=BB85_89 Depth=1
	s_or_b64 exec, exec, s[0:1]
	v_cmp_gt_u64_e32 vcc, s[20:21], v[22:23]
	s_and_saveexec_b64 s[0:1], vcc
	s_cbranch_execnz .LBB85_182
; %bb.180:                              ;   in Loop: Header=BB85_89 Depth=1
	s_or_b64 exec, exec, s[0:1]
	v_cmp_gt_u64_e32 vcc, s[20:21], v[26:27]
	s_and_saveexec_b64 s[0:1], vcc
	s_cbranch_execnz .LBB85_183
.LBB85_181:                             ;   in Loop: Header=BB85_89 Depth=1
	s_or_b64 exec, exec, s[0:1]
	v_cmp_gt_u64_e32 vcc, s[20:21], v[28:29]
	s_and_saveexec_b64 s[0:1], vcc
	s_cbranch_execz .LBB85_88
	s_branch .LBB85_184
.LBB85_182:                             ;   in Loop: Header=BB85_89 Depth=1
	v_mov_b32_e32 v23, s11
	v_add_co_u32_e32 v22, vcc, s10, v14
	v_pk_add_f32 v[18:19], v[24:25], v[38:39]
	v_addc_co_u32_e32 v23, vcc, v15, v23, vcc
	global_store_dwordx2 v[22:23], v[18:19], off
	s_or_b64 exec, exec, s[0:1]
	v_cmp_gt_u64_e32 vcc, s[20:21], v[26:27]
	s_and_saveexec_b64 s[0:1], vcc
	s_cbranch_execz .LBB85_181
.LBB85_183:                             ;   in Loop: Header=BB85_89 Depth=1
	v_pk_add_f32 v[18:19], v[20:21], v[40:41]
	v_mov_b32_e32 v21, s11
	v_add_co_u32_e32 v20, vcc, s10, v10
	v_addc_co_u32_e32 v21, vcc, v11, v21, vcc
	global_store_dwordx2 v[20:21], v[18:19], off
	s_or_b64 exec, exec, s[0:1]
	v_cmp_gt_u64_e32 vcc, s[20:21], v[28:29]
	s_and_saveexec_b64 s[0:1], vcc
	s_cbranch_execz .LBB85_88
.LBB85_184:                             ;   in Loop: Header=BB85_89 Depth=1
	v_mov_b32_e32 v21, s11
	v_add_co_u32_e32 v20, vcc, s10, v6
	v_pk_add_f32 v[18:19], v[30:31], v[36:37]
	v_addc_co_u32_e32 v21, vcc, v7, v21, vcc
	global_store_dwordx2 v[20:21], v[18:19], off
	s_branch .LBB85_88
.LBB85_185:
	s_endpgm
	.section	.rodata,"a",@progbits
	.p2align	6, 0x0
	.amdhsa_kernel _ZN2at6native12_GLOBAL__N_125multi_tensor_apply_kernelINS1_18TensorListMetadataILi3EEENS1_32PointwiseOpScalar0dTensorFunctorIN3c107complexIfEELi3ELi2ELi0EEEJSt7dividesIS8_ES8_EEEvT_T0_DpT1_
		.amdhsa_group_segment_fixed_size 0
		.amdhsa_private_segment_fixed_size 0
		.amdhsa_kernarg_size 3416
		.amdhsa_user_sgpr_count 6
		.amdhsa_user_sgpr_private_segment_buffer 1
		.amdhsa_user_sgpr_dispatch_ptr 0
		.amdhsa_user_sgpr_queue_ptr 0
		.amdhsa_user_sgpr_kernarg_segment_ptr 1
		.amdhsa_user_sgpr_dispatch_id 0
		.amdhsa_user_sgpr_flat_scratch_init 0
		.amdhsa_user_sgpr_kernarg_preload_length 0
		.amdhsa_user_sgpr_kernarg_preload_offset 0
		.amdhsa_user_sgpr_private_segment_size 0
		.amdhsa_uses_dynamic_stack 0
		.amdhsa_system_sgpr_private_segment_wavefront_offset 0
		.amdhsa_system_sgpr_workgroup_id_x 1
		.amdhsa_system_sgpr_workgroup_id_y 0
		.amdhsa_system_sgpr_workgroup_id_z 0
		.amdhsa_system_sgpr_workgroup_info 0
		.amdhsa_system_vgpr_workitem_id 0
		.amdhsa_next_free_vgpr 50
		.amdhsa_next_free_sgpr 42
		.amdhsa_accum_offset 52
		.amdhsa_reserve_vcc 1
		.amdhsa_reserve_flat_scratch 0
		.amdhsa_float_round_mode_32 0
		.amdhsa_float_round_mode_16_64 0
		.amdhsa_float_denorm_mode_32 3
		.amdhsa_float_denorm_mode_16_64 3
		.amdhsa_dx10_clamp 1
		.amdhsa_ieee_mode 1
		.amdhsa_fp16_overflow 0
		.amdhsa_tg_split 0
		.amdhsa_exception_fp_ieee_invalid_op 0
		.amdhsa_exception_fp_denorm_src 0
		.amdhsa_exception_fp_ieee_div_zero 0
		.amdhsa_exception_fp_ieee_overflow 0
		.amdhsa_exception_fp_ieee_underflow 0
		.amdhsa_exception_fp_ieee_inexact 0
		.amdhsa_exception_int_div_zero 0
	.end_amdhsa_kernel
	.section	.text._ZN2at6native12_GLOBAL__N_125multi_tensor_apply_kernelINS1_18TensorListMetadataILi3EEENS1_32PointwiseOpScalar0dTensorFunctorIN3c107complexIfEELi3ELi2ELi0EEEJSt7dividesIS8_ES8_EEEvT_T0_DpT1_,"axG",@progbits,_ZN2at6native12_GLOBAL__N_125multi_tensor_apply_kernelINS1_18TensorListMetadataILi3EEENS1_32PointwiseOpScalar0dTensorFunctorIN3c107complexIfEELi3ELi2ELi0EEEJSt7dividesIS8_ES8_EEEvT_T0_DpT1_,comdat
.Lfunc_end85:
	.size	_ZN2at6native12_GLOBAL__N_125multi_tensor_apply_kernelINS1_18TensorListMetadataILi3EEENS1_32PointwiseOpScalar0dTensorFunctorIN3c107complexIfEELi3ELi2ELi0EEEJSt7dividesIS8_ES8_EEEvT_T0_DpT1_, .Lfunc_end85-_ZN2at6native12_GLOBAL__N_125multi_tensor_apply_kernelINS1_18TensorListMetadataILi3EEENS1_32PointwiseOpScalar0dTensorFunctorIN3c107complexIfEELi3ELi2ELi0EEEJSt7dividesIS8_ES8_EEEvT_T0_DpT1_
                                        ; -- End function
	.section	.AMDGPU.csdata,"",@progbits
; Kernel info:
; codeLenInByte = 11384
; NumSgprs: 46
; NumVgprs: 50
; NumAgprs: 0
; TotalNumVgprs: 50
; ScratchSize: 0
; MemoryBound: 0
; FloatMode: 240
; IeeeMode: 1
; LDSByteSize: 0 bytes/workgroup (compile time only)
; SGPRBlocks: 5
; VGPRBlocks: 6
; NumSGPRsForWavesPerEU: 46
; NumVGPRsForWavesPerEU: 50
; AccumOffset: 52
; Occupancy: 8
; WaveLimiterHint : 0
; COMPUTE_PGM_RSRC2:SCRATCH_EN: 0
; COMPUTE_PGM_RSRC2:USER_SGPR: 6
; COMPUTE_PGM_RSRC2:TRAP_HANDLER: 0
; COMPUTE_PGM_RSRC2:TGID_X_EN: 1
; COMPUTE_PGM_RSRC2:TGID_Y_EN: 0
; COMPUTE_PGM_RSRC2:TGID_Z_EN: 0
; COMPUTE_PGM_RSRC2:TIDIG_COMP_CNT: 0
; COMPUTE_PGM_RSRC3_GFX90A:ACCUM_OFFSET: 12
; COMPUTE_PGM_RSRC3_GFX90A:TG_SPLIT: 0
	.section	.text._ZN2at6native12_GLOBAL__N_125multi_tensor_apply_kernelINS1_18TensorListMetadataILi3EEENS1_32PointwiseOpScalar0dTensorFunctorIN3c104HalfELi3ELi2ELi0EEEJSt7dividesIfEfEEEvT_T0_DpT1_,"axG",@progbits,_ZN2at6native12_GLOBAL__N_125multi_tensor_apply_kernelINS1_18TensorListMetadataILi3EEENS1_32PointwiseOpScalar0dTensorFunctorIN3c104HalfELi3ELi2ELi0EEEJSt7dividesIfEfEEEvT_T0_DpT1_,comdat
	.globl	_ZN2at6native12_GLOBAL__N_125multi_tensor_apply_kernelINS1_18TensorListMetadataILi3EEENS1_32PointwiseOpScalar0dTensorFunctorIN3c104HalfELi3ELi2ELi0EEEJSt7dividesIfEfEEEvT_T0_DpT1_ ; -- Begin function _ZN2at6native12_GLOBAL__N_125multi_tensor_apply_kernelINS1_18TensorListMetadataILi3EEENS1_32PointwiseOpScalar0dTensorFunctorIN3c104HalfELi3ELi2ELi0EEEJSt7dividesIfEfEEEvT_T0_DpT1_
	.p2align	8
	.type	_ZN2at6native12_GLOBAL__N_125multi_tensor_apply_kernelINS1_18TensorListMetadataILi3EEENS1_32PointwiseOpScalar0dTensorFunctorIN3c104HalfELi3ELi2ELi0EEEJSt7dividesIfEfEEEvT_T0_DpT1_,@function
_ZN2at6native12_GLOBAL__N_125multi_tensor_apply_kernelINS1_18TensorListMetadataILi3EEENS1_32PointwiseOpScalar0dTensorFunctorIN3c104HalfELi3ELi2ELi0EEEJSt7dividesIfEfEEEvT_T0_DpT1_: ; @_ZN2at6native12_GLOBAL__N_125multi_tensor_apply_kernelINS1_18TensorListMetadataILi3EEENS1_32PointwiseOpScalar0dTensorFunctorIN3c104HalfELi3ELi2ELi0EEEJSt7dividesIfEfEEEvT_T0_DpT1_
; %bb.0:
	v_mov_b32_e32 v1, s6
	global_load_ubyte v1, v1, s[4:5] offset:1536
	s_add_u32 s0, s4, s6
	s_mul_hi_u32 s1, s6, 3
	s_mul_i32 s6, s6, 3
	s_addc_u32 s2, s5, 0
	s_add_u32 s0, s0, s6
	s_addc_u32 s1, s2, s1
	s_load_dword s0, s[0:1], 0x740
	v_mov_b32_e32 v3, 0
	s_mov_b32 s3, 0
	s_waitcnt vmcnt(0)
	v_readfirstlane_b32 s1, v1
	s_lshl_b32 s1, s1, 3
	s_load_dwordx2 s[6:7], s[4:5], s1 offset:0x180
	s_load_dwordx2 s[16:17], s[4:5], s1 offset:0x300
	s_waitcnt lgkmcnt(0)
	global_load_ushort v1, v3, s[6:7]
	s_load_dword s10, s[4:5], 0xc4c
	s_load_dwordx2 s[18:19], s[4:5], s1 offset:0x0
	s_load_dwordx2 s[8:9], s[4:5], s1 offset:0x480
	s_ashr_i32 s1, s0, 31
	s_lshl_b64 s[12:13], s[0:1], 17
	s_add_u32 s6, s6, s12
	s_or_b32 s6, s16, s6
	s_waitcnt lgkmcnt(0)
	s_and_b32 s2, s18, 7
	s_and_b32 s6, s6, 7
	s_cmp_lg_u32 s6, 0
	s_cselect_b64 s[20:21], -1, 0
	s_lshl_b64 s[0:1], s[0:1], 16
	s_sub_u32 s14, s8, s0
	s_mov_b32 s7, s3
	s_subb_u32 s15, s9, s1
	s_and_b32 s6, s8, 3
	s_or_b64 s[0:1], s[2:3], s[6:7]
	s_cmp_lg_u64 s[0:1], 0
	s_cselect_b64 s[0:1], -1, 0
	s_or_b64 s[0:1], s[20:21], s[0:1]
	s_andn2_b64 vcc, exec, s[0:1]
	s_mov_b64 s[0:1], -1
	s_waitcnt vmcnt(0)
	v_cvt_f32_f16_e32 v24, v1
	s_cbranch_vccz .LBB86_5
; %bb.1:
	v_lshlrev_b32_e32 v2, 2, v0
	v_cmp_gt_i64_e32 vcc, s[14:15], v[2:3]
	s_and_saveexec_b64 s[20:21], vcc
	s_cbranch_execz .LBB86_4
; %bb.2:
	s_load_dword s2, s[4:5], 0xc5c
	v_lshlrev_b32_e32 v1, 3, v0
	v_mov_b32_e32 v2, s13
	v_add_co_u32_e32 v4, vcc, s12, v1
	s_waitcnt lgkmcnt(0)
	s_and_b32 s2, s2, 0xffff
	v_cmp_eq_f32_e64 s[0:1], s10, 1.0
	s_mov_b32 s11, s10
	s_mov_b32 s22, s10
	;; [unrolled: 1-line block ×3, first 2 shown]
	v_mov_b32_e32 v3, 0
	v_addc_co_u32_e32 v1, vcc, 0, v2, vcc
	s_lshl_b32 s28, s2, 3
	v_add_lshl_u32 v2, v0, s2, 2
	s_lshl_b32 s29, s2, 2
	s_mov_b64 s[24:25], 0
	v_mov_b32_e32 v5, s19
	v_mov_b32_e32 v6, s17
	s_mov_b64 s[26:27], 0xffff
	v_mov_b32_e32 v7, s3
	v_mov_b32_e32 v8, s3
.LBB86_3:                               ; =>This Inner Loop Header: Depth=1
	v_add_co_u32_e32 v10, vcc, s18, v4
	v_addc_co_u32_e32 v11, vcc, v5, v1, vcc
	v_add_co_u32_e32 v12, vcc, s16, v4
	v_addc_co_u32_e32 v13, vcc, v6, v1, vcc
	global_load_dwordx2 v[14:15], v[12:13], off
	global_load_dwordx2 v[16:17], v[10:11], off
	v_cmp_le_i64_e32 vcc, s[14:15], v[2:3]
	v_cmp_lt_u64_e64 s[2:3], s[26:27], v[2:3]
	v_add_co_u32_e64 v4, s[6:7], s28, v4
	v_addc_co_u32_e64 v1, s[6:7], v1, v7, s[6:7]
	s_or_b64 s[30:31], vcc, s[2:3]
	v_add_co_u32_e64 v2, s[6:7], s29, v2
	v_addc_co_u32_e64 v3, s[6:7], v3, v8, s[6:7]
	s_waitcnt vmcnt(1)
	v_cvt_f32_f16_e32 v18, v14
	v_cvt_f32_f16_sdwa v9, v15 dst_sel:DWORD dst_unused:UNUSED_PAD src0_sel:WORD_1
	v_cvt_f32_f16_e32 v19, v15
	v_cvt_f32_f16_sdwa v15, v14 dst_sel:DWORD dst_unused:UNUSED_PAD src0_sel:WORD_1
	v_div_scale_f32 v14, s[2:3], v18, v18, v24
	v_rcp_f32_e32 v28, v14
	v_div_scale_f32 v21, s[2:3], v15, v15, v24
	v_div_scale_f32 v23, s[6:7], v19, v19, v24
	v_rcp_f32_e32 v29, v21
	v_div_scale_f32 v26, s[8:9], v9, v9, v24
	v_rcp_f32_e32 v30, v23
	v_rcp_f32_e32 v31, v26
	v_fma_f32 v32, -v14, v28, 1.0
	v_div_scale_f32 v20, vcc, v24, v18, v24
	v_fma_f32 v33, -v21, v29, 1.0
	v_fmac_f32_e32 v28, v32, v28
	v_div_scale_f32 v22, s[2:3], v24, v15, v24
	v_fma_f32 v34, -v23, v30, 1.0
	v_fmac_f32_e32 v29, v33, v29
	v_mul_f32_e32 v32, v20, v28
	v_div_scale_f32 v25, s[6:7], v24, v19, v24
	v_fma_f32 v35, -v26, v31, 1.0
	v_fmac_f32_e32 v30, v34, v30
	v_mul_f32_e32 v33, v22, v29
	v_fma_f32 v36, -v14, v32, v20
	v_div_scale_f32 v27, s[8:9], v24, v9, v24
	v_fmac_f32_e32 v31, v35, v31
	v_mul_f32_e32 v34, v25, v30
	v_fma_f32 v37, -v21, v33, v22
	v_fmac_f32_e32 v32, v36, v28
	v_mul_f32_e32 v35, v27, v31
	v_fma_f32 v38, -v23, v34, v25
	v_fmac_f32_e32 v33, v37, v29
	v_fma_f32 v14, -v14, v32, v20
	s_waitcnt vmcnt(0)
	v_cvt_f32_f16_e32 v12, v16
	v_cvt_f32_f16_sdwa v13, v16 dst_sel:DWORD dst_unused:UNUSED_PAD src0_sel:WORD_1
	v_fma_f32 v39, -v26, v35, v27
	v_fmac_f32_e32 v34, v38, v30
	v_fma_f32 v20, -v21, v33, v22
	v_div_fmas_f32 v14, v14, v28, v32
	s_mov_b64 vcc, s[2:3]
	v_cvt_f32_f16_e32 v16, v17
	v_cvt_f32_f16_sdwa v17, v17 dst_sel:DWORD dst_unused:UNUSED_PAD src0_sel:WORD_1
	v_fmac_f32_e32 v35, v39, v31
	v_fma_f32 v21, -v23, v34, v25
	v_div_fixup_f32 v14, v14, v18, v24
	v_div_fmas_f32 v18, v20, v29, v33
	s_mov_b64 vcc, s[6:7]
	v_fma_f32 v22, -v26, v35, v27
	v_div_fixup_f32 v15, v18, v15, v24
	v_div_fmas_f32 v18, v21, v30, v34
	s_mov_b64 vcc, s[8:9]
	v_div_fixup_f32 v18, v18, v19, v24
	v_div_fmas_f32 v19, v22, v31, v35
	v_pk_add_f32 v[20:21], v[14:15], v[12:13]
	v_pk_fma_f32 v[12:13], s[10:11], v[14:15], v[12:13]
	v_div_fixup_f32 v19, v19, v9, v24
	v_cndmask_b32_e64 v9, v12, v20, s[0:1]
	v_cndmask_b32_e64 v20, v13, v21, s[0:1]
	v_pk_add_f32 v[12:13], v[18:19], v[16:17]
	v_pk_fma_f32 v[14:15], s[22:23], v[18:19], v[16:17]
	v_cndmask_b32_e64 v12, v14, v12, s[0:1]
	v_cndmask_b32_e64 v13, v15, v13, s[0:1]
	v_cvt_f16_f32_e32 v16, v20
	v_cvt_f16_f32_e32 v9, v9
	;; [unrolled: 1-line block ×4, first 2 shown]
	s_and_b64 s[2:3], exec, s[30:31]
	s_or_b64 s[24:25], s[2:3], s[24:25]
	v_pack_b32_f16 v12, v9, v16
	v_pack_b32_f16 v13, v14, v13
	global_store_dwordx2 v[10:11], v[12:13], off
	s_andn2_b64 exec, exec, s[24:25]
	s_cbranch_execnz .LBB86_3
.LBB86_4:
	s_or_b64 exec, exec, s[20:21]
	s_mov_b64 s[0:1], 0
.LBB86_5:
	s_andn2_b64 vcc, exec, s[0:1]
	s_cbranch_vccnz .LBB86_25
; %bb.6:
	v_cmp_lt_i64_e64 s[0:1], s[14:15], 1
	s_and_b64 vcc, exec, s[0:1]
	s_cbranch_vccnz .LBB86_25
; %bb.7:
	s_load_dword s2, s[4:5], 0xc5c
	v_mov_b32_e32 v2, 0x10000
	v_mov_b32_e32 v3, 0
	v_cmp_lt_u64_e32 vcc, s[14:15], v[2:3]
	v_lshlrev_b32_e32 v10, 1, v0
	s_waitcnt lgkmcnt(0)
	s_and_b32 s11, s2, 0xffff
	s_and_b64 s[2:3], vcc, exec
	v_mov_b32_e32 v15, s19
	v_add_co_u32_e32 v2, vcc, s18, v10
	v_mov_b32_e32 v1, 0
	v_addc_co_u32_e32 v3, vcc, 0, v15, vcc
	v_mov_b32_e32 v11, v1
	v_mov_b32_e32 v17, s17
	v_add_co_u32_e32 v4, vcc, s16, v10
	v_addc_co_u32_e32 v5, vcc, 0, v17, vcc
	v_mad_u64_u32 v[8:9], s[2:3], s11, 6, v[10:11]
	v_add_co_u32_e32 v6, vcc, s18, v8
	v_addc_co_u32_e32 v7, vcc, v15, v9, vcc
	v_add_co_u32_e32 v8, vcc, s16, v8
	s_cselect_b32 s7, s15, 0
	s_cselect_b32 s6, s14, 0x10000
	s_lshl_b32 s8, s11, 2
	v_addc_co_u32_e32 v9, vcc, v17, v9, vcc
	v_add_co_u32_e32 v12, vcc, s8, v10
	v_addc_co_u32_e64 v13, s[2:3], 0, 0, vcc
	v_add_co_u32_e32 v10, vcc, s18, v12
	v_addc_co_u32_e32 v11, vcc, v15, v13, vcc
	v_add_co_u32_e32 v12, vcc, s16, v12
	v_addc_co_u32_e32 v13, vcc, v17, v13, vcc
	v_add_lshl_u32 v16, v0, s11, 1
	v_add_co_u32_e32 v14, vcc, s18, v16
	s_mov_b32 s25, 0
	v_addc_co_u32_e32 v15, vcc, 0, v15, vcc
	s_mov_b32 s9, s25
	v_add_co_u32_e32 v16, vcc, s16, v16
	v_cmp_eq_f32_e64 s[0:1], s10, 1.0
	s_mov_b64 s[4:5], 0x10000
	s_lshl_b32 s20, s11, 1
	s_mov_b32 s21, s25
	s_mul_i32 s22, s11, 3
	s_mov_b32 s23, s25
	s_lshl_b32 s19, s11, 3
	s_mov_b32 s24, s25
	v_addc_co_u32_e32 v17, vcc, 0, v17, vcc
	v_mov_b32_e32 v25, s25
	s_mov_b64 s[16:17], s[8:9]
	s_branch .LBB86_9
.LBB86_8:                               ;   in Loop: Header=BB86_9 Depth=1
	s_or_b64 exec, exec, s[2:3]
	v_pk_mov_b32 v[18:19], s[14:15], s[14:15] op_sel:[0,1]
	v_cmp_ge_i64_e32 vcc, s[16:17], v[18:19]
	v_mov_b32_e32 v18, 0xffff
	v_mov_b32_e32 v19, 0
	v_cmp_gt_u64_e64 s[2:3], s[16:17], v[18:19]
	s_or_b64 s[2:3], vcc, s[2:3]
	v_mov_b32_e32 v18, s24
	v_add_co_u32_e32 v2, vcc, s19, v2
	v_addc_co_u32_e32 v3, vcc, v3, v18, vcc
	v_add_co_u32_e32 v4, vcc, s19, v4
	v_addc_co_u32_e32 v5, vcc, v5, v18, vcc
	v_mov_b32_e32 v19, s9
	v_add_co_u32_e32 v0, vcc, s8, v0
	v_addc_co_u32_e32 v1, vcc, v1, v19, vcc
	v_add_co_u32_e32 v6, vcc, s19, v6
	v_addc_co_u32_e32 v7, vcc, v7, v18, vcc
	;; [unrolled: 2-line block ×6, first 2 shown]
	v_add_co_u32_e32 v16, vcc, s19, v16
	s_add_u32 s16, s16, s8
	v_addc_co_u32_e32 v17, vcc, v17, v18, vcc
	s_addc_u32 s17, s17, 0
	s_and_b64 vcc, exec, s[2:3]
	s_cbranch_vccnz .LBB86_25
.LBB86_9:                               ; =>This Inner Loop Header: Depth=1
	v_cmp_gt_i64_e32 vcc, s[14:15], v[0:1]
	v_cmp_gt_u64_e64 s[2:3], s[4:5], v[0:1]
	s_and_b64 s[26:27], vcc, s[2:3]
	s_waitcnt vmcnt(0)
	v_mov_b32_e32 v33, 0
	v_mov_b32_e32 v30, 0
	s_and_saveexec_b64 s[2:3], s[26:27]
	s_cbranch_execz .LBB86_11
; %bb.10:                               ;   in Loop: Header=BB86_9 Depth=1
	v_mov_b32_e32 v21, s13
	v_add_co_u32_e32 v18, vcc, s12, v2
	v_addc_co_u32_e32 v19, vcc, v3, v21, vcc
	v_add_co_u32_e32 v20, vcc, s12, v4
	v_addc_co_u32_e32 v21, vcc, v5, v21, vcc
	global_load_ushort v30, v[18:19], off
	global_load_ushort v33, v[20:21], off
.LBB86_11:                              ;   in Loop: Header=BB86_9 Depth=1
	s_or_b64 exec, exec, s[2:3]
	v_add_co_u32_e32 v22, vcc, s11, v0
	v_addc_co_u32_e32 v23, vcc, v25, v1, vcc
	v_cmp_gt_i64_e32 vcc, s[14:15], v[22:23]
	v_cmp_gt_u64_e64 s[2:3], s[4:5], v[22:23]
	s_and_b64 s[26:27], vcc, s[2:3]
	v_mov_b32_e32 v26, 0
	v_mov_b32_e32 v32, 0
	;; [unrolled: 1-line block ×3, first 2 shown]
	s_and_saveexec_b64 s[2:3], s[26:27]
	s_cbranch_execz .LBB86_13
; %bb.12:                               ;   in Loop: Header=BB86_9 Depth=1
	v_mov_b32_e32 v21, s13
	v_add_co_u32_e32 v18, vcc, s12, v14
	v_addc_co_u32_e32 v19, vcc, v15, v21, vcc
	v_add_co_u32_e32 v20, vcc, s12, v16
	v_addc_co_u32_e32 v21, vcc, v17, v21, vcc
	global_load_ushort v29, v[18:19], off
	global_load_ushort v32, v[20:21], off
.LBB86_13:                              ;   in Loop: Header=BB86_9 Depth=1
	s_or_b64 exec, exec, s[2:3]
	v_mov_b32_e32 v18, s21
	v_add_co_u32_e32 v20, vcc, s20, v0
	v_addc_co_u32_e32 v21, vcc, v18, v1, vcc
	v_cmp_gt_i64_e32 vcc, s[14:15], v[20:21]
	v_cmp_gt_u64_e64 s[2:3], s[4:5], v[20:21]
	s_and_b64 s[26:27], vcc, s[2:3]
	v_mov_b32_e32 v28, 0
	s_and_saveexec_b64 s[2:3], s[26:27]
	s_cbranch_execz .LBB86_15
; %bb.14:                               ;   in Loop: Header=BB86_9 Depth=1
	v_mov_b32_e32 v26, s13
	v_add_co_u32_e32 v18, vcc, s12, v10
	v_addc_co_u32_e32 v19, vcc, v11, v26, vcc
	v_add_co_u32_e32 v34, vcc, s12, v12
	v_addc_co_u32_e32 v35, vcc, v13, v26, vcc
	global_load_ushort v28, v[18:19], off
	global_load_ushort v26, v[34:35], off
.LBB86_15:                              ;   in Loop: Header=BB86_9 Depth=1
	s_or_b64 exec, exec, s[2:3]
	v_mov_b32_e32 v19, s23
	v_add_co_u32_e32 v18, vcc, s22, v0
	v_addc_co_u32_e32 v19, vcc, v19, v1, vcc
	v_cmp_gt_i64_e32 vcc, s[14:15], v[18:19]
	v_cmp_gt_u64_e64 s[2:3], s[4:5], v[18:19]
	s_and_b64 s[26:27], vcc, s[2:3]
	v_mov_b32_e32 v31, 0
	v_mov_b32_e32 v27, 0
	s_and_saveexec_b64 s[2:3], s[26:27]
	s_cbranch_execnz .LBB86_20
; %bb.16:                               ;   in Loop: Header=BB86_9 Depth=1
	s_or_b64 exec, exec, s[2:3]
	v_cmp_gt_u64_e32 vcc, s[6:7], v[0:1]
	s_and_saveexec_b64 s[2:3], vcc
	s_cbranch_execnz .LBB86_21
.LBB86_17:                              ;   in Loop: Header=BB86_9 Depth=1
	s_or_b64 exec, exec, s[2:3]
	v_cmp_gt_u64_e32 vcc, s[6:7], v[22:23]
	s_and_saveexec_b64 s[2:3], vcc
	s_cbranch_execnz .LBB86_22
.LBB86_18:                              ;   in Loop: Header=BB86_9 Depth=1
	s_or_b64 exec, exec, s[2:3]
	v_cmp_gt_u64_e32 vcc, s[6:7], v[20:21]
	s_and_saveexec_b64 s[2:3], vcc
	s_cbranch_execnz .LBB86_23
.LBB86_19:                              ;   in Loop: Header=BB86_9 Depth=1
	s_or_b64 exec, exec, s[2:3]
	v_cmp_gt_u64_e32 vcc, s[6:7], v[18:19]
	s_and_saveexec_b64 s[2:3], vcc
	s_cbranch_execz .LBB86_8
	s_branch .LBB86_24
.LBB86_20:                              ;   in Loop: Header=BB86_9 Depth=1
	v_mov_b32_e32 v27, s13
	v_add_co_u32_e32 v34, vcc, s12, v6
	v_addc_co_u32_e32 v35, vcc, v7, v27, vcc
	v_add_co_u32_e32 v36, vcc, s12, v8
	v_addc_co_u32_e32 v37, vcc, v9, v27, vcc
	global_load_ushort v27, v[34:35], off
	global_load_ushort v31, v[36:37], off
	s_or_b64 exec, exec, s[2:3]
	v_cmp_gt_u64_e32 vcc, s[6:7], v[0:1]
	s_and_saveexec_b64 s[2:3], vcc
	s_cbranch_execz .LBB86_17
.LBB86_21:                              ;   in Loop: Header=BB86_9 Depth=1
	s_waitcnt vmcnt(0)
	v_cvt_f32_f16_e32 v33, v33
	v_cvt_f32_f16_e32 v36, v30
	v_div_scale_f32 v34, s[26:27], v33, v33, v24
	v_rcp_f32_e32 v35, v34
	v_div_scale_f32 v37, vcc, v24, v33, v24
	v_fma_f32 v38, -v34, v35, 1.0
	v_fmac_f32_e32 v35, v38, v35
	v_mul_f32_e32 v38, v37, v35
	v_fma_f32 v39, -v34, v38, v37
	v_fmac_f32_e32 v38, v39, v35
	v_fma_f32 v34, -v34, v38, v37
	v_div_fmas_f32 v34, v34, v35, v38
	v_div_fixup_f32 v33, v34, v33, v24
	v_add_f32_e32 v34, v33, v36
	v_fma_mix_f32 v30, s10, v33, v30 op_sel_hi:[0,0,1]
	v_cndmask_b32_e64 v30, v30, v34, s[0:1]
	v_cvt_f16_f32_e32 v30, v30
	v_mov_b32_e32 v33, s13
	v_add_co_u32_e32 v34, vcc, s12, v2
	v_addc_co_u32_e32 v35, vcc, v3, v33, vcc
	global_store_short v[34:35], v30, off
	s_or_b64 exec, exec, s[2:3]
	v_cmp_gt_u64_e32 vcc, s[6:7], v[22:23]
	s_and_saveexec_b64 s[2:3], vcc
	s_cbranch_execz .LBB86_18
.LBB86_22:                              ;   in Loop: Header=BB86_9 Depth=1
	s_waitcnt vmcnt(0)
	v_cvt_f32_f16_e32 v22, v32
	v_cvt_f32_f16_e32 v32, v29
	v_div_scale_f32 v23, s[26:27], v22, v22, v24
	v_rcp_f32_e32 v30, v23
	v_div_scale_f32 v33, vcc, v24, v22, v24
	v_fma_f32 v34, -v23, v30, 1.0
	v_fmac_f32_e32 v30, v34, v30
	v_mul_f32_e32 v34, v33, v30
	v_fma_f32 v35, -v23, v34, v33
	v_fmac_f32_e32 v34, v35, v30
	v_fma_f32 v23, -v23, v34, v33
	v_div_fmas_f32 v23, v23, v30, v34
	v_div_fixup_f32 v22, v23, v22, v24
	v_add_f32_e32 v23, v22, v32
	v_fma_mix_f32 v22, s10, v22, v29 op_sel_hi:[0,0,1]
	v_cndmask_b32_e64 v22, v22, v23, s[0:1]
	v_cvt_f16_f32_e32 v29, v22
	v_mov_b32_e32 v23, s13
	v_add_co_u32_e32 v22, vcc, s12, v14
	v_addc_co_u32_e32 v23, vcc, v15, v23, vcc
	global_store_short v[22:23], v29, off
	s_or_b64 exec, exec, s[2:3]
	v_cmp_gt_u64_e32 vcc, s[6:7], v[20:21]
	s_and_saveexec_b64 s[2:3], vcc
	s_cbranch_execz .LBB86_19
.LBB86_23:                              ;   in Loop: Header=BB86_9 Depth=1
	s_waitcnt vmcnt(0)
	v_cvt_f32_f16_e32 v20, v26
	v_cvt_f32_f16_e32 v23, v28
	v_div_scale_f32 v21, s[26:27], v20, v20, v24
	v_rcp_f32_e32 v22, v21
	v_div_scale_f32 v26, vcc, v24, v20, v24
	v_fma_f32 v29, -v21, v22, 1.0
	v_fmac_f32_e32 v22, v29, v22
	v_mul_f32_e32 v29, v26, v22
	v_fma_f32 v30, -v21, v29, v26
	v_fmac_f32_e32 v29, v30, v22
	v_fma_f32 v21, -v21, v29, v26
	v_div_fmas_f32 v21, v21, v22, v29
	v_div_fixup_f32 v20, v21, v20, v24
	v_add_f32_e32 v21, v20, v23
	v_fma_mix_f32 v20, s10, v20, v28 op_sel_hi:[0,0,1]
	v_cndmask_b32_e64 v20, v20, v21, s[0:1]
	v_cvt_f16_f32_e32 v22, v20
	v_mov_b32_e32 v21, s13
	v_add_co_u32_e32 v20, vcc, s12, v10
	v_addc_co_u32_e32 v21, vcc, v11, v21, vcc
	global_store_short v[20:21], v22, off
	s_or_b64 exec, exec, s[2:3]
	v_cmp_gt_u64_e32 vcc, s[6:7], v[18:19]
	s_and_saveexec_b64 s[2:3], vcc
	s_cbranch_execz .LBB86_8
.LBB86_24:                              ;   in Loop: Header=BB86_9 Depth=1
	s_waitcnt vmcnt(0)
	v_cvt_f32_f16_e32 v18, v31
	v_cvt_f32_f16_e32 v21, v27
	v_div_scale_f32 v19, s[26:27], v18, v18, v24
	v_rcp_f32_e32 v20, v19
	v_div_scale_f32 v22, vcc, v24, v18, v24
	v_fma_f32 v23, -v19, v20, 1.0
	v_fmac_f32_e32 v20, v23, v20
	v_mul_f32_e32 v23, v22, v20
	v_fma_f32 v26, -v19, v23, v22
	v_fmac_f32_e32 v23, v26, v20
	v_fma_f32 v19, -v19, v23, v22
	v_div_fmas_f32 v19, v19, v20, v23
	v_div_fixup_f32 v18, v19, v18, v24
	v_add_f32_e32 v19, v18, v21
	v_fma_mix_f32 v18, s10, v18, v27 op_sel_hi:[0,0,1]
	v_cndmask_b32_e64 v18, v18, v19, s[0:1]
	v_cvt_f16_f32_e32 v20, v18
	v_mov_b32_e32 v19, s13
	v_add_co_u32_e32 v18, vcc, s12, v6
	v_addc_co_u32_e32 v19, vcc, v7, v19, vcc
	global_store_short v[18:19], v20, off
	s_branch .LBB86_8
.LBB86_25:
	s_endpgm
	.section	.rodata,"a",@progbits
	.p2align	6, 0x0
	.amdhsa_kernel _ZN2at6native12_GLOBAL__N_125multi_tensor_apply_kernelINS1_18TensorListMetadataILi3EEENS1_32PointwiseOpScalar0dTensorFunctorIN3c104HalfELi3ELi2ELi0EEEJSt7dividesIfEfEEEvT_T0_DpT1_
		.amdhsa_group_segment_fixed_size 0
		.amdhsa_private_segment_fixed_size 0
		.amdhsa_kernarg_size 3408
		.amdhsa_user_sgpr_count 6
		.amdhsa_user_sgpr_private_segment_buffer 1
		.amdhsa_user_sgpr_dispatch_ptr 0
		.amdhsa_user_sgpr_queue_ptr 0
		.amdhsa_user_sgpr_kernarg_segment_ptr 1
		.amdhsa_user_sgpr_dispatch_id 0
		.amdhsa_user_sgpr_flat_scratch_init 0
		.amdhsa_user_sgpr_kernarg_preload_length 0
		.amdhsa_user_sgpr_kernarg_preload_offset 0
		.amdhsa_user_sgpr_private_segment_size 0
		.amdhsa_uses_dynamic_stack 0
		.amdhsa_system_sgpr_private_segment_wavefront_offset 0
		.amdhsa_system_sgpr_workgroup_id_x 1
		.amdhsa_system_sgpr_workgroup_id_y 0
		.amdhsa_system_sgpr_workgroup_id_z 0
		.amdhsa_system_sgpr_workgroup_info 0
		.amdhsa_system_vgpr_workitem_id 0
		.amdhsa_next_free_vgpr 40
		.amdhsa_next_free_sgpr 32
		.amdhsa_accum_offset 40
		.amdhsa_reserve_vcc 1
		.amdhsa_reserve_flat_scratch 0
		.amdhsa_float_round_mode_32 0
		.amdhsa_float_round_mode_16_64 0
		.amdhsa_float_denorm_mode_32 3
		.amdhsa_float_denorm_mode_16_64 3
		.amdhsa_dx10_clamp 1
		.amdhsa_ieee_mode 1
		.amdhsa_fp16_overflow 0
		.amdhsa_tg_split 0
		.amdhsa_exception_fp_ieee_invalid_op 0
		.amdhsa_exception_fp_denorm_src 0
		.amdhsa_exception_fp_ieee_div_zero 0
		.amdhsa_exception_fp_ieee_overflow 0
		.amdhsa_exception_fp_ieee_underflow 0
		.amdhsa_exception_fp_ieee_inexact 0
		.amdhsa_exception_int_div_zero 0
	.end_amdhsa_kernel
	.section	.text._ZN2at6native12_GLOBAL__N_125multi_tensor_apply_kernelINS1_18TensorListMetadataILi3EEENS1_32PointwiseOpScalar0dTensorFunctorIN3c104HalfELi3ELi2ELi0EEEJSt7dividesIfEfEEEvT_T0_DpT1_,"axG",@progbits,_ZN2at6native12_GLOBAL__N_125multi_tensor_apply_kernelINS1_18TensorListMetadataILi3EEENS1_32PointwiseOpScalar0dTensorFunctorIN3c104HalfELi3ELi2ELi0EEEJSt7dividesIfEfEEEvT_T0_DpT1_,comdat
.Lfunc_end86:
	.size	_ZN2at6native12_GLOBAL__N_125multi_tensor_apply_kernelINS1_18TensorListMetadataILi3EEENS1_32PointwiseOpScalar0dTensorFunctorIN3c104HalfELi3ELi2ELi0EEEJSt7dividesIfEfEEEvT_T0_DpT1_, .Lfunc_end86-_ZN2at6native12_GLOBAL__N_125multi_tensor_apply_kernelINS1_18TensorListMetadataILi3EEENS1_32PointwiseOpScalar0dTensorFunctorIN3c104HalfELi3ELi2ELi0EEEJSt7dividesIfEfEEEvT_T0_DpT1_
                                        ; -- End function
	.section	.AMDGPU.csdata,"",@progbits
; Kernel info:
; codeLenInByte = 2252
; NumSgprs: 36
; NumVgprs: 40
; NumAgprs: 0
; TotalNumVgprs: 40
; ScratchSize: 0
; MemoryBound: 0
; FloatMode: 240
; IeeeMode: 1
; LDSByteSize: 0 bytes/workgroup (compile time only)
; SGPRBlocks: 4
; VGPRBlocks: 4
; NumSGPRsForWavesPerEU: 36
; NumVGPRsForWavesPerEU: 40
; AccumOffset: 40
; Occupancy: 8
; WaveLimiterHint : 0
; COMPUTE_PGM_RSRC2:SCRATCH_EN: 0
; COMPUTE_PGM_RSRC2:USER_SGPR: 6
; COMPUTE_PGM_RSRC2:TRAP_HANDLER: 0
; COMPUTE_PGM_RSRC2:TGID_X_EN: 1
; COMPUTE_PGM_RSRC2:TGID_Y_EN: 0
; COMPUTE_PGM_RSRC2:TGID_Z_EN: 0
; COMPUTE_PGM_RSRC2:TIDIG_COMP_CNT: 0
; COMPUTE_PGM_RSRC3_GFX90A:ACCUM_OFFSET: 9
; COMPUTE_PGM_RSRC3_GFX90A:TG_SPLIT: 0
	.section	.text._ZN2at6native12_GLOBAL__N_125multi_tensor_apply_kernelINS1_18TensorListMetadataILi3EEENS1_32PointwiseOpScalar0dTensorFunctorIN3c108BFloat16ELi3ELi2ELi0EEEJSt7dividesIfEfEEEvT_T0_DpT1_,"axG",@progbits,_ZN2at6native12_GLOBAL__N_125multi_tensor_apply_kernelINS1_18TensorListMetadataILi3EEENS1_32PointwiseOpScalar0dTensorFunctorIN3c108BFloat16ELi3ELi2ELi0EEEJSt7dividesIfEfEEEvT_T0_DpT1_,comdat
	.globl	_ZN2at6native12_GLOBAL__N_125multi_tensor_apply_kernelINS1_18TensorListMetadataILi3EEENS1_32PointwiseOpScalar0dTensorFunctorIN3c108BFloat16ELi3ELi2ELi0EEEJSt7dividesIfEfEEEvT_T0_DpT1_ ; -- Begin function _ZN2at6native12_GLOBAL__N_125multi_tensor_apply_kernelINS1_18TensorListMetadataILi3EEENS1_32PointwiseOpScalar0dTensorFunctorIN3c108BFloat16ELi3ELi2ELi0EEEJSt7dividesIfEfEEEvT_T0_DpT1_
	.p2align	8
	.type	_ZN2at6native12_GLOBAL__N_125multi_tensor_apply_kernelINS1_18TensorListMetadataILi3EEENS1_32PointwiseOpScalar0dTensorFunctorIN3c108BFloat16ELi3ELi2ELi0EEEJSt7dividesIfEfEEEvT_T0_DpT1_,@function
_ZN2at6native12_GLOBAL__N_125multi_tensor_apply_kernelINS1_18TensorListMetadataILi3EEENS1_32PointwiseOpScalar0dTensorFunctorIN3c108BFloat16ELi3ELi2ELi0EEEJSt7dividesIfEfEEEvT_T0_DpT1_: ; @_ZN2at6native12_GLOBAL__N_125multi_tensor_apply_kernelINS1_18TensorListMetadataILi3EEENS1_32PointwiseOpScalar0dTensorFunctorIN3c108BFloat16ELi3ELi2ELi0EEEJSt7dividesIfEfEEEvT_T0_DpT1_
; %bb.0:
	v_mov_b32_e32 v1, s6
	global_load_ubyte v1, v1, s[4:5] offset:1536
	s_add_u32 s0, s4, s6
	s_mul_hi_u32 s1, s6, 3
	s_mul_i32 s6, s6, 3
	s_addc_u32 s2, s5, 0
	s_add_u32 s0, s0, s6
	s_addc_u32 s1, s2, s1
	s_load_dword s0, s[0:1], 0x740
	v_mov_b32_e32 v3, 0
	s_mov_b32 s3, 0
	s_waitcnt vmcnt(0)
	v_readfirstlane_b32 s1, v1
	s_lshl_b32 s1, s1, 3
	s_load_dwordx2 s[6:7], s[4:5], s1 offset:0x180
	s_load_dwordx2 s[14:15], s[4:5], s1 offset:0x300
	s_waitcnt lgkmcnt(0)
	global_load_ushort v1, v3, s[6:7]
	s_load_dword s24, s[4:5], 0xc4c
	s_load_dwordx2 s[16:17], s[4:5], s1 offset:0x0
	s_load_dwordx2 s[8:9], s[4:5], s1 offset:0x480
	s_ashr_i32 s1, s0, 31
	s_lshl_b64 s[10:11], s[0:1], 17
	s_add_u32 s6, s6, s10
	s_or_b32 s6, s14, s6
	s_waitcnt lgkmcnt(0)
	s_and_b32 s2, s16, 7
	s_and_b32 s6, s6, 7
	s_cmp_lg_u32 s6, 0
	s_cselect_b64 s[18:19], -1, 0
	s_lshl_b64 s[0:1], s[0:1], 16
	s_sub_u32 s12, s8, s0
	s_mov_b32 s7, s3
	s_subb_u32 s13, s9, s1
	s_and_b32 s6, s8, 3
	s_or_b64 s[0:1], s[2:3], s[6:7]
	s_cmp_lg_u64 s[0:1], 0
	s_cselect_b64 s[0:1], -1, 0
	s_or_b64 s[0:1], s[18:19], s[0:1]
	s_andn2_b64 vcc, exec, s[0:1]
	s_mov_b64 s[0:1], -1
	s_waitcnt vmcnt(0)
	v_lshlrev_b32_e32 v28, 16, v1
	s_cbranch_vccz .LBB87_5
; %bb.1:
	v_lshlrev_b32_e32 v2, 2, v0
	v_cmp_gt_i64_e32 vcc, s[12:13], v[2:3]
	s_and_saveexec_b64 s[18:19], vcc
	s_cbranch_execz .LBB87_4
; %bb.2:
	s_load_dword s2, s[4:5], 0xc5c
	v_lshlrev_b32_e32 v1, 3, v0
	v_mov_b32_e32 v2, s11
	v_add_co_u32_e32 v4, vcc, s10, v1
	s_waitcnt lgkmcnt(0)
	s_and_b32 s2, s2, 0xffff
	v_cmp_eq_f32_e64 s[0:1], s24, 1.0
	v_mov_b32_e32 v3, 0
	v_addc_co_u32_e32 v1, vcc, 0, v2, vcc
	s_lshl_b32 s25, s2, 3
	v_add_lshl_u32 v2, v0, s2, 2
	s_lshl_b32 s26, s2, 2
	s_mov_b64 s[20:21], 0
	v_mov_b32_e32 v5, s17
	v_mov_b32_e32 v6, s15
	s_movk_i32 s27, 0x7fff
	v_mov_b32_e32 v7, 0x7fc0
	v_mov_b32_e32 v8, 0x7fc00000
	s_mov_b64 s[22:23], 0xffff
	v_mov_b32_e32 v9, s3
	v_mov_b32_e32 v10, s3
.LBB87_3:                               ; =>This Inner Loop Header: Depth=1
	v_add_co_u32_e32 v12, vcc, s16, v4
	v_addc_co_u32_e32 v13, vcc, v5, v1, vcc
	v_add_co_u32_e32 v14, vcc, s14, v4
	v_addc_co_u32_e32 v15, vcc, v6, v1, vcc
	global_load_dwordx2 v[16:17], v[12:13], off
	global_load_dwordx2 v[18:19], v[14:15], off
	v_cmp_le_i64_e32 vcc, s[12:13], v[2:3]
	v_cmp_lt_u64_e64 s[2:3], s[22:23], v[2:3]
	s_or_b64 s[2:3], vcc, s[2:3]
	v_add_co_u32_e64 v4, s[6:7], s25, v4
	s_and_b64 s[2:3], exec, s[2:3]
	v_addc_co_u32_e64 v1, s[6:7], v1, v9, s[6:7]
	s_or_b64 s[20:21], s[2:3], s[20:21]
	v_add_co_u32_e64 v2, s[6:7], s26, v2
	v_addc_co_u32_e64 v3, s[6:7], v3, v10, s[6:7]
	s_waitcnt vmcnt(1)
	v_lshlrev_b32_e32 v11, 16, v16
	s_waitcnt vmcnt(0)
	v_lshlrev_b32_e32 v14, 16, v18
	v_and_b32_e32 v20, 0xffff0000, v18
	v_alignbit_b32 v18, v19, v18, 16
	v_div_scale_f32 v21, s[2:3], v14, v14, v28
	v_and_b32_e32 v19, 0xffff0000, v19
	v_div_scale_f32 v23, s[2:3], v20, v20, v28
	v_and_b32_e32 v18, 0xffff0000, v18
	v_rcp_f32_e32 v27, v21
	v_div_scale_f32 v25, s[6:7], v19, v19, v28
	v_rcp_f32_e32 v29, v23
	v_div_scale_f32 v30, s[8:9], v18, v18, v28
	v_rcp_f32_e32 v32, v25
	v_rcp_f32_e32 v33, v30
	v_fma_f32 v34, -v21, v27, 1.0
	v_div_scale_f32 v22, vcc, v28, v14, v28
	v_fma_f32 v35, -v23, v29, 1.0
	v_fmac_f32_e32 v27, v34, v27
	v_div_scale_f32 v24, s[2:3], v28, v20, v28
	v_fma_f32 v36, -v25, v32, 1.0
	v_fmac_f32_e32 v29, v35, v29
	v_fma_f32 v34, -v30, v33, 1.0
	v_mul_f32_e32 v35, v22, v27
	v_div_scale_f32 v31, s[8:9], v28, v18, v28
	v_fmac_f32_e32 v32, v36, v32
	v_mul_f32_e32 v36, v24, v29
	v_fmac_f32_e32 v33, v34, v33
	v_fma_f32 v37, -v21, v35, v22
	v_div_scale_f32 v26, s[6:7], v28, v19, v28
	v_fma_f32 v38, -v23, v36, v24
	v_mul_f32_e32 v39, v31, v33
	v_fmac_f32_e32 v35, v37, v27
	v_mul_f32_e32 v34, v26, v32
	v_fmac_f32_e32 v36, v38, v29
	v_fma_f32 v37, -v30, v39, v31
	v_fma_f32 v21, -v21, v35, v22
	;; [unrolled: 1-line block ×4, first 2 shown]
	v_fmac_f32_e32 v39, v37, v33
	v_div_fmas_f32 v21, v21, v27, v35
	s_mov_b64 vcc, s[2:3]
	v_fmac_f32_e32 v34, v40, v32
	v_fma_f32 v24, -v30, v39, v31
	v_div_fixup_f32 v14, v21, v14, v28
	v_div_fmas_f32 v21, v22, v29, v36
	s_mov_b64 vcc, s[8:9]
	v_and_b32_e32 v15, 0xffff0000, v16
	v_alignbit_b32 v16, v17, v16, 16
	v_fma_f32 v23, -v25, v34, v26
	v_add_f32_e32 v22, v14, v11
	v_fmac_f32_e32 v11, s24, v14
	v_div_fixup_f32 v14, v21, v20, v28
	v_div_fmas_f32 v20, v24, v33, v39
	s_mov_b64 vcc, s[6:7]
	v_and_b32_e32 v16, 0xffff0000, v16
	v_cndmask_b32_e64 v11, v11, v22, s[0:1]
	v_add_f32_e32 v21, v14, v15
	v_fmac_f32_e32 v15, s24, v14
	v_div_fixup_f32 v14, v20, v18, v28
	v_div_fmas_f32 v18, v23, v32, v34
	v_and_b32_e32 v17, 0xffff0000, v17
	v_bfe_u32 v20, v11, 16, 1
	v_cndmask_b32_e64 v15, v15, v21, s[0:1]
	v_add_f32_e32 v21, v14, v16
	v_fmac_f32_e32 v16, s24, v14
	v_div_fixup_f32 v14, v18, v19, v28
	v_add3_u32 v18, v11, v20, s27
	v_bfe_u32 v19, v15, 16, 1
	v_cndmask_b32_e64 v16, v16, v21, s[0:1]
	v_add_f32_e32 v20, v14, v17
	v_fmac_f32_e32 v17, s24, v14
	v_lshrrev_b32_e32 v14, 16, v18
	v_add3_u32 v18, v15, v19, s27
	v_bfe_u32 v19, v16, 16, 1
	v_cndmask_b32_e64 v17, v17, v20, s[0:1]
	v_cmp_o_f32_e32 vcc, v11, v11
	v_cndmask_b32_e32 v11, v7, v14, vcc
	v_and_b32_e32 v14, 0xffff0000, v18
	v_add3_u32 v18, v16, v19, s27
	v_bfe_u32 v19, v17, 16, 1
	v_cmp_o_f32_e32 vcc, v15, v15
	v_cndmask_b32_e32 v14, v8, v14, vcc
	v_lshrrev_b32_e32 v15, 16, v18
	v_add3_u32 v18, v17, v19, s27
	v_cmp_o_f32_e32 vcc, v16, v16
	v_or_b32_e32 v11, v11, v14
	v_cndmask_b32_e32 v15, v7, v15, vcc
	v_and_b32_e32 v14, 0xffff0000, v18
	v_cmp_o_f32_e32 vcc, v17, v17
	v_cndmask_b32_e32 v16, v8, v14, vcc
	v_or3_b32 v14, v11, 0, 0
	v_or3_b32 v15, 0, v15, v16
	global_store_dwordx2 v[12:13], v[14:15], off
	s_andn2_b64 exec, exec, s[20:21]
	s_cbranch_execnz .LBB87_3
.LBB87_4:
	s_or_b64 exec, exec, s[18:19]
	s_mov_b64 s[0:1], 0
.LBB87_5:
	s_andn2_b64 vcc, exec, s[0:1]
	s_cbranch_vccnz .LBB87_25
; %bb.6:
	v_cmp_lt_i64_e64 s[0:1], s[12:13], 1
	s_and_b64 vcc, exec, s[0:1]
	s_cbranch_vccnz .LBB87_25
; %bb.7:
	s_load_dword s2, s[4:5], 0xc5c
	v_mov_b32_e32 v2, 0x10000
	v_mov_b32_e32 v3, 0
	v_cmp_lt_u64_e32 vcc, s[12:13], v[2:3]
	v_lshlrev_b32_e32 v10, 1, v0
	s_waitcnt lgkmcnt(0)
	s_and_b32 s19, s2, 0xffff
	s_and_b64 s[2:3], vcc, exec
	v_mov_b32_e32 v15, s17
	v_add_co_u32_e32 v2, vcc, s16, v10
	v_mov_b32_e32 v1, 0
	v_addc_co_u32_e32 v3, vcc, 0, v15, vcc
	v_mov_b32_e32 v11, v1
	v_mov_b32_e32 v17, s15
	v_add_co_u32_e32 v4, vcc, s14, v10
	v_addc_co_u32_e32 v5, vcc, 0, v17, vcc
	v_mad_u64_u32 v[8:9], s[2:3], s19, 6, v[10:11]
	v_add_co_u32_e32 v6, vcc, s16, v8
	v_addc_co_u32_e32 v7, vcc, v15, v9, vcc
	v_add_co_u32_e32 v8, vcc, s14, v8
	s_cselect_b32 s7, s13, 0
	s_cselect_b32 s6, s12, 0x10000
	s_lshl_b32 s8, s19, 2
	v_addc_co_u32_e32 v9, vcc, v17, v9, vcc
	v_add_co_u32_e32 v12, vcc, s8, v10
	v_addc_co_u32_e64 v13, s[2:3], 0, 0, vcc
	v_add_co_u32_e32 v10, vcc, s16, v12
	v_addc_co_u32_e32 v11, vcc, v15, v13, vcc
	v_add_co_u32_e32 v12, vcc, s14, v12
	v_addc_co_u32_e32 v13, vcc, v17, v13, vcc
	v_add_lshl_u32 v16, v0, s19, 1
	v_add_co_u32_e32 v14, vcc, s16, v16
	s_mov_b32 s18, 0
	v_addc_co_u32_e32 v15, vcc, 0, v15, vcc
	s_mov_b32 s9, s18
	v_add_co_u32_e32 v16, vcc, s14, v16
	v_cmp_eq_f32_e64 s[0:1], s24, 1.0
	s_mov_b64 s[4:5], 0x10000
	s_lshl_b32 s20, s19, 1
	s_mov_b32 s21, s18
	s_mul_i32 s22, s19, 3
	s_mov_b32 s23, s18
	s_lshl_b32 s17, s19, 3
	s_mov_b32 s25, s18
	v_addc_co_u32_e32 v17, vcc, 0, v17, vcc
	s_movk_i32 s16, 0x7fff
	v_mov_b32_e32 v29, 0x7fc0
	s_mov_b64 s[14:15], s[8:9]
	s_branch .LBB87_9
.LBB87_8:                               ;   in Loop: Header=BB87_9 Depth=1
	s_or_b64 exec, exec, s[2:3]
	v_pk_mov_b32 v[18:19], s[12:13], s[12:13] op_sel:[0,1]
	v_cmp_ge_i64_e32 vcc, s[14:15], v[18:19]
	v_mov_b32_e32 v18, 0xffff
	v_mov_b32_e32 v19, 0
	v_cmp_gt_u64_e64 s[2:3], s[14:15], v[18:19]
	s_or_b64 s[2:3], vcc, s[2:3]
	v_mov_b32_e32 v18, s25
	v_add_co_u32_e32 v2, vcc, s17, v2
	v_addc_co_u32_e32 v3, vcc, v3, v18, vcc
	v_add_co_u32_e32 v4, vcc, s17, v4
	v_addc_co_u32_e32 v5, vcc, v5, v18, vcc
	v_mov_b32_e32 v19, s9
	v_add_co_u32_e32 v0, vcc, s8, v0
	v_addc_co_u32_e32 v1, vcc, v1, v19, vcc
	v_add_co_u32_e32 v6, vcc, s17, v6
	v_addc_co_u32_e32 v7, vcc, v7, v18, vcc
	;; [unrolled: 2-line block ×6, first 2 shown]
	v_add_co_u32_e32 v16, vcc, s17, v16
	s_add_u32 s14, s14, s8
	v_addc_co_u32_e32 v17, vcc, v17, v18, vcc
	s_addc_u32 s15, s15, 0
	s_and_b64 vcc, exec, s[2:3]
	s_cbranch_vccnz .LBB87_25
.LBB87_9:                               ; =>This Inner Loop Header: Depth=1
	v_cmp_gt_i64_e32 vcc, s[12:13], v[0:1]
	v_cmp_gt_u64_e64 s[2:3], s[4:5], v[0:1]
	v_pk_mov_b32 v[20:21], 0, 0
	s_and_b64 s[26:27], vcc, s[2:3]
	v_pk_mov_b32 v[18:19], v[20:21], v[20:21] op_sel:[0,1]
	s_and_saveexec_b64 s[2:3], s[26:27]
	s_cbranch_execz .LBB87_11
; %bb.10:                               ;   in Loop: Header=BB87_9 Depth=1
	v_mov_b32_e32 v21, s11
	v_add_co_u32_e32 v18, vcc, s10, v2
	v_addc_co_u32_e32 v19, vcc, v3, v21, vcc
	v_add_co_u32_e32 v20, vcc, s10, v4
	v_addc_co_u32_e32 v21, vcc, v5, v21, vcc
	global_load_ushort v22, v[18:19], off
	global_load_ushort v23, v[20:21], off
	v_mov_b32_e32 v19, s18
	v_mov_b32_e32 v21, s18
	s_waitcnt vmcnt(1)
	v_and_b32_e32 v18, 0xffff, v22
	s_waitcnt vmcnt(0)
	v_and_b32_e32 v20, 0xffff, v23
.LBB87_11:                              ;   in Loop: Header=BB87_9 Depth=1
	s_or_b64 exec, exec, s[2:3]
	v_mov_b32_e32 v23, s18
	v_add_co_u32_e32 v22, vcc, s19, v0
	v_addc_co_u32_e32 v23, vcc, v23, v1, vcc
	v_cmp_gt_i64_e32 vcc, s[12:13], v[22:23]
	v_cmp_gt_u64_e64 s[2:3], s[4:5], v[22:23]
	s_and_b64 s[26:27], vcc, s[2:3]
	s_and_saveexec_b64 s[2:3], s[26:27]
	s_cbranch_execz .LBB87_13
; %bb.12:                               ;   in Loop: Header=BB87_9 Depth=1
	v_mov_b32_e32 v27, s11
	v_add_co_u32_e32 v24, vcc, s10, v16
	v_addc_co_u32_e32 v25, vcc, v17, v27, vcc
	v_add_co_u32_e32 v26, vcc, s10, v14
	v_addc_co_u32_e32 v27, vcc, v15, v27, vcc
	global_load_ushort v30, v[26:27], off
	global_load_ushort v31, v[24:25], off
	s_waitcnt vmcnt(1)
	v_lshl_or_b32 v18, v30, 16, v18
	s_waitcnt vmcnt(0)
	v_lshl_or_b32 v20, v31, 16, v20
.LBB87_13:                              ;   in Loop: Header=BB87_9 Depth=1
	s_or_b64 exec, exec, s[2:3]
	v_mov_b32_e32 v25, s21
	v_add_co_u32_e32 v24, vcc, s20, v0
	v_addc_co_u32_e32 v25, vcc, v25, v1, vcc
	v_cmp_gt_i64_e32 vcc, s[12:13], v[24:25]
	v_cmp_gt_u64_e64 s[2:3], s[4:5], v[24:25]
	s_and_b64 s[26:27], vcc, s[2:3]
	s_and_saveexec_b64 s[2:3], s[26:27]
	s_cbranch_execz .LBB87_15
; %bb.14:                               ;   in Loop: Header=BB87_9 Depth=1
	v_mov_b32_e32 v31, s11
	v_add_co_u32_e32 v26, vcc, s10, v12
	v_addc_co_u32_e32 v27, vcc, v13, v31, vcc
	v_add_co_u32_e32 v30, vcc, s10, v10
	v_addc_co_u32_e32 v31, vcc, v11, v31, vcc
	global_load_ushort v32, v[30:31], off
	global_load_ushort v33, v[26:27], off
	s_waitcnt vmcnt(1)
	v_or_b32_e32 v19, v32, v19
	s_waitcnt vmcnt(0)
	v_or_b32_e32 v21, v33, v21
.LBB87_15:                              ;   in Loop: Header=BB87_9 Depth=1
	s_or_b64 exec, exec, s[2:3]
	v_mov_b32_e32 v27, s23
	v_add_co_u32_e32 v26, vcc, s22, v0
	v_addc_co_u32_e32 v27, vcc, v27, v1, vcc
	v_cmp_gt_i64_e32 vcc, s[12:13], v[26:27]
	v_cmp_gt_u64_e64 s[2:3], s[4:5], v[26:27]
	s_and_b64 s[26:27], vcc, s[2:3]
	s_and_saveexec_b64 s[2:3], s[26:27]
	s_cbranch_execnz .LBB87_20
; %bb.16:                               ;   in Loop: Header=BB87_9 Depth=1
	s_or_b64 exec, exec, s[2:3]
	v_cmp_gt_u64_e32 vcc, s[6:7], v[0:1]
	s_and_saveexec_b64 s[2:3], vcc
	s_cbranch_execnz .LBB87_21
.LBB87_17:                              ;   in Loop: Header=BB87_9 Depth=1
	s_or_b64 exec, exec, s[2:3]
	v_cmp_gt_u64_e32 vcc, s[6:7], v[22:23]
	s_and_saveexec_b64 s[2:3], vcc
	s_cbranch_execnz .LBB87_22
.LBB87_18:                              ;   in Loop: Header=BB87_9 Depth=1
	s_or_b64 exec, exec, s[2:3]
	v_cmp_gt_u64_e32 vcc, s[6:7], v[24:25]
	s_and_saveexec_b64 s[2:3], vcc
	s_cbranch_execnz .LBB87_23
.LBB87_19:                              ;   in Loop: Header=BB87_9 Depth=1
	s_or_b64 exec, exec, s[2:3]
	v_cmp_gt_u64_e32 vcc, s[6:7], v[26:27]
	s_and_saveexec_b64 s[2:3], vcc
	s_cbranch_execz .LBB87_8
	s_branch .LBB87_24
.LBB87_20:                              ;   in Loop: Header=BB87_9 Depth=1
	v_mov_b32_e32 v33, s11
	v_add_co_u32_e32 v30, vcc, s10, v8
	v_addc_co_u32_e32 v31, vcc, v9, v33, vcc
	v_add_co_u32_e32 v32, vcc, s10, v6
	v_addc_co_u32_e32 v33, vcc, v7, v33, vcc
	global_load_ushort v34, v[32:33], off
	global_load_ushort v35, v[30:31], off
	s_waitcnt vmcnt(1)
	v_lshlrev_b32_e32 v30, 16, v34
	s_waitcnt vmcnt(0)
	v_lshlrev_b32_e32 v31, 16, v35
	v_or_b32_e32 v19, v30, v19
	v_or_b32_e32 v21, v31, v21
	s_or_b64 exec, exec, s[2:3]
	v_cmp_gt_u64_e32 vcc, s[6:7], v[0:1]
	s_and_saveexec_b64 s[2:3], vcc
	s_cbranch_execz .LBB87_17
.LBB87_21:                              ;   in Loop: Header=BB87_9 Depth=1
	v_lshlrev_b32_e32 v30, 16, v20
	v_div_scale_f32 v31, s[26:27], v30, v30, v28
	v_rcp_f32_e32 v32, v31
	v_div_scale_f32 v33, vcc, v28, v30, v28
	v_fma_f32 v34, -v31, v32, 1.0
	v_fmac_f32_e32 v32, v34, v32
	v_mul_f32_e32 v34, v33, v32
	v_fma_f32 v35, -v31, v34, v33
	v_fmac_f32_e32 v34, v35, v32
	v_fma_f32 v31, -v31, v34, v33
	v_div_fmas_f32 v31, v31, v32, v34
	v_div_fixup_f32 v30, v31, v30, v28
	v_lshlrev_b32_e32 v31, 16, v18
	v_add_f32_e32 v32, v30, v31
	v_fmac_f32_e32 v31, s24, v30
	v_cndmask_b32_e64 v32, v31, v32, s[0:1]
	v_bfe_u32 v30, v32, 16, 1
	v_add3_u32 v30, v32, v30, s16
	v_lshrrev_b32_e32 v33, 16, v30
	v_mov_b32_e32 v31, s11
	v_add_co_u32_e32 v30, vcc, s10, v2
	v_addc_co_u32_e32 v31, vcc, v3, v31, vcc
	v_cmp_o_f32_e32 vcc, v32, v32
	v_cndmask_b32_e32 v32, v29, v33, vcc
	global_store_short v[30:31], v32, off
	s_or_b64 exec, exec, s[2:3]
	v_cmp_gt_u64_e32 vcc, s[6:7], v[22:23]
	s_and_saveexec_b64 s[2:3], vcc
	s_cbranch_execz .LBB87_18
.LBB87_22:                              ;   in Loop: Header=BB87_9 Depth=1
	v_and_b32_e32 v22, 0xffff0000, v20
	v_div_scale_f32 v23, s[26:27], v22, v22, v28
	v_rcp_f32_e32 v30, v23
	v_and_b32_e32 v31, 0xffff0000, v18
	v_fma_f32 v32, -v23, v30, 1.0
	v_fmac_f32_e32 v30, v32, v30
	v_div_scale_f32 v32, vcc, v28, v22, v28
	v_mul_f32_e32 v33, v32, v30
	v_fma_f32 v34, -v23, v33, v32
	v_fmac_f32_e32 v33, v34, v30
	v_fma_f32 v23, -v23, v33, v32
	v_div_fmas_f32 v23, v23, v30, v33
	v_div_fixup_f32 v22, v23, v22, v28
	v_add_f32_e32 v23, v22, v31
	v_fmac_f32_e32 v31, s24, v22
	v_cndmask_b32_e64 v22, v31, v23, s[0:1]
	v_bfe_u32 v23, v22, 16, 1
	v_add3_u32 v23, v22, v23, s16
	v_lshrrev_b32_e32 v23, 16, v23
	v_cmp_o_f32_e32 vcc, v22, v22
	v_cndmask_b32_e32 v30, v29, v23, vcc
	v_mov_b32_e32 v23, s11
	v_add_co_u32_e32 v22, vcc, s10, v14
	v_addc_co_u32_e32 v23, vcc, v15, v23, vcc
	global_store_short v[22:23], v30, off
	s_or_b64 exec, exec, s[2:3]
	v_cmp_gt_u64_e32 vcc, s[6:7], v[24:25]
	s_and_saveexec_b64 s[2:3], vcc
	s_cbranch_execz .LBB87_19
.LBB87_23:                              ;   in Loop: Header=BB87_9 Depth=1
	v_alignbit_b32 v20, v21, v20, 16
	v_and_b32_e32 v20, 0xffff0000, v20
	v_div_scale_f32 v22, s[26:27], v20, v20, v28
	v_rcp_f32_e32 v23, v22
	v_alignbit_b32 v18, v19, v18, 16
	v_and_b32_e32 v18, 0xffff0000, v18
	v_fma_f32 v24, -v22, v23, 1.0
	v_fmac_f32_e32 v23, v24, v23
	v_div_scale_f32 v24, vcc, v28, v20, v28
	v_mul_f32_e32 v25, v24, v23
	v_fma_f32 v30, -v22, v25, v24
	v_fmac_f32_e32 v25, v30, v23
	v_fma_f32 v22, -v22, v25, v24
	v_div_fmas_f32 v22, v22, v23, v25
	v_div_fixup_f32 v20, v22, v20, v28
	v_add_f32_e32 v22, v20, v18
	v_fmac_f32_e32 v18, s24, v20
	v_cndmask_b32_e64 v18, v18, v22, s[0:1]
	v_bfe_u32 v20, v18, 16, 1
	v_add3_u32 v20, v18, v20, s16
	v_lshrrev_b32_e32 v20, 16, v20
	v_cmp_o_f32_e32 vcc, v18, v18
	v_cndmask_b32_e32 v18, v29, v20, vcc
	v_mov_b32_e32 v20, s11
	v_add_co_u32_e32 v22, vcc, s10, v10
	v_addc_co_u32_e32 v23, vcc, v11, v20, vcc
	global_store_short v[22:23], v18, off
	s_or_b64 exec, exec, s[2:3]
	v_cmp_gt_u64_e32 vcc, s[6:7], v[26:27]
	s_and_saveexec_b64 s[2:3], vcc
	s_cbranch_execz .LBB87_8
.LBB87_24:                              ;   in Loop: Header=BB87_9 Depth=1
	v_and_b32_e32 v18, 0xffff0000, v21
	v_div_scale_f32 v20, s[26:27], v18, v18, v28
	v_rcp_f32_e32 v21, v20
	v_and_b32_e32 v19, 0xffff0000, v19
	v_fma_f32 v22, -v20, v21, 1.0
	v_fmac_f32_e32 v21, v22, v21
	v_div_scale_f32 v22, vcc, v28, v18, v28
	v_mul_f32_e32 v23, v22, v21
	v_fma_f32 v24, -v20, v23, v22
	v_fmac_f32_e32 v23, v24, v21
	v_fma_f32 v20, -v20, v23, v22
	v_div_fmas_f32 v20, v20, v21, v23
	v_div_fixup_f32 v18, v20, v18, v28
	v_add_f32_e32 v20, v18, v19
	v_fmac_f32_e32 v19, s24, v18
	v_cndmask_b32_e64 v18, v19, v20, s[0:1]
	v_bfe_u32 v19, v18, 16, 1
	v_add3_u32 v19, v18, v19, s16
	v_lshrrev_b32_e32 v19, 16, v19
	v_cmp_o_f32_e32 vcc, v18, v18
	v_cndmask_b32_e32 v20, v29, v19, vcc
	v_mov_b32_e32 v19, s11
	v_add_co_u32_e32 v18, vcc, s10, v6
	v_addc_co_u32_e32 v19, vcc, v7, v19, vcc
	global_store_short v[18:19], v20, off
	s_branch .LBB87_8
.LBB87_25:
	s_endpgm
	.section	.rodata,"a",@progbits
	.p2align	6, 0x0
	.amdhsa_kernel _ZN2at6native12_GLOBAL__N_125multi_tensor_apply_kernelINS1_18TensorListMetadataILi3EEENS1_32PointwiseOpScalar0dTensorFunctorIN3c108BFloat16ELi3ELi2ELi0EEEJSt7dividesIfEfEEEvT_T0_DpT1_
		.amdhsa_group_segment_fixed_size 0
		.amdhsa_private_segment_fixed_size 0
		.amdhsa_kernarg_size 3408
		.amdhsa_user_sgpr_count 6
		.amdhsa_user_sgpr_private_segment_buffer 1
		.amdhsa_user_sgpr_dispatch_ptr 0
		.amdhsa_user_sgpr_queue_ptr 0
		.amdhsa_user_sgpr_kernarg_segment_ptr 1
		.amdhsa_user_sgpr_dispatch_id 0
		.amdhsa_user_sgpr_flat_scratch_init 0
		.amdhsa_user_sgpr_kernarg_preload_length 0
		.amdhsa_user_sgpr_kernarg_preload_offset 0
		.amdhsa_user_sgpr_private_segment_size 0
		.amdhsa_uses_dynamic_stack 0
		.amdhsa_system_sgpr_private_segment_wavefront_offset 0
		.amdhsa_system_sgpr_workgroup_id_x 1
		.amdhsa_system_sgpr_workgroup_id_y 0
		.amdhsa_system_sgpr_workgroup_id_z 0
		.amdhsa_system_sgpr_workgroup_info 0
		.amdhsa_system_vgpr_workitem_id 0
		.amdhsa_next_free_vgpr 41
		.amdhsa_next_free_sgpr 28
		.amdhsa_accum_offset 44
		.amdhsa_reserve_vcc 1
		.amdhsa_reserve_flat_scratch 0
		.amdhsa_float_round_mode_32 0
		.amdhsa_float_round_mode_16_64 0
		.amdhsa_float_denorm_mode_32 3
		.amdhsa_float_denorm_mode_16_64 3
		.amdhsa_dx10_clamp 1
		.amdhsa_ieee_mode 1
		.amdhsa_fp16_overflow 0
		.amdhsa_tg_split 0
		.amdhsa_exception_fp_ieee_invalid_op 0
		.amdhsa_exception_fp_denorm_src 0
		.amdhsa_exception_fp_ieee_div_zero 0
		.amdhsa_exception_fp_ieee_overflow 0
		.amdhsa_exception_fp_ieee_underflow 0
		.amdhsa_exception_fp_ieee_inexact 0
		.amdhsa_exception_int_div_zero 0
	.end_amdhsa_kernel
	.section	.text._ZN2at6native12_GLOBAL__N_125multi_tensor_apply_kernelINS1_18TensorListMetadataILi3EEENS1_32PointwiseOpScalar0dTensorFunctorIN3c108BFloat16ELi3ELi2ELi0EEEJSt7dividesIfEfEEEvT_T0_DpT1_,"axG",@progbits,_ZN2at6native12_GLOBAL__N_125multi_tensor_apply_kernelINS1_18TensorListMetadataILi3EEENS1_32PointwiseOpScalar0dTensorFunctorIN3c108BFloat16ELi3ELi2ELi0EEEJSt7dividesIfEfEEEvT_T0_DpT1_,comdat
.Lfunc_end87:
	.size	_ZN2at6native12_GLOBAL__N_125multi_tensor_apply_kernelINS1_18TensorListMetadataILi3EEENS1_32PointwiseOpScalar0dTensorFunctorIN3c108BFloat16ELi3ELi2ELi0EEEJSt7dividesIfEfEEEvT_T0_DpT1_, .Lfunc_end87-_ZN2at6native12_GLOBAL__N_125multi_tensor_apply_kernelINS1_18TensorListMetadataILi3EEENS1_32PointwiseOpScalar0dTensorFunctorIN3c108BFloat16ELi3ELi2ELi0EEEJSt7dividesIfEfEEEvT_T0_DpT1_
                                        ; -- End function
	.section	.AMDGPU.csdata,"",@progbits
; Kernel info:
; codeLenInByte = 2584
; NumSgprs: 32
; NumVgprs: 41
; NumAgprs: 0
; TotalNumVgprs: 41
; ScratchSize: 0
; MemoryBound: 0
; FloatMode: 240
; IeeeMode: 1
; LDSByteSize: 0 bytes/workgroup (compile time only)
; SGPRBlocks: 3
; VGPRBlocks: 5
; NumSGPRsForWavesPerEU: 32
; NumVGPRsForWavesPerEU: 41
; AccumOffset: 44
; Occupancy: 8
; WaveLimiterHint : 0
; COMPUTE_PGM_RSRC2:SCRATCH_EN: 0
; COMPUTE_PGM_RSRC2:USER_SGPR: 6
; COMPUTE_PGM_RSRC2:TRAP_HANDLER: 0
; COMPUTE_PGM_RSRC2:TGID_X_EN: 1
; COMPUTE_PGM_RSRC2:TGID_Y_EN: 0
; COMPUTE_PGM_RSRC2:TGID_Z_EN: 0
; COMPUTE_PGM_RSRC2:TIDIG_COMP_CNT: 0
; COMPUTE_PGM_RSRC3_GFX90A:ACCUM_OFFSET: 10
; COMPUTE_PGM_RSRC3_GFX90A:TG_SPLIT: 0
	.section	.text._ZN2at6native12_GLOBAL__N_125multi_tensor_apply_kernelINS1_28TensorListScalarListMetadataIhLi4EEENS1_28PointwiseOpScalarListFunctorIhLi4ELi3ELi3EEEJSt10multipliesIhEEEEvT_T0_DpT1_,"axG",@progbits,_ZN2at6native12_GLOBAL__N_125multi_tensor_apply_kernelINS1_28TensorListScalarListMetadataIhLi4EEENS1_28PointwiseOpScalarListFunctorIhLi4ELi3ELi3EEEJSt10multipliesIhEEEEvT_T0_DpT1_,comdat
	.globl	_ZN2at6native12_GLOBAL__N_125multi_tensor_apply_kernelINS1_28TensorListScalarListMetadataIhLi4EEENS1_28PointwiseOpScalarListFunctorIhLi4ELi3ELi3EEEJSt10multipliesIhEEEEvT_T0_DpT1_ ; -- Begin function _ZN2at6native12_GLOBAL__N_125multi_tensor_apply_kernelINS1_28TensorListScalarListMetadataIhLi4EEENS1_28PointwiseOpScalarListFunctorIhLi4ELi3ELi3EEEJSt10multipliesIhEEEEvT_T0_DpT1_
	.p2align	8
	.type	_ZN2at6native12_GLOBAL__N_125multi_tensor_apply_kernelINS1_28TensorListScalarListMetadataIhLi4EEENS1_28PointwiseOpScalarListFunctorIhLi4ELi3ELi3EEEJSt10multipliesIhEEEEvT_T0_DpT1_,@function
_ZN2at6native12_GLOBAL__N_125multi_tensor_apply_kernelINS1_28TensorListScalarListMetadataIhLi4EEENS1_28PointwiseOpScalarListFunctorIhLi4ELi3ELi3EEEJSt10multipliesIhEEEEvT_T0_DpT1_: ; @_ZN2at6native12_GLOBAL__N_125multi_tensor_apply_kernelINS1_28TensorListScalarListMetadataIhLi4EEENS1_28PointwiseOpScalarListFunctorIhLi4ELi3ELi3EEEJSt10multipliesIhEEEEvT_T0_DpT1_
; %bb.0:
	v_mov_b32_e32 v1, s6
	global_load_ubyte v1, v1, s[4:5] offset:1476
	s_add_u32 s0, s4, s6
	s_addc_u32 s1, s5, 0
	s_mul_hi_u32 s2, s6, 3
	s_mul_i32 s6, s6, 3
	s_add_u32 s0, s0, s6
	s_addc_u32 s1, s1, s2
	s_load_dword s0, s[0:1], 0x704
	v_mov_b32_e32 v3, s5
	s_mov_b32 s15, 0
	s_waitcnt vmcnt(0)
	v_add_co_u32_e32 v2, vcc, s4, v1
	v_addc_co_u32_e32 v3, vcc, 0, v3, vcc
	global_load_ubyte v2, v[2:3], off offset:1440
	v_readfirstlane_b32 s1, v1
	s_lshl_b32 s10, s1, 3
	s_load_dwordx2 s[18:19], s[4:5], s10 offset:0x480
	s_load_dwordx2 s[6:7], s[4:5], s10 offset:0x0
	s_waitcnt lgkmcnt(0)
	s_ashr_i32 s1, s0, 31
	s_lshl_b64 s[16:17], s[0:1], 16
	s_load_dwordx2 s[8:9], s[4:5], s10 offset:0x120
	s_load_dwordx2 s[2:3], s[4:5], s10 offset:0x240
	;; [unrolled: 1-line block ×3, first 2 shown]
	s_add_u32 s10, s6, s16
	s_addc_u32 s11, s7, s17
	s_waitcnt lgkmcnt(0)
	s_add_u32 s20, s8, s16
	s_addc_u32 s23, s9, s17
	s_and_b32 s14, s20, 3
	s_cmp_eq_u64 s[14:15], 0
	s_cselect_b64 s[12:13], -1, 0
	s_add_u32 s21, s2, s16
	s_addc_u32 s24, s3, s17
	s_add_u32 s22, s0, s16
	s_addc_u32 s25, s1, s17
	s_or_b32 s14, s22, s21
	s_and_b32 s14, s14, 3
	s_cmp_eq_u32 s14, 0
	s_cselect_b64 s[26:27], -1, 0
	s_and_b64 s[26:27], s[26:27], s[12:13]
	s_sub_u32 s12, s18, s16
	s_subb_u32 s13, s19, s17
	s_or_b64 s[18:19], s[18:19], s[10:11]
	s_and_b32 s14, s18, 3
	s_cmp_eq_u64 s[14:15], 0
	s_cselect_b64 s[14:15], -1, 0
	s_and_b64 s[18:19], s[26:27], s[14:15]
	s_mov_b64 s[14:15], -1
	s_and_b64 vcc, exec, s[18:19]
	s_cbranch_vccnz .LBB88_29
; %bb.1:
	v_cmp_lt_i64_e64 s[14:15], s[12:13], 1
	s_and_b64 vcc, exec, s[14:15]
	s_cbranch_vccnz .LBB88_28
; %bb.2:
	s_load_dword s14, s[4:5], 0xc1c
	v_mov_b32_e32 v4, 0x10000
	v_mov_b32_e32 v5, 0
	v_cmp_lt_u64_e32 vcc, s[12:13], v[4:5]
	v_mov_b32_e32 v1, s17
	s_waitcnt lgkmcnt(0)
	s_and_b32 s27, s14, 0xffff
	s_and_b64 s[14:15], vcc, exec
	v_add_co_u32_e32 v30, vcc, s16, v0
	v_addc_co_u32_e32 v31, vcc, 0, v1, vcc
	v_mov_b32_e32 v32, s7
	v_add_co_u32_e32 v1, vcc, s6, v30
	v_addc_co_u32_e32 v3, vcc, v32, v31, vcc
	v_mov_b32_e32 v33, s9
	;; [unrolled: 3-line block ×3, first 2 shown]
	v_add_co_u32_e32 v6, vcc, s2, v30
	s_cselect_b32 s15, s13, 0
	s_cselect_b32 s14, s12, 0x10000
	s_lshl_b32 s28, s27, 1
	s_mul_i32 s18, s27, 3
	s_lshl_b32 s26, s27, 2
	v_addc_co_u32_e32 v7, vcc, v35, v31, vcc
	v_mov_b32_e32 v37, s1
	v_add_co_u32_e32 v8, vcc, s0, v30
	s_add_u32 s1, s16, s18
	v_addc_co_u32_e32 v9, vcc, v37, v31, vcc
	s_addc_u32 s3, s17, 0
	v_mov_b32_e32 v10, s3
	v_add_co_u32_e32 v16, vcc, s1, v0
	v_addc_co_u32_e32 v17, vcc, 0, v10, vcc
	v_add_co_u32_e32 v10, vcc, s6, v16
	v_addc_co_u32_e32 v11, vcc, v32, v17, vcc
	;; [unrolled: 2-line block ×5, first 2 shown]
	s_add_u32 s1, s16, s28
	v_add_co_u32_e32 v18, vcc, s18, v0
	s_addc_u32 s3, s17, 0
	v_addc_co_u32_e64 v19, s[18:19], 0, 0, vcc
	v_mov_b32_e32 v20, s3
	v_add_co_u32_e32 v26, vcc, s1, v0
	v_addc_co_u32_e32 v27, vcc, 0, v20, vcc
	v_add_co_u32_e32 v20, vcc, s6, v26
	v_addc_co_u32_e32 v21, vcc, v32, v27, vcc
	;; [unrolled: 2-line block ×5, first 2 shown]
	v_add_co_u32_e32 v28, vcc, s28, v0
	v_addc_co_u32_e64 v29, s[16:17], 0, 0, vcc
	v_add_co_u32_e32 v36, vcc, s27, v30
	v_addc_co_u32_e32 v38, vcc, 0, v31, vcc
	v_add_co_u32_e32 v30, vcc, s6, v36
	v_addc_co_u32_e32 v31, vcc, v32, v38, vcc
	;; [unrolled: 2-line block ×5, first 2 shown]
	v_add_co_u32_e32 v38, vcc, s27, v0
	v_addc_co_u32_e64 v39, s[0:1], 0, 0, vcc
	s_mov_b64 s[16:17], 0
	s_branch .LBB88_4
.LBB88_3:                               ;   in Loop: Header=BB88_4 Depth=1
	s_or_b64 exec, exec, s[0:1]
	s_add_u32 s16, s16, s26
	s_addc_u32 s17, s17, 0
	s_waitcnt vmcnt(0)
	v_pk_mov_b32 v[40:41], s[12:13], s[12:13] op_sel:[0,1]
	v_cmp_lt_i64_e32 vcc, s[16:17], v[40:41]
	v_mov_b32_e32 v40, 0x10000
	v_mov_b32_e32 v41, 0
	v_cmp_lt_u64_e64 s[0:1], s[16:17], v[40:41]
	s_and_b64 s[0:1], vcc, s[0:1]
	s_and_b64 vcc, exec, s[0:1]
	s_cbranch_vccz .LBB88_28
.LBB88_4:                               ; =>This Inner Loop Header: Depth=1
	v_mov_b32_e32 v41, s17
	v_add_co_u32_e32 v40, vcc, s16, v0
	v_addc_co_u32_e32 v41, vcc, 0, v41, vcc
	v_cmp_gt_u64_e32 vcc, s[14:15], v[40:41]
	v_mov_b32_e32 v40, 0
	v_mov_b32_e32 v41, 0
	s_and_saveexec_b64 s[2:3], vcc
	s_cbranch_execz .LBB88_6
; %bb.5:                                ;   in Loop: Header=BB88_4 Depth=1
	v_mov_b32_e32 v40, s17
	v_add_co_u32_e64 v42, s[0:1], s16, v1
	v_addc_co_u32_e64 v43, s[0:1], v3, v40, s[0:1]
	v_add_co_u32_e64 v44, s[0:1], s16, v4
	v_addc_co_u32_e64 v45, s[0:1], v5, v40, s[0:1]
	global_load_ubyte v40, v[42:43], off
	global_load_ubyte v41, v[44:45], off
.LBB88_6:                               ;   in Loop: Header=BB88_4 Depth=1
	s_or_b64 exec, exec, s[2:3]
	v_mov_b32_e32 v42, 0
	v_mov_b32_e32 v43, 0
	s_and_saveexec_b64 s[2:3], vcc
	s_cbranch_execz .LBB88_8
; %bb.7:                                ;   in Loop: Header=BB88_4 Depth=1
	v_mov_b32_e32 v43, s17
	v_add_co_u32_e64 v44, s[0:1], s16, v6
	v_addc_co_u32_e64 v45, s[0:1], v7, v43, s[0:1]
	global_load_ubyte v43, v[44:45], off
.LBB88_8:                               ;   in Loop: Header=BB88_4 Depth=1
	s_or_b64 exec, exec, s[2:3]
	v_mov_b32_e32 v45, s17
	v_add_co_u32_e64 v44, s[0:1], s16, v38
	v_addc_co_u32_e64 v45, s[0:1], v39, v45, s[0:1]
	v_cmp_gt_u64_e64 s[0:1], s[14:15], v[44:45]
	v_mov_b32_e32 v44, 0
	s_and_saveexec_b64 s[6:7], s[0:1]
	s_cbranch_execz .LBB88_10
; %bb.9:                                ;   in Loop: Header=BB88_4 Depth=1
	v_mov_b32_e32 v42, s17
	v_add_co_u32_e64 v46, s[2:3], s16, v32
	v_addc_co_u32_e64 v47, s[2:3], v33, v42, s[2:3]
	v_add_co_u32_e64 v48, s[2:3], s16, v30
	v_addc_co_u32_e64 v49, s[2:3], v31, v42, s[2:3]
	global_load_ubyte v42, v[48:49], off
	global_load_ubyte v44, v[46:47], off
.LBB88_10:                              ;   in Loop: Header=BB88_4 Depth=1
	s_or_b64 exec, exec, s[6:7]
	v_mov_b32_e32 v45, 0
	v_mov_b32_e32 v46, 0
	s_and_saveexec_b64 s[6:7], s[0:1]
	s_cbranch_execz .LBB88_12
; %bb.11:                               ;   in Loop: Header=BB88_4 Depth=1
	v_mov_b32_e32 v47, s17
	v_add_co_u32_e64 v46, s[2:3], s16, v34
	v_addc_co_u32_e64 v47, s[2:3], v35, v47, s[2:3]
	global_load_ubyte v46, v[46:47], off
.LBB88_12:                              ;   in Loop: Header=BB88_4 Depth=1
	s_or_b64 exec, exec, s[6:7]
	v_mov_b32_e32 v47, s17
	v_add_co_u32_e64 v48, s[2:3], s16, v28
	v_addc_co_u32_e64 v49, s[2:3], v29, v47, s[2:3]
	v_cmp_gt_u64_e64 s[2:3], s[14:15], v[48:49]
	v_mov_b32_e32 v47, 0
	s_and_saveexec_b64 s[8:9], s[2:3]
	s_cbranch_execz .LBB88_14
; %bb.13:                               ;   in Loop: Header=BB88_4 Depth=1
	v_mov_b32_e32 v45, s17
	v_add_co_u32_e64 v48, s[6:7], s16, v22
	v_addc_co_u32_e64 v49, s[6:7], v23, v45, s[6:7]
	v_add_co_u32_e64 v50, s[6:7], s16, v20
	v_addc_co_u32_e64 v51, s[6:7], v21, v45, s[6:7]
	global_load_ubyte v45, v[50:51], off
	global_load_ubyte v47, v[48:49], off
.LBB88_14:                              ;   in Loop: Header=BB88_4 Depth=1
	s_or_b64 exec, exec, s[8:9]
	v_mov_b32_e32 v48, 0
	v_mov_b32_e32 v49, 0
	s_and_saveexec_b64 s[8:9], s[2:3]
	s_cbranch_execz .LBB88_16
; %bb.15:                               ;   in Loop: Header=BB88_4 Depth=1
	v_mov_b32_e32 v49, s17
	v_add_co_u32_e64 v50, s[6:7], s16, v24
	v_addc_co_u32_e64 v51, s[6:7], v25, v49, s[6:7]
	global_load_ubyte v49, v[50:51], off
.LBB88_16:                              ;   in Loop: Header=BB88_4 Depth=1
	s_or_b64 exec, exec, s[8:9]
	v_mov_b32_e32 v51, s17
	v_add_co_u32_e64 v50, s[6:7], s16, v18
	v_addc_co_u32_e64 v51, s[6:7], v19, v51, s[6:7]
	v_cmp_gt_u64_e64 s[6:7], s[14:15], v[50:51]
	v_mov_b32_e32 v50, 0
	s_and_saveexec_b64 s[18:19], s[6:7]
	s_cbranch_execnz .LBB88_22
; %bb.17:                               ;   in Loop: Header=BB88_4 Depth=1
	s_or_b64 exec, exec, s[18:19]
	v_mov_b32_e32 v51, 0
	s_and_saveexec_b64 s[18:19], s[6:7]
	s_cbranch_execnz .LBB88_23
.LBB88_18:                              ;   in Loop: Header=BB88_4 Depth=1
	s_or_b64 exec, exec, s[18:19]
	s_and_saveexec_b64 s[8:9], vcc
	s_cbranch_execnz .LBB88_24
.LBB88_19:                              ;   in Loop: Header=BB88_4 Depth=1
	s_or_b64 exec, exec, s[8:9]
	s_and_saveexec_b64 s[8:9], s[0:1]
	s_cbranch_execnz .LBB88_25
.LBB88_20:                              ;   in Loop: Header=BB88_4 Depth=1
	s_or_b64 exec, exec, s[8:9]
	s_and_saveexec_b64 s[0:1], s[2:3]
	s_cbranch_execnz .LBB88_26
.LBB88_21:                              ;   in Loop: Header=BB88_4 Depth=1
	s_or_b64 exec, exec, s[0:1]
	s_and_saveexec_b64 s[0:1], s[6:7]
	s_cbranch_execz .LBB88_3
	s_branch .LBB88_27
.LBB88_22:                              ;   in Loop: Header=BB88_4 Depth=1
	v_mov_b32_e32 v48, s17
	v_add_co_u32_e64 v52, s[8:9], s16, v12
	v_addc_co_u32_e64 v53, s[8:9], v13, v48, s[8:9]
	v_add_co_u32_e64 v54, s[8:9], s16, v10
	v_addc_co_u32_e64 v55, s[8:9], v11, v48, s[8:9]
	global_load_ubyte v48, v[54:55], off
	global_load_ubyte v50, v[52:53], off
	s_or_b64 exec, exec, s[18:19]
	v_mov_b32_e32 v51, 0
	s_and_saveexec_b64 s[18:19], s[6:7]
	s_cbranch_execz .LBB88_18
.LBB88_23:                              ;   in Loop: Header=BB88_4 Depth=1
	v_mov_b32_e32 v51, s17
	v_add_co_u32_e64 v52, s[8:9], s16, v14
	v_addc_co_u32_e64 v53, s[8:9], v15, v51, s[8:9]
	global_load_ubyte v51, v[52:53], off
	s_or_b64 exec, exec, s[18:19]
	s_and_saveexec_b64 s[8:9], vcc
	s_cbranch_execz .LBB88_19
.LBB88_24:                              ;   in Loop: Header=BB88_4 Depth=1
	s_waitcnt vmcnt(0)
	v_mul_lo_u16_e32 v41, v41, v2
	v_mad_legacy_u16 v43, v41, v43, v40
	v_mov_b32_e32 v41, s17
	v_add_co_u32_e32 v40, vcc, s16, v8
	v_addc_co_u32_e32 v41, vcc, v9, v41, vcc
	global_store_byte v[40:41], v43, off
	s_or_b64 exec, exec, s[8:9]
	s_and_saveexec_b64 s[8:9], s[0:1]
	s_cbranch_execz .LBB88_20
.LBB88_25:                              ;   in Loop: Header=BB88_4 Depth=1
	s_waitcnt vmcnt(0)
	v_mul_lo_u16_e32 v40, v44, v2
	v_mad_legacy_u16 v42, v40, v46, v42
	v_mov_b32_e32 v41, s17
	v_add_co_u32_e32 v40, vcc, s16, v36
	v_addc_co_u32_e32 v41, vcc, v37, v41, vcc
	global_store_byte v[40:41], v42, off
	s_or_b64 exec, exec, s[8:9]
	s_and_saveexec_b64 s[0:1], s[2:3]
	s_cbranch_execz .LBB88_21
.LBB88_26:                              ;   in Loop: Header=BB88_4 Depth=1
	s_waitcnt vmcnt(0)
	v_mul_lo_u16_e32 v40, v47, v2
	v_mad_legacy_u16 v42, v40, v49, v45
	v_mov_b32_e32 v41, s17
	v_add_co_u32_e32 v40, vcc, s16, v26
	v_addc_co_u32_e32 v41, vcc, v27, v41, vcc
	global_store_byte v[40:41], v42, off
	s_or_b64 exec, exec, s[0:1]
	s_and_saveexec_b64 s[0:1], s[6:7]
	s_cbranch_execz .LBB88_3
.LBB88_27:                              ;   in Loop: Header=BB88_4 Depth=1
	s_waitcnt vmcnt(0)
	v_mul_lo_u16_e32 v40, v50, v2
	v_mad_legacy_u16 v42, v40, v51, v48
	v_mov_b32_e32 v41, s17
	v_add_co_u32_e32 v40, vcc, s16, v16
	v_addc_co_u32_e32 v41, vcc, v17, v41, vcc
	global_store_byte v[40:41], v42, off
	s_branch .LBB88_3
.LBB88_28:
	s_mov_b64 s[14:15], 0
.LBB88_29:
	s_andn2_b64 vcc, exec, s[14:15]
	s_cbranch_vccnz .LBB88_33
; %bb.30:
	v_lshlrev_b32_e32 v0, 2, v0
	v_mov_b32_e32 v1, 0
	v_cmp_gt_i64_e32 vcc, s[12:13], v[0:1]
	s_and_saveexec_b64 s[0:1], vcc
	s_cbranch_execz .LBB88_33
; %bb.31:
	s_load_dword s0, s[4:5], 0xc1c
	s_mov_b32 s1, 0
	s_mov_b64 s[2:3], 0
	v_mov_b32_e32 v3, s11
	v_mov_b32_e32 v4, s23
	s_waitcnt lgkmcnt(0)
	s_and_b32 s0, s0, 0xffff
	s_lshl_b32 s6, s0, 2
	v_mov_b32_e32 v5, s24
	s_mov_b32 s7, 0x6050400
	v_mov_b32_e32 v6, s25
	v_mov_b32_e32 v7, s1
	s_mov_b64 s[4:5], 0xffff
.LBB88_32:                              ; =>This Inner Loop Header: Depth=1
	v_add_co_u32_e32 v8, vcc, s10, v0
	v_addc_co_u32_e32 v9, vcc, v3, v1, vcc
	v_add_co_u32_e32 v10, vcc, s20, v0
	v_addc_co_u32_e32 v11, vcc, v4, v1, vcc
	;; [unrolled: 2-line block ×3, first 2 shown]
	global_load_dword v14, v[10:11], off
	global_load_dword v15, v[8:9], off
	global_load_dword v16, v[12:13], off
	v_add_co_u32_e32 v8, vcc, s22, v0
	v_addc_co_u32_e32 v9, vcc, v6, v1, vcc
	v_add_co_u32_e32 v0, vcc, s6, v0
	v_addc_co_u32_e32 v1, vcc, v7, v1, vcc
	v_cmp_le_i64_e32 vcc, s[12:13], v[0:1]
	v_cmp_lt_u64_e64 s[0:1], s[4:5], v[0:1]
	s_or_b64 s[0:1], vcc, s[0:1]
	s_and_b64 s[0:1], exec, s[0:1]
	s_or_b64 s[2:3], s[0:1], s[2:3]
	s_waitcnt vmcnt(2)
	v_lshrrev_b32_e32 v12, 8, v14
	v_mul_lo_u16_e32 v10, v2, v14
	s_waitcnt vmcnt(1)
	v_lshrrev_b32_e32 v11, 8, v15
	s_waitcnt vmcnt(0)
	v_lshrrev_b32_e32 v13, 8, v16
	v_lshrrev_b32_e32 v17, 16, v15
	;; [unrolled: 1-line block ×3, first 2 shown]
	v_mul_lo_u16_sdwa v19, v2, v14 dst_sel:DWORD dst_unused:UNUSED_PAD src0_sel:DWORD src1_sel:WORD_1
	v_mul_lo_u16_e32 v12, v2, v12
	v_lshrrev_b32_e32 v20, 24, v15
	v_lshrrev_b32_e32 v21, 24, v16
	v_mul_lo_u16_sdwa v14, v2, v14 dst_sel:DWORD dst_unused:UNUSED_PAD src0_sel:DWORD src1_sel:BYTE_3
	v_mad_legacy_u16 v10, v10, v16, v15
	v_mad_legacy_u16 v15, v19, v18, v17
	;; [unrolled: 1-line block ×4, first 2 shown]
	v_and_b32_e32 v12, 0xff, v15
	v_and_b32_e32 v11, 0xff, v11
	v_lshlrev_b32_e32 v13, 24, v14
	v_lshlrev_b32_e32 v12, 16, v12
	v_perm_b32 v10, v11, v10, s7
	v_or3_b32 v10, v10, v12, v13
	global_store_dword v[8:9], v10, off
	s_andn2_b64 exec, exec, s[2:3]
	s_cbranch_execnz .LBB88_32
.LBB88_33:
	s_endpgm
	.section	.rodata,"a",@progbits
	.p2align	6, 0x0
	.amdhsa_kernel _ZN2at6native12_GLOBAL__N_125multi_tensor_apply_kernelINS1_28TensorListScalarListMetadataIhLi4EEENS1_28PointwiseOpScalarListFunctorIhLi4ELi3ELi3EEEJSt10multipliesIhEEEEvT_T0_DpT1_
		.amdhsa_group_segment_fixed_size 0
		.amdhsa_private_segment_fixed_size 0
		.amdhsa_kernarg_size 3344
		.amdhsa_user_sgpr_count 6
		.amdhsa_user_sgpr_private_segment_buffer 1
		.amdhsa_user_sgpr_dispatch_ptr 0
		.amdhsa_user_sgpr_queue_ptr 0
		.amdhsa_user_sgpr_kernarg_segment_ptr 1
		.amdhsa_user_sgpr_dispatch_id 0
		.amdhsa_user_sgpr_flat_scratch_init 0
		.amdhsa_user_sgpr_kernarg_preload_length 0
		.amdhsa_user_sgpr_kernarg_preload_offset 0
		.amdhsa_user_sgpr_private_segment_size 0
		.amdhsa_uses_dynamic_stack 0
		.amdhsa_system_sgpr_private_segment_wavefront_offset 0
		.amdhsa_system_sgpr_workgroup_id_x 1
		.amdhsa_system_sgpr_workgroup_id_y 0
		.amdhsa_system_sgpr_workgroup_id_z 0
		.amdhsa_system_sgpr_workgroup_info 0
		.amdhsa_system_vgpr_workitem_id 0
		.amdhsa_next_free_vgpr 56
		.amdhsa_next_free_sgpr 29
		.amdhsa_accum_offset 56
		.amdhsa_reserve_vcc 1
		.amdhsa_reserve_flat_scratch 0
		.amdhsa_float_round_mode_32 0
		.amdhsa_float_round_mode_16_64 0
		.amdhsa_float_denorm_mode_32 3
		.amdhsa_float_denorm_mode_16_64 3
		.amdhsa_dx10_clamp 1
		.amdhsa_ieee_mode 1
		.amdhsa_fp16_overflow 0
		.amdhsa_tg_split 0
		.amdhsa_exception_fp_ieee_invalid_op 0
		.amdhsa_exception_fp_denorm_src 0
		.amdhsa_exception_fp_ieee_div_zero 0
		.amdhsa_exception_fp_ieee_overflow 0
		.amdhsa_exception_fp_ieee_underflow 0
		.amdhsa_exception_fp_ieee_inexact 0
		.amdhsa_exception_int_div_zero 0
	.end_amdhsa_kernel
	.section	.text._ZN2at6native12_GLOBAL__N_125multi_tensor_apply_kernelINS1_28TensorListScalarListMetadataIhLi4EEENS1_28PointwiseOpScalarListFunctorIhLi4ELi3ELi3EEEJSt10multipliesIhEEEEvT_T0_DpT1_,"axG",@progbits,_ZN2at6native12_GLOBAL__N_125multi_tensor_apply_kernelINS1_28TensorListScalarListMetadataIhLi4EEENS1_28PointwiseOpScalarListFunctorIhLi4ELi3ELi3EEEJSt10multipliesIhEEEEvT_T0_DpT1_,comdat
.Lfunc_end88:
	.size	_ZN2at6native12_GLOBAL__N_125multi_tensor_apply_kernelINS1_28TensorListScalarListMetadataIhLi4EEENS1_28PointwiseOpScalarListFunctorIhLi4ELi3ELi3EEEJSt10multipliesIhEEEEvT_T0_DpT1_, .Lfunc_end88-_ZN2at6native12_GLOBAL__N_125multi_tensor_apply_kernelINS1_28TensorListScalarListMetadataIhLi4EEENS1_28PointwiseOpScalarListFunctorIhLi4ELi3ELi3EEEJSt10multipliesIhEEEEvT_T0_DpT1_
                                        ; -- End function
	.section	.AMDGPU.csdata,"",@progbits
; Kernel info:
; codeLenInByte = 1796
; NumSgprs: 33
; NumVgprs: 56
; NumAgprs: 0
; TotalNumVgprs: 56
; ScratchSize: 0
; MemoryBound: 0
; FloatMode: 240
; IeeeMode: 1
; LDSByteSize: 0 bytes/workgroup (compile time only)
; SGPRBlocks: 4
; VGPRBlocks: 6
; NumSGPRsForWavesPerEU: 33
; NumVGPRsForWavesPerEU: 56
; AccumOffset: 56
; Occupancy: 8
; WaveLimiterHint : 0
; COMPUTE_PGM_RSRC2:SCRATCH_EN: 0
; COMPUTE_PGM_RSRC2:USER_SGPR: 6
; COMPUTE_PGM_RSRC2:TRAP_HANDLER: 0
; COMPUTE_PGM_RSRC2:TGID_X_EN: 1
; COMPUTE_PGM_RSRC2:TGID_Y_EN: 0
; COMPUTE_PGM_RSRC2:TGID_Z_EN: 0
; COMPUTE_PGM_RSRC2:TIDIG_COMP_CNT: 0
; COMPUTE_PGM_RSRC3_GFX90A:ACCUM_OFFSET: 13
; COMPUTE_PGM_RSRC3_GFX90A:TG_SPLIT: 0
	.section	.text._ZN2at6native12_GLOBAL__N_125multi_tensor_apply_kernelINS1_28TensorListScalarListMetadataIaLi4EEENS1_28PointwiseOpScalarListFunctorIaLi4ELi3ELi3EEEJSt10multipliesIaEEEEvT_T0_DpT1_,"axG",@progbits,_ZN2at6native12_GLOBAL__N_125multi_tensor_apply_kernelINS1_28TensorListScalarListMetadataIaLi4EEENS1_28PointwiseOpScalarListFunctorIaLi4ELi3ELi3EEEJSt10multipliesIaEEEEvT_T0_DpT1_,comdat
	.globl	_ZN2at6native12_GLOBAL__N_125multi_tensor_apply_kernelINS1_28TensorListScalarListMetadataIaLi4EEENS1_28PointwiseOpScalarListFunctorIaLi4ELi3ELi3EEEJSt10multipliesIaEEEEvT_T0_DpT1_ ; -- Begin function _ZN2at6native12_GLOBAL__N_125multi_tensor_apply_kernelINS1_28TensorListScalarListMetadataIaLi4EEENS1_28PointwiseOpScalarListFunctorIaLi4ELi3ELi3EEEJSt10multipliesIaEEEEvT_T0_DpT1_
	.p2align	8
	.type	_ZN2at6native12_GLOBAL__N_125multi_tensor_apply_kernelINS1_28TensorListScalarListMetadataIaLi4EEENS1_28PointwiseOpScalarListFunctorIaLi4ELi3ELi3EEEJSt10multipliesIaEEEEvT_T0_DpT1_,@function
_ZN2at6native12_GLOBAL__N_125multi_tensor_apply_kernelINS1_28TensorListScalarListMetadataIaLi4EEENS1_28PointwiseOpScalarListFunctorIaLi4ELi3ELi3EEEJSt10multipliesIaEEEEvT_T0_DpT1_: ; @_ZN2at6native12_GLOBAL__N_125multi_tensor_apply_kernelINS1_28TensorListScalarListMetadataIaLi4EEENS1_28PointwiseOpScalarListFunctorIaLi4ELi3ELi3EEEJSt10multipliesIaEEEEvT_T0_DpT1_
; %bb.0:
	v_mov_b32_e32 v1, s6
	global_load_ubyte v1, v1, s[4:5] offset:1476
	s_add_u32 s0, s4, s6
	s_addc_u32 s1, s5, 0
	s_mul_hi_u32 s2, s6, 3
	s_mul_i32 s6, s6, 3
	s_add_u32 s0, s0, s6
	s_addc_u32 s1, s1, s2
	s_load_dword s0, s[0:1], 0x704
	v_mov_b32_e32 v3, s5
	s_mov_b32 s15, 0
	s_waitcnt vmcnt(0)
	v_add_co_u32_e32 v2, vcc, s4, v1
	v_addc_co_u32_e32 v3, vcc, 0, v3, vcc
	global_load_ubyte v2, v[2:3], off offset:1440
	v_readfirstlane_b32 s1, v1
	s_lshl_b32 s10, s1, 3
	s_load_dwordx2 s[18:19], s[4:5], s10 offset:0x480
	s_load_dwordx2 s[6:7], s[4:5], s10 offset:0x0
	s_waitcnt lgkmcnt(0)
	s_ashr_i32 s1, s0, 31
	s_lshl_b64 s[16:17], s[0:1], 16
	s_load_dwordx2 s[8:9], s[4:5], s10 offset:0x120
	s_load_dwordx2 s[2:3], s[4:5], s10 offset:0x240
	;; [unrolled: 1-line block ×3, first 2 shown]
	s_add_u32 s10, s6, s16
	s_addc_u32 s11, s7, s17
	s_waitcnt lgkmcnt(0)
	s_add_u32 s20, s8, s16
	s_addc_u32 s23, s9, s17
	s_and_b32 s14, s20, 3
	s_cmp_eq_u64 s[14:15], 0
	s_cselect_b64 s[12:13], -1, 0
	s_add_u32 s21, s2, s16
	s_addc_u32 s24, s3, s17
	s_add_u32 s22, s0, s16
	s_addc_u32 s25, s1, s17
	s_or_b32 s14, s22, s21
	s_and_b32 s14, s14, 3
	s_cmp_eq_u32 s14, 0
	s_cselect_b64 s[26:27], -1, 0
	s_and_b64 s[26:27], s[26:27], s[12:13]
	s_sub_u32 s12, s18, s16
	s_subb_u32 s13, s19, s17
	s_or_b64 s[18:19], s[18:19], s[10:11]
	s_and_b32 s14, s18, 3
	s_cmp_eq_u64 s[14:15], 0
	s_cselect_b64 s[14:15], -1, 0
	s_and_b64 s[18:19], s[26:27], s[14:15]
	s_mov_b64 s[14:15], -1
	s_and_b64 vcc, exec, s[18:19]
	s_cbranch_vccnz .LBB89_29
; %bb.1:
	v_cmp_lt_i64_e64 s[14:15], s[12:13], 1
	s_and_b64 vcc, exec, s[14:15]
	s_cbranch_vccnz .LBB89_28
; %bb.2:
	s_load_dword s14, s[4:5], 0xc1c
	v_mov_b32_e32 v4, 0x10000
	v_mov_b32_e32 v5, 0
	v_cmp_lt_u64_e32 vcc, s[12:13], v[4:5]
	v_mov_b32_e32 v1, s17
	s_waitcnt lgkmcnt(0)
	s_and_b32 s27, s14, 0xffff
	s_and_b64 s[14:15], vcc, exec
	v_add_co_u32_e32 v30, vcc, s16, v0
	v_addc_co_u32_e32 v31, vcc, 0, v1, vcc
	v_mov_b32_e32 v32, s7
	v_add_co_u32_e32 v1, vcc, s6, v30
	v_addc_co_u32_e32 v3, vcc, v32, v31, vcc
	v_mov_b32_e32 v33, s9
	;; [unrolled: 3-line block ×3, first 2 shown]
	v_add_co_u32_e32 v6, vcc, s2, v30
	s_cselect_b32 s15, s13, 0
	s_cselect_b32 s14, s12, 0x10000
	s_lshl_b32 s28, s27, 1
	s_mul_i32 s18, s27, 3
	s_lshl_b32 s26, s27, 2
	v_addc_co_u32_e32 v7, vcc, v35, v31, vcc
	v_mov_b32_e32 v37, s1
	v_add_co_u32_e32 v8, vcc, s0, v30
	s_add_u32 s1, s16, s18
	v_addc_co_u32_e32 v9, vcc, v37, v31, vcc
	s_addc_u32 s3, s17, 0
	v_mov_b32_e32 v10, s3
	v_add_co_u32_e32 v16, vcc, s1, v0
	v_addc_co_u32_e32 v17, vcc, 0, v10, vcc
	v_add_co_u32_e32 v10, vcc, s6, v16
	v_addc_co_u32_e32 v11, vcc, v32, v17, vcc
	;; [unrolled: 2-line block ×5, first 2 shown]
	s_add_u32 s1, s16, s28
	v_add_co_u32_e32 v18, vcc, s18, v0
	s_addc_u32 s3, s17, 0
	v_addc_co_u32_e64 v19, s[18:19], 0, 0, vcc
	v_mov_b32_e32 v20, s3
	v_add_co_u32_e32 v26, vcc, s1, v0
	v_addc_co_u32_e32 v27, vcc, 0, v20, vcc
	v_add_co_u32_e32 v20, vcc, s6, v26
	v_addc_co_u32_e32 v21, vcc, v32, v27, vcc
	;; [unrolled: 2-line block ×5, first 2 shown]
	v_add_co_u32_e32 v28, vcc, s28, v0
	v_addc_co_u32_e64 v29, s[16:17], 0, 0, vcc
	v_add_co_u32_e32 v36, vcc, s27, v30
	v_addc_co_u32_e32 v38, vcc, 0, v31, vcc
	v_add_co_u32_e32 v30, vcc, s6, v36
	v_addc_co_u32_e32 v31, vcc, v32, v38, vcc
	;; [unrolled: 2-line block ×5, first 2 shown]
	v_add_co_u32_e32 v38, vcc, s27, v0
	v_addc_co_u32_e64 v39, s[0:1], 0, 0, vcc
	s_mov_b64 s[16:17], 0
	s_branch .LBB89_4
.LBB89_3:                               ;   in Loop: Header=BB89_4 Depth=1
	s_or_b64 exec, exec, s[0:1]
	s_add_u32 s16, s16, s26
	s_addc_u32 s17, s17, 0
	s_waitcnt vmcnt(0)
	v_pk_mov_b32 v[40:41], s[12:13], s[12:13] op_sel:[0,1]
	v_cmp_lt_i64_e32 vcc, s[16:17], v[40:41]
	v_mov_b32_e32 v40, 0x10000
	v_mov_b32_e32 v41, 0
	v_cmp_lt_u64_e64 s[0:1], s[16:17], v[40:41]
	s_and_b64 s[0:1], vcc, s[0:1]
	s_and_b64 vcc, exec, s[0:1]
	s_cbranch_vccz .LBB89_28
.LBB89_4:                               ; =>This Inner Loop Header: Depth=1
	v_mov_b32_e32 v41, s17
	v_add_co_u32_e32 v40, vcc, s16, v0
	v_addc_co_u32_e32 v41, vcc, 0, v41, vcc
	v_cmp_gt_u64_e32 vcc, s[14:15], v[40:41]
	v_mov_b32_e32 v40, 0
	v_mov_b32_e32 v41, 0
	s_and_saveexec_b64 s[2:3], vcc
	s_cbranch_execz .LBB89_6
; %bb.5:                                ;   in Loop: Header=BB89_4 Depth=1
	v_mov_b32_e32 v40, s17
	v_add_co_u32_e64 v42, s[0:1], s16, v1
	v_addc_co_u32_e64 v43, s[0:1], v3, v40, s[0:1]
	v_add_co_u32_e64 v44, s[0:1], s16, v4
	v_addc_co_u32_e64 v45, s[0:1], v5, v40, s[0:1]
	global_load_ubyte v40, v[42:43], off
	global_load_ubyte v41, v[44:45], off
.LBB89_6:                               ;   in Loop: Header=BB89_4 Depth=1
	s_or_b64 exec, exec, s[2:3]
	v_mov_b32_e32 v42, 0
	v_mov_b32_e32 v43, 0
	s_and_saveexec_b64 s[2:3], vcc
	s_cbranch_execz .LBB89_8
; %bb.7:                                ;   in Loop: Header=BB89_4 Depth=1
	v_mov_b32_e32 v43, s17
	v_add_co_u32_e64 v44, s[0:1], s16, v6
	v_addc_co_u32_e64 v45, s[0:1], v7, v43, s[0:1]
	global_load_ubyte v43, v[44:45], off
.LBB89_8:                               ;   in Loop: Header=BB89_4 Depth=1
	s_or_b64 exec, exec, s[2:3]
	v_mov_b32_e32 v45, s17
	v_add_co_u32_e64 v44, s[0:1], s16, v38
	v_addc_co_u32_e64 v45, s[0:1], v39, v45, s[0:1]
	v_cmp_gt_u64_e64 s[0:1], s[14:15], v[44:45]
	v_mov_b32_e32 v44, 0
	s_and_saveexec_b64 s[6:7], s[0:1]
	s_cbranch_execz .LBB89_10
; %bb.9:                                ;   in Loop: Header=BB89_4 Depth=1
	v_mov_b32_e32 v42, s17
	v_add_co_u32_e64 v46, s[2:3], s16, v32
	v_addc_co_u32_e64 v47, s[2:3], v33, v42, s[2:3]
	v_add_co_u32_e64 v48, s[2:3], s16, v30
	v_addc_co_u32_e64 v49, s[2:3], v31, v42, s[2:3]
	global_load_ubyte v42, v[48:49], off
	global_load_ubyte v44, v[46:47], off
.LBB89_10:                              ;   in Loop: Header=BB89_4 Depth=1
	s_or_b64 exec, exec, s[6:7]
	v_mov_b32_e32 v45, 0
	v_mov_b32_e32 v46, 0
	s_and_saveexec_b64 s[6:7], s[0:1]
	s_cbranch_execz .LBB89_12
; %bb.11:                               ;   in Loop: Header=BB89_4 Depth=1
	v_mov_b32_e32 v47, s17
	v_add_co_u32_e64 v46, s[2:3], s16, v34
	v_addc_co_u32_e64 v47, s[2:3], v35, v47, s[2:3]
	global_load_ubyte v46, v[46:47], off
.LBB89_12:                              ;   in Loop: Header=BB89_4 Depth=1
	s_or_b64 exec, exec, s[6:7]
	v_mov_b32_e32 v47, s17
	v_add_co_u32_e64 v48, s[2:3], s16, v28
	v_addc_co_u32_e64 v49, s[2:3], v29, v47, s[2:3]
	v_cmp_gt_u64_e64 s[2:3], s[14:15], v[48:49]
	v_mov_b32_e32 v47, 0
	s_and_saveexec_b64 s[8:9], s[2:3]
	s_cbranch_execz .LBB89_14
; %bb.13:                               ;   in Loop: Header=BB89_4 Depth=1
	v_mov_b32_e32 v45, s17
	v_add_co_u32_e64 v48, s[6:7], s16, v22
	v_addc_co_u32_e64 v49, s[6:7], v23, v45, s[6:7]
	v_add_co_u32_e64 v50, s[6:7], s16, v20
	v_addc_co_u32_e64 v51, s[6:7], v21, v45, s[6:7]
	global_load_ubyte v45, v[50:51], off
	global_load_ubyte v47, v[48:49], off
.LBB89_14:                              ;   in Loop: Header=BB89_4 Depth=1
	s_or_b64 exec, exec, s[8:9]
	v_mov_b32_e32 v48, 0
	v_mov_b32_e32 v49, 0
	s_and_saveexec_b64 s[8:9], s[2:3]
	s_cbranch_execz .LBB89_16
; %bb.15:                               ;   in Loop: Header=BB89_4 Depth=1
	v_mov_b32_e32 v49, s17
	v_add_co_u32_e64 v50, s[6:7], s16, v24
	v_addc_co_u32_e64 v51, s[6:7], v25, v49, s[6:7]
	global_load_ubyte v49, v[50:51], off
.LBB89_16:                              ;   in Loop: Header=BB89_4 Depth=1
	s_or_b64 exec, exec, s[8:9]
	v_mov_b32_e32 v51, s17
	v_add_co_u32_e64 v50, s[6:7], s16, v18
	v_addc_co_u32_e64 v51, s[6:7], v19, v51, s[6:7]
	v_cmp_gt_u64_e64 s[6:7], s[14:15], v[50:51]
	v_mov_b32_e32 v50, 0
	s_and_saveexec_b64 s[18:19], s[6:7]
	s_cbranch_execnz .LBB89_22
; %bb.17:                               ;   in Loop: Header=BB89_4 Depth=1
	s_or_b64 exec, exec, s[18:19]
	v_mov_b32_e32 v51, 0
	s_and_saveexec_b64 s[18:19], s[6:7]
	s_cbranch_execnz .LBB89_23
.LBB89_18:                              ;   in Loop: Header=BB89_4 Depth=1
	s_or_b64 exec, exec, s[18:19]
	s_and_saveexec_b64 s[8:9], vcc
	s_cbranch_execnz .LBB89_24
.LBB89_19:                              ;   in Loop: Header=BB89_4 Depth=1
	s_or_b64 exec, exec, s[8:9]
	s_and_saveexec_b64 s[8:9], s[0:1]
	s_cbranch_execnz .LBB89_25
.LBB89_20:                              ;   in Loop: Header=BB89_4 Depth=1
	s_or_b64 exec, exec, s[8:9]
	s_and_saveexec_b64 s[0:1], s[2:3]
	s_cbranch_execnz .LBB89_26
.LBB89_21:                              ;   in Loop: Header=BB89_4 Depth=1
	s_or_b64 exec, exec, s[0:1]
	s_and_saveexec_b64 s[0:1], s[6:7]
	s_cbranch_execz .LBB89_3
	s_branch .LBB89_27
.LBB89_22:                              ;   in Loop: Header=BB89_4 Depth=1
	v_mov_b32_e32 v48, s17
	v_add_co_u32_e64 v52, s[8:9], s16, v12
	v_addc_co_u32_e64 v53, s[8:9], v13, v48, s[8:9]
	v_add_co_u32_e64 v54, s[8:9], s16, v10
	v_addc_co_u32_e64 v55, s[8:9], v11, v48, s[8:9]
	global_load_ubyte v48, v[54:55], off
	global_load_ubyte v50, v[52:53], off
	s_or_b64 exec, exec, s[18:19]
	v_mov_b32_e32 v51, 0
	s_and_saveexec_b64 s[18:19], s[6:7]
	s_cbranch_execz .LBB89_18
.LBB89_23:                              ;   in Loop: Header=BB89_4 Depth=1
	v_mov_b32_e32 v51, s17
	v_add_co_u32_e64 v52, s[8:9], s16, v14
	v_addc_co_u32_e64 v53, s[8:9], v15, v51, s[8:9]
	global_load_ubyte v51, v[52:53], off
	s_or_b64 exec, exec, s[18:19]
	s_and_saveexec_b64 s[8:9], vcc
	s_cbranch_execz .LBB89_19
.LBB89_24:                              ;   in Loop: Header=BB89_4 Depth=1
	s_waitcnt vmcnt(0)
	v_mul_lo_u16_e32 v41, v41, v2
	v_mad_legacy_u16 v43, v41, v43, v40
	v_mov_b32_e32 v41, s17
	v_add_co_u32_e32 v40, vcc, s16, v8
	v_addc_co_u32_e32 v41, vcc, v9, v41, vcc
	global_store_byte v[40:41], v43, off
	s_or_b64 exec, exec, s[8:9]
	s_and_saveexec_b64 s[8:9], s[0:1]
	s_cbranch_execz .LBB89_20
.LBB89_25:                              ;   in Loop: Header=BB89_4 Depth=1
	s_waitcnt vmcnt(0)
	v_mul_lo_u16_e32 v40, v44, v2
	v_mad_legacy_u16 v42, v40, v46, v42
	v_mov_b32_e32 v41, s17
	v_add_co_u32_e32 v40, vcc, s16, v36
	v_addc_co_u32_e32 v41, vcc, v37, v41, vcc
	global_store_byte v[40:41], v42, off
	s_or_b64 exec, exec, s[8:9]
	s_and_saveexec_b64 s[0:1], s[2:3]
	s_cbranch_execz .LBB89_21
.LBB89_26:                              ;   in Loop: Header=BB89_4 Depth=1
	s_waitcnt vmcnt(0)
	v_mul_lo_u16_e32 v40, v47, v2
	v_mad_legacy_u16 v42, v40, v49, v45
	v_mov_b32_e32 v41, s17
	v_add_co_u32_e32 v40, vcc, s16, v26
	v_addc_co_u32_e32 v41, vcc, v27, v41, vcc
	global_store_byte v[40:41], v42, off
	s_or_b64 exec, exec, s[0:1]
	s_and_saveexec_b64 s[0:1], s[6:7]
	s_cbranch_execz .LBB89_3
.LBB89_27:                              ;   in Loop: Header=BB89_4 Depth=1
	s_waitcnt vmcnt(0)
	v_mul_lo_u16_e32 v40, v50, v2
	v_mad_legacy_u16 v42, v40, v51, v48
	v_mov_b32_e32 v41, s17
	v_add_co_u32_e32 v40, vcc, s16, v16
	v_addc_co_u32_e32 v41, vcc, v17, v41, vcc
	global_store_byte v[40:41], v42, off
	s_branch .LBB89_3
.LBB89_28:
	s_mov_b64 s[14:15], 0
.LBB89_29:
	s_andn2_b64 vcc, exec, s[14:15]
	s_cbranch_vccnz .LBB89_33
; %bb.30:
	v_lshlrev_b32_e32 v0, 2, v0
	v_mov_b32_e32 v1, 0
	v_cmp_gt_i64_e32 vcc, s[12:13], v[0:1]
	s_and_saveexec_b64 s[0:1], vcc
	s_cbranch_execz .LBB89_33
; %bb.31:
	s_load_dword s0, s[4:5], 0xc1c
	s_mov_b32 s1, 0
	s_mov_b64 s[2:3], 0
	v_mov_b32_e32 v3, s11
	v_mov_b32_e32 v4, s23
	s_waitcnt lgkmcnt(0)
	s_and_b32 s0, s0, 0xffff
	s_lshl_b32 s6, s0, 2
	v_mov_b32_e32 v5, s24
	s_mov_b32 s7, 0x6050400
	v_mov_b32_e32 v6, s25
	v_mov_b32_e32 v7, s1
	s_mov_b64 s[4:5], 0xffff
.LBB89_32:                              ; =>This Inner Loop Header: Depth=1
	v_add_co_u32_e32 v8, vcc, s10, v0
	v_addc_co_u32_e32 v9, vcc, v3, v1, vcc
	v_add_co_u32_e32 v10, vcc, s20, v0
	v_addc_co_u32_e32 v11, vcc, v4, v1, vcc
	;; [unrolled: 2-line block ×3, first 2 shown]
	global_load_dword v14, v[10:11], off
	global_load_dword v15, v[8:9], off
	;; [unrolled: 1-line block ×3, first 2 shown]
	v_add_co_u32_e32 v8, vcc, s22, v0
	v_addc_co_u32_e32 v9, vcc, v6, v1, vcc
	v_add_co_u32_e32 v0, vcc, s6, v0
	v_addc_co_u32_e32 v1, vcc, v7, v1, vcc
	v_cmp_le_i64_e32 vcc, s[12:13], v[0:1]
	v_cmp_lt_u64_e64 s[0:1], s[4:5], v[0:1]
	s_or_b64 s[0:1], vcc, s[0:1]
	s_and_b64 s[0:1], exec, s[0:1]
	s_or_b64 s[2:3], s[0:1], s[2:3]
	s_waitcnt vmcnt(2)
	v_lshrrev_b32_e32 v12, 8, v14
	v_mul_lo_u16_e32 v10, v2, v14
	s_waitcnt vmcnt(1)
	v_lshrrev_b32_e32 v11, 8, v15
	s_waitcnt vmcnt(0)
	v_lshrrev_b32_e32 v13, 8, v16
	v_lshrrev_b32_e32 v17, 16, v15
	;; [unrolled: 1-line block ×3, first 2 shown]
	v_mul_lo_u16_sdwa v19, v2, v14 dst_sel:DWORD dst_unused:UNUSED_PAD src0_sel:DWORD src1_sel:WORD_1
	v_mul_lo_u16_e32 v12, v2, v12
	v_lshrrev_b32_e32 v20, 24, v15
	v_lshrrev_b32_e32 v21, 24, v16
	v_mul_lo_u16_sdwa v14, v2, v14 dst_sel:DWORD dst_unused:UNUSED_PAD src0_sel:DWORD src1_sel:BYTE_3
	v_mad_legacy_u16 v10, v10, v16, v15
	v_mad_legacy_u16 v15, v19, v18, v17
	;; [unrolled: 1-line block ×4, first 2 shown]
	v_and_b32_e32 v12, 0xff, v15
	v_and_b32_e32 v11, 0xff, v11
	v_lshlrev_b32_e32 v13, 24, v14
	v_lshlrev_b32_e32 v12, 16, v12
	v_perm_b32 v10, v11, v10, s7
	v_or3_b32 v10, v10, v12, v13
	global_store_dword v[8:9], v10, off
	s_andn2_b64 exec, exec, s[2:3]
	s_cbranch_execnz .LBB89_32
.LBB89_33:
	s_endpgm
	.section	.rodata,"a",@progbits
	.p2align	6, 0x0
	.amdhsa_kernel _ZN2at6native12_GLOBAL__N_125multi_tensor_apply_kernelINS1_28TensorListScalarListMetadataIaLi4EEENS1_28PointwiseOpScalarListFunctorIaLi4ELi3ELi3EEEJSt10multipliesIaEEEEvT_T0_DpT1_
		.amdhsa_group_segment_fixed_size 0
		.amdhsa_private_segment_fixed_size 0
		.amdhsa_kernarg_size 3344
		.amdhsa_user_sgpr_count 6
		.amdhsa_user_sgpr_private_segment_buffer 1
		.amdhsa_user_sgpr_dispatch_ptr 0
		.amdhsa_user_sgpr_queue_ptr 0
		.amdhsa_user_sgpr_kernarg_segment_ptr 1
		.amdhsa_user_sgpr_dispatch_id 0
		.amdhsa_user_sgpr_flat_scratch_init 0
		.amdhsa_user_sgpr_kernarg_preload_length 0
		.amdhsa_user_sgpr_kernarg_preload_offset 0
		.amdhsa_user_sgpr_private_segment_size 0
		.amdhsa_uses_dynamic_stack 0
		.amdhsa_system_sgpr_private_segment_wavefront_offset 0
		.amdhsa_system_sgpr_workgroup_id_x 1
		.amdhsa_system_sgpr_workgroup_id_y 0
		.amdhsa_system_sgpr_workgroup_id_z 0
		.amdhsa_system_sgpr_workgroup_info 0
		.amdhsa_system_vgpr_workitem_id 0
		.amdhsa_next_free_vgpr 56
		.amdhsa_next_free_sgpr 29
		.amdhsa_accum_offset 56
		.amdhsa_reserve_vcc 1
		.amdhsa_reserve_flat_scratch 0
		.amdhsa_float_round_mode_32 0
		.amdhsa_float_round_mode_16_64 0
		.amdhsa_float_denorm_mode_32 3
		.amdhsa_float_denorm_mode_16_64 3
		.amdhsa_dx10_clamp 1
		.amdhsa_ieee_mode 1
		.amdhsa_fp16_overflow 0
		.amdhsa_tg_split 0
		.amdhsa_exception_fp_ieee_invalid_op 0
		.amdhsa_exception_fp_denorm_src 0
		.amdhsa_exception_fp_ieee_div_zero 0
		.amdhsa_exception_fp_ieee_overflow 0
		.amdhsa_exception_fp_ieee_underflow 0
		.amdhsa_exception_fp_ieee_inexact 0
		.amdhsa_exception_int_div_zero 0
	.end_amdhsa_kernel
	.section	.text._ZN2at6native12_GLOBAL__N_125multi_tensor_apply_kernelINS1_28TensorListScalarListMetadataIaLi4EEENS1_28PointwiseOpScalarListFunctorIaLi4ELi3ELi3EEEJSt10multipliesIaEEEEvT_T0_DpT1_,"axG",@progbits,_ZN2at6native12_GLOBAL__N_125multi_tensor_apply_kernelINS1_28TensorListScalarListMetadataIaLi4EEENS1_28PointwiseOpScalarListFunctorIaLi4ELi3ELi3EEEJSt10multipliesIaEEEEvT_T0_DpT1_,comdat
.Lfunc_end89:
	.size	_ZN2at6native12_GLOBAL__N_125multi_tensor_apply_kernelINS1_28TensorListScalarListMetadataIaLi4EEENS1_28PointwiseOpScalarListFunctorIaLi4ELi3ELi3EEEJSt10multipliesIaEEEEvT_T0_DpT1_, .Lfunc_end89-_ZN2at6native12_GLOBAL__N_125multi_tensor_apply_kernelINS1_28TensorListScalarListMetadataIaLi4EEENS1_28PointwiseOpScalarListFunctorIaLi4ELi3ELi3EEEJSt10multipliesIaEEEEvT_T0_DpT1_
                                        ; -- End function
	.section	.AMDGPU.csdata,"",@progbits
; Kernel info:
; codeLenInByte = 1796
; NumSgprs: 33
; NumVgprs: 56
; NumAgprs: 0
; TotalNumVgprs: 56
; ScratchSize: 0
; MemoryBound: 0
; FloatMode: 240
; IeeeMode: 1
; LDSByteSize: 0 bytes/workgroup (compile time only)
; SGPRBlocks: 4
; VGPRBlocks: 6
; NumSGPRsForWavesPerEU: 33
; NumVGPRsForWavesPerEU: 56
; AccumOffset: 56
; Occupancy: 8
; WaveLimiterHint : 0
; COMPUTE_PGM_RSRC2:SCRATCH_EN: 0
; COMPUTE_PGM_RSRC2:USER_SGPR: 6
; COMPUTE_PGM_RSRC2:TRAP_HANDLER: 0
; COMPUTE_PGM_RSRC2:TGID_X_EN: 1
; COMPUTE_PGM_RSRC2:TGID_Y_EN: 0
; COMPUTE_PGM_RSRC2:TGID_Z_EN: 0
; COMPUTE_PGM_RSRC2:TIDIG_COMP_CNT: 0
; COMPUTE_PGM_RSRC3_GFX90A:ACCUM_OFFSET: 13
; COMPUTE_PGM_RSRC3_GFX90A:TG_SPLIT: 0
	.section	.text._ZN2at6native12_GLOBAL__N_125multi_tensor_apply_kernelINS1_28TensorListScalarListMetadataIiLi4EEENS1_28PointwiseOpScalarListFunctorIiLi4ELi3ELi3EEEJSt10multipliesIiEEEEvT_T0_DpT1_,"axG",@progbits,_ZN2at6native12_GLOBAL__N_125multi_tensor_apply_kernelINS1_28TensorListScalarListMetadataIiLi4EEENS1_28PointwiseOpScalarListFunctorIiLi4ELi3ELi3EEEJSt10multipliesIiEEEEvT_T0_DpT1_,comdat
	.globl	_ZN2at6native12_GLOBAL__N_125multi_tensor_apply_kernelINS1_28TensorListScalarListMetadataIiLi4EEENS1_28PointwiseOpScalarListFunctorIiLi4ELi3ELi3EEEJSt10multipliesIiEEEEvT_T0_DpT1_ ; -- Begin function _ZN2at6native12_GLOBAL__N_125multi_tensor_apply_kernelINS1_28TensorListScalarListMetadataIiLi4EEENS1_28PointwiseOpScalarListFunctorIiLi4ELi3ELi3EEEJSt10multipliesIiEEEEvT_T0_DpT1_
	.p2align	8
	.type	_ZN2at6native12_GLOBAL__N_125multi_tensor_apply_kernelINS1_28TensorListScalarListMetadataIiLi4EEENS1_28PointwiseOpScalarListFunctorIiLi4ELi3ELi3EEEJSt10multipliesIiEEEEvT_T0_DpT1_,@function
_ZN2at6native12_GLOBAL__N_125multi_tensor_apply_kernelINS1_28TensorListScalarListMetadataIiLi4EEENS1_28PointwiseOpScalarListFunctorIiLi4ELi3ELi3EEEJSt10multipliesIiEEEEvT_T0_DpT1_: ; @_ZN2at6native12_GLOBAL__N_125multi_tensor_apply_kernelINS1_28TensorListScalarListMetadataIiLi4EEENS1_28PointwiseOpScalarListFunctorIiLi4ELi3ELi3EEEJSt10multipliesIiEEEEvT_T0_DpT1_
; %bb.0:
	v_mov_b32_e32 v1, s6
	global_load_ubyte v1, v1, s[4:5] offset:1584
	s_add_u32 s0, s4, s6
	s_mul_i32 s1, s6, 3
	s_addc_u32 s2, s5, 0
	s_mul_hi_u32 s3, s6, 3
	s_add_u32 s0, s0, s1
	s_addc_u32 s1, s2, s3
	s_load_dword s0, s[0:1], 0x770
	s_mov_b32 s3, 0
	s_waitcnt vmcnt(0)
	v_readfirstlane_b32 s1, v1
	s_lshl_b32 s2, s1, 3
	s_load_dwordx2 s[6:7], s[4:5], s2 offset:0x480
	s_waitcnt lgkmcnt(0)
	s_ashr_i32 s1, s0, 31
	s_load_dwordx2 s[18:19], s[4:5], s2 offset:0x0
	s_load_dwordx2 s[16:17], s[4:5], s2 offset:0x120
	;; [unrolled: 1-line block ×4, first 2 shown]
	s_add_u32 s2, s4, s2
	v_lshlrev_b32_e32 v1, 2, v1
	s_addc_u32 s8, s5, 0
	s_lshl_b64 s[20:21], s[0:1], 18
	v_mov_b32_e32 v3, s8
	v_sub_co_u32_e32 v2, vcc, s2, v1
	s_waitcnt lgkmcnt(0)
	s_add_u32 s2, s16, s20
	v_subbrev_co_u32_e32 v1, vcc, 0, v3, vcc
	s_and_b32 s22, s18, 15
	s_and_b32 s2, s2, 15
	v_readfirstlane_b32 s8, v2
	v_readfirstlane_b32 s9, v1
	s_cmp_eq_u64 s[2:3], 0
	s_load_dword s28, s[8:9], 0x5a0
	s_cselect_b64 s[8:9], -1, 0
	s_add_u32 s2, s14, s20
	s_or_b32 s2, s10, s2
	s_and_b32 s2, s2, 15
	s_cmp_eq_u32 s2, 0
	s_cselect_b64 s[12:13], -1, 0
	s_lshl_b64 s[0:1], s[0:1], 16
	s_and_b64 s[8:9], s[12:13], s[8:9]
	s_sub_u32 s12, s6, s0
	s_subb_u32 s13, s7, s1
	s_and_b32 s0, s6, 3
	s_or_b32 s2, s22, s0
	s_cmp_eq_u64 s[2:3], 0
	s_cselect_b64 s[0:1], -1, 0
	s_and_b64 s[2:3], s[8:9], s[0:1]
	s_mov_b64 s[0:1], -1
	s_and_b64 vcc, exec, s[2:3]
	s_cbranch_vccnz .LBB90_29
; %bb.1:
	v_cmp_lt_i64_e64 s[0:1], s[12:13], 1
	s_and_b64 vcc, exec, s[0:1]
	s_cbranch_vccnz .LBB90_28
; %bb.2:
	s_load_dword s0, s[4:5], 0xc84
	v_mov_b32_e32 v19, 0
	v_lshlrev_b32_e32 v18, 2, v0
	v_mov_b32_e32 v21, s19
	v_mov_b32_e32 v23, s17
	s_waitcnt lgkmcnt(0)
	s_and_b32 s6, s0, 0xffff
	v_mad_u64_u32 v[16:17], s[2:3], s6, 12, v[18:19]
	v_add_co_u32_e64 v10, s[2:3], s18, v16
	v_addc_co_u32_e64 v5, s[2:3], v21, v17, s[2:3]
	v_add_co_u32_e64 v12, s[2:3], s16, v16
	v_addc_co_u32_e64 v7, s[2:3], v23, v17, s[2:3]
	v_mov_b32_e32 v27, s15
	v_add_co_u32_e64 v14, s[2:3], s14, v16
	v_addc_co_u32_e64 v9, s[2:3], v27, v17, s[2:3]
	v_mov_b32_e32 v2, 0x10000
	v_mov_b32_e32 v31, s11
	v_add_co_u32_e64 v16, s[2:3], s10, v16
	v_mov_b32_e32 v3, 0
	s_mul_i32 s8, s6, 3
	v_addc_co_u32_e64 v11, s[2:3], v31, v17, s[2:3]
	v_cmp_lt_u64_e32 vcc, s[12:13], v[2:3]
	v_add_co_u32_e64 v33, s[2:3], s8, v0
	s_and_b64 s[0:1], vcc, exec
	v_add_co_u32_e32 v2, vcc, s18, v18
	v_addc_co_u32_e64 v35, s[2:3], 0, 0, s[2:3]
	s_cselect_b32 s23, s13, 0
	s_cselect_b32 s22, s12, 0x10000
	v_addc_co_u32_e32 v1, vcc, 0, v21, vcc
	s_lshl_b32 s2, s6, 3
	v_add_co_u32_e32 v4, vcc, s16, v18
	v_add_co_u32_e64 v19, s[2:3], s2, v18
	v_addc_co_u32_e32 v3, vcc, 0, v23, vcc
	v_addc_co_u32_e64 v25, s[2:3], 0, 0, s[2:3]
	v_add_co_u32_e32 v6, vcc, s14, v18
	v_add_co_u32_e64 v8, s[0:1], s10, v18
	v_add_co_u32_e64 v18, s[2:3], s18, v19
	v_addc_co_u32_e64 v13, s[2:3], v21, v25, s[2:3]
	v_add_co_u32_e64 v20, s[2:3], s16, v19
	v_addc_co_u32_e64 v15, s[2:3], v23, v25, s[2:3]
	;; [unrolled: 2-line block ×3, first 2 shown]
	v_add_co_u32_e64 v24, s[2:3], s10, v19
	s_lshl_b32 s7, s6, 1
	v_addc_co_u32_e64 v19, s[2:3], v31, v25, s[2:3]
	v_add_co_u32_e64 v37, s[2:3], s7, v0
	v_addc_co_u32_e64 v39, s[2:3], 0, 0, s[2:3]
	v_add_co_u32_e64 v41, s[2:3], s6, v0
	v_addc_co_u32_e64 v42, s[2:3], 0, 0, s[2:3]
	v_lshlrev_b32_e32 v29, 2, v41
	v_addc_co_u32_e32 v25, vcc, 0, v27, vcc
	v_add_co_u32_e64 v26, s[2:3], s18, v29
	v_add_co_u32_e32 v30, vcc, s14, v29
	v_addc_co_u32_e64 v21, s[2:3], 0, v21, s[2:3]
	v_addc_co_u32_e32 v27, vcc, 0, v27, vcc
	v_add_co_u32_e64 v28, s[2:3], s16, v29
	v_add_co_u32_e32 v32, vcc, s10, v29
	s_mov_b32 s29, 0
	s_lshl_b32 s30, s6, 2
	s_lshl_b32 s31, s6, 4
	s_mov_b64 s[24:25], 0
	v_addc_co_u32_e64 v23, s[2:3], 0, v23, s[2:3]
	v_addc_co_u32_e64 v29, s[0:1], 0, v31, s[0:1]
	v_addc_co_u32_e32 v31, vcc, 0, v31, vcc
	s_branch .LBB90_4
.LBB90_3:                               ;   in Loop: Header=BB90_4 Depth=1
	s_or_b64 exec, exec, s[0:1]
	s_waitcnt vmcnt(1)
	v_mov_b32_e32 v34, s29
	v_add_co_u32_e64 v2, s[2:3], s31, v2
	v_addc_co_u32_e64 v1, s[2:3], v1, v34, s[2:3]
	v_add_co_u32_e64 v4, s[2:3], s31, v4
	v_addc_co_u32_e64 v3, s[2:3], v3, v34, s[2:3]
	;; [unrolled: 2-line block ×12, first 2 shown]
	v_add_co_u32_e64 v26, s[2:3], s31, v26
	s_add_u32 s24, s24, s30
	v_addc_co_u32_e64 v21, s[2:3], v21, v34, s[2:3]
	s_addc_u32 s25, s25, 0
	s_waitcnt vmcnt(0)
	v_pk_mov_b32 v[44:45], s[12:13], s[12:13] op_sel:[0,1]
	v_add_co_u32_e64 v28, s[2:3], s31, v28
	v_cmp_lt_i64_e32 vcc, s[24:25], v[44:45]
	v_mov_b32_e32 v44, 0x10000
	v_addc_co_u32_e64 v23, s[2:3], v23, v34, s[2:3]
	v_mov_b32_e32 v45, 0
	v_add_co_u32_e64 v30, s[2:3], s31, v30
	v_cmp_lt_u64_e64 s[0:1], s[24:25], v[44:45]
	v_addc_co_u32_e64 v27, s[2:3], v27, v34, s[2:3]
	v_add_co_u32_e64 v32, s[2:3], s31, v32
	s_and_b64 s[0:1], vcc, s[0:1]
	v_addc_co_u32_e64 v31, s[2:3], v31, v34, s[2:3]
	s_and_b64 vcc, exec, s[0:1]
	s_cbranch_vccz .LBB90_28
.LBB90_4:                               ; =>This Inner Loop Header: Depth=1
	v_mov_b32_e32 v34, s25
	v_add_co_u32_e32 v44, vcc, s24, v0
	v_addc_co_u32_e32 v45, vcc, 0, v34, vcc
	v_cmp_gt_u64_e32 vcc, s[22:23], v[44:45]
	v_mov_b32_e32 v34, 0
	v_mov_b32_e32 v43, 0
	s_and_saveexec_b64 s[2:3], vcc
	s_cbranch_execz .LBB90_6
; %bb.5:                                ;   in Loop: Header=BB90_4 Depth=1
	v_mov_b32_e32 v34, s21
	v_add_co_u32_e64 v44, s[0:1], s20, v2
	v_addc_co_u32_e64 v45, s[0:1], v1, v34, s[0:1]
	v_add_co_u32_e64 v46, s[0:1], s20, v4
	v_addc_co_u32_e64 v47, s[0:1], v3, v34, s[0:1]
	global_load_dword v34, v[44:45], off
	global_load_dword v43, v[46:47], off
.LBB90_6:                               ;   in Loop: Header=BB90_4 Depth=1
	s_or_b64 exec, exec, s[2:3]
	v_mov_b32_e32 v36, 0
	v_mov_b32_e32 v44, 0
	s_and_saveexec_b64 s[2:3], vcc
	s_cbranch_execz .LBB90_8
; %bb.7:                                ;   in Loop: Header=BB90_4 Depth=1
	v_mov_b32_e32 v38, s21
	v_add_co_u32_e64 v44, s[0:1], s20, v6
	v_addc_co_u32_e64 v45, s[0:1], v25, v38, s[0:1]
	global_load_dword v44, v[44:45], off
.LBB90_8:                               ;   in Loop: Header=BB90_4 Depth=1
	s_or_b64 exec, exec, s[2:3]
	v_mov_b32_e32 v38, s25
	v_add_co_u32_e64 v46, s[0:1], s24, v41
	v_addc_co_u32_e64 v47, s[0:1], v42, v38, s[0:1]
	v_cmp_gt_u64_e64 s[0:1], s[22:23], v[46:47]
	v_mov_b32_e32 v45, 0
	s_and_saveexec_b64 s[6:7], s[0:1]
	s_cbranch_execz .LBB90_10
; %bb.9:                                ;   in Loop: Header=BB90_4 Depth=1
	v_mov_b32_e32 v36, s21
	v_add_co_u32_e64 v46, s[2:3], s20, v26
	v_addc_co_u32_e64 v47, s[2:3], v21, v36, s[2:3]
	v_add_co_u32_e64 v48, s[2:3], s20, v28
	v_addc_co_u32_e64 v49, s[2:3], v23, v36, s[2:3]
	global_load_dword v36, v[46:47], off
	global_load_dword v45, v[48:49], off
.LBB90_10:                              ;   in Loop: Header=BB90_4 Depth=1
	s_or_b64 exec, exec, s[6:7]
	v_mov_b32_e32 v38, 0
	v_mov_b32_e32 v46, 0
	s_and_saveexec_b64 s[6:7], s[0:1]
	s_cbranch_execz .LBB90_12
; %bb.11:                               ;   in Loop: Header=BB90_4 Depth=1
	v_mov_b32_e32 v40, s21
	v_add_co_u32_e64 v46, s[2:3], s20, v30
	v_addc_co_u32_e64 v47, s[2:3], v27, v40, s[2:3]
	global_load_dword v46, v[46:47], off
.LBB90_12:                              ;   in Loop: Header=BB90_4 Depth=1
	s_or_b64 exec, exec, s[6:7]
	v_mov_b32_e32 v40, s25
	v_add_co_u32_e64 v48, s[2:3], s24, v37
	v_addc_co_u32_e64 v49, s[2:3], v39, v40, s[2:3]
	v_cmp_gt_u64_e64 s[2:3], s[22:23], v[48:49]
	v_mov_b32_e32 v47, 0
	s_and_saveexec_b64 s[8:9], s[2:3]
	s_cbranch_execz .LBB90_14
; %bb.13:                               ;   in Loop: Header=BB90_4 Depth=1
	v_mov_b32_e32 v38, s21
	v_add_co_u32_e64 v48, s[6:7], s20, v18
	v_addc_co_u32_e64 v49, s[6:7], v13, v38, s[6:7]
	v_add_co_u32_e64 v50, s[6:7], s20, v20
	v_addc_co_u32_e64 v51, s[6:7], v15, v38, s[6:7]
	global_load_dword v38, v[48:49], off
	global_load_dword v47, v[50:51], off
.LBB90_14:                              ;   in Loop: Header=BB90_4 Depth=1
	s_or_b64 exec, exec, s[8:9]
	v_mov_b32_e32 v40, 0
	v_mov_b32_e32 v48, 0
	s_and_saveexec_b64 s[8:9], s[2:3]
	s_cbranch_execz .LBB90_16
; %bb.15:                               ;   in Loop: Header=BB90_4 Depth=1
	v_mov_b32_e32 v49, s21
	v_add_co_u32_e64 v48, s[6:7], s20, v22
	v_addc_co_u32_e64 v49, s[6:7], v17, v49, s[6:7]
	global_load_dword v48, v[48:49], off
.LBB90_16:                              ;   in Loop: Header=BB90_4 Depth=1
	s_or_b64 exec, exec, s[8:9]
	v_mov_b32_e32 v49, s25
	v_add_co_u32_e64 v50, s[6:7], s24, v33
	v_addc_co_u32_e64 v51, s[6:7], v35, v49, s[6:7]
	v_cmp_gt_u64_e64 s[6:7], s[22:23], v[50:51]
	v_mov_b32_e32 v49, 0
	s_and_saveexec_b64 s[26:27], s[6:7]
	s_cbranch_execnz .LBB90_22
; %bb.17:                               ;   in Loop: Header=BB90_4 Depth=1
	s_or_b64 exec, exec, s[26:27]
	v_mov_b32_e32 v50, 0
	s_and_saveexec_b64 s[26:27], s[6:7]
	s_cbranch_execnz .LBB90_23
.LBB90_18:                              ;   in Loop: Header=BB90_4 Depth=1
	s_or_b64 exec, exec, s[26:27]
	s_and_saveexec_b64 s[8:9], vcc
	s_cbranch_execnz .LBB90_24
.LBB90_19:                              ;   in Loop: Header=BB90_4 Depth=1
	s_or_b64 exec, exec, s[8:9]
	s_and_saveexec_b64 s[8:9], s[0:1]
	s_cbranch_execnz .LBB90_25
.LBB90_20:                              ;   in Loop: Header=BB90_4 Depth=1
	s_or_b64 exec, exec, s[8:9]
	s_and_saveexec_b64 s[0:1], s[2:3]
	s_cbranch_execnz .LBB90_26
.LBB90_21:                              ;   in Loop: Header=BB90_4 Depth=1
	s_or_b64 exec, exec, s[0:1]
	s_and_saveexec_b64 s[0:1], s[6:7]
	s_cbranch_execz .LBB90_3
	s_branch .LBB90_27
.LBB90_22:                              ;   in Loop: Header=BB90_4 Depth=1
	v_mov_b32_e32 v40, s21
	v_add_co_u32_e64 v50, s[8:9], s20, v10
	v_addc_co_u32_e64 v51, s[8:9], v5, v40, s[8:9]
	v_add_co_u32_e64 v52, s[8:9], s20, v12
	v_addc_co_u32_e64 v53, s[8:9], v7, v40, s[8:9]
	global_load_dword v40, v[50:51], off
	global_load_dword v49, v[52:53], off
	s_or_b64 exec, exec, s[26:27]
	v_mov_b32_e32 v50, 0
	s_and_saveexec_b64 s[26:27], s[6:7]
	s_cbranch_execz .LBB90_18
.LBB90_23:                              ;   in Loop: Header=BB90_4 Depth=1
	v_mov_b32_e32 v51, s21
	v_add_co_u32_e64 v50, s[8:9], s20, v14
	v_addc_co_u32_e64 v51, s[8:9], v9, v51, s[8:9]
	global_load_dword v50, v[50:51], off
	s_or_b64 exec, exec, s[26:27]
	s_and_saveexec_b64 s[8:9], vcc
	s_cbranch_execz .LBB90_19
.LBB90_24:                              ;   in Loop: Header=BB90_4 Depth=1
	v_mov_b32_e32 v51, s21
	v_add_co_u32_e32 v52, vcc, s20, v8
	s_waitcnt vmcnt(0)
	v_mul_lo_u32 v43, v43, s28
	v_addc_co_u32_e32 v53, vcc, v29, v51, vcc
	v_mad_u64_u32 v[54:55], s[26:27], v43, v44, v[34:35]
	global_store_dword v[52:53], v54, off
	s_or_b64 exec, exec, s[8:9]
	s_and_saveexec_b64 s[8:9], s[0:1]
	s_cbranch_execz .LBB90_20
.LBB90_25:                              ;   in Loop: Header=BB90_4 Depth=1
	s_waitcnt vmcnt(0)
	v_mul_lo_u32 v34, v45, s28
	v_mad_u64_u32 v[44:45], s[0:1], v34, v46, v[36:37]
	v_mov_b32_e32 v34, s21
	v_add_co_u32_e32 v52, vcc, s20, v32
	v_addc_co_u32_e32 v53, vcc, v31, v34, vcc
	global_store_dword v[52:53], v44, off
	s_or_b64 exec, exec, s[8:9]
	s_and_saveexec_b64 s[0:1], s[2:3]
	s_cbranch_execz .LBB90_21
.LBB90_26:                              ;   in Loop: Header=BB90_4 Depth=1
	s_waitcnt vmcnt(0)
	v_mul_lo_u32 v34, v47, s28
	v_mad_u64_u32 v[44:45], s[2:3], v34, v48, v[38:39]
	v_mov_b32_e32 v34, s21
	v_add_co_u32_e32 v46, vcc, s20, v24
	v_addc_co_u32_e32 v47, vcc, v19, v34, vcc
	global_store_dword v[46:47], v44, off
	s_or_b64 exec, exec, s[0:1]
	s_and_saveexec_b64 s[0:1], s[6:7]
	s_cbranch_execz .LBB90_3
.LBB90_27:                              ;   in Loop: Header=BB90_4 Depth=1
	s_waitcnt vmcnt(0)
	v_mul_lo_u32 v34, v49, s28
	v_mad_u64_u32 v[44:45], s[2:3], v34, v50, v[40:41]
	v_mov_b32_e32 v34, s21
	v_add_co_u32_e32 v46, vcc, s20, v16
	v_addc_co_u32_e32 v47, vcc, v11, v34, vcc
	global_store_dword v[46:47], v44, off
	s_branch .LBB90_3
.LBB90_28:
	s_mov_b64 s[0:1], 0
.LBB90_29:
	s_andn2_b64 vcc, exec, s[0:1]
	s_cbranch_vccnz .LBB90_33
; %bb.30:
	v_mov_b32_e32 v3, 0
	v_lshlrev_b32_e32 v2, 2, v0
	s_mov_b32 s0, 0
	v_cmp_gt_i64_e32 vcc, s[12:13], v[2:3]
	s_and_saveexec_b64 s[2:3], vcc
	s_cbranch_execz .LBB90_33
; %bb.31:
	s_load_dword s1, s[4:5], 0xc84
	v_lshlrev_b32_e32 v1, 4, v0
	v_mov_b32_e32 v4, s21
	s_waitcnt lgkmcnt(0)
	s_mov_b32 s8, s28
	s_mov_b64 s[4:5], 0
	s_and_b32 s1, s1, 0xffff
	s_lshl_b32 s9, s1, 2
	s_add_u32 s18, s18, 8
	s_addc_u32 s2, s19, 0
	s_lshl_b32 s19, s1, 4
	s_add_u32 s16, s16, 8
	s_addc_u32 s3, s17, 0
	s_add_u32 s14, s14, 8
	v_add_lshl_u32 v2, v0, s1, 2
	v_add_co_u32_e32 v0, vcc, s20, v1
	s_addc_u32 s6, s15, 0
	v_addc_co_u32_e32 v1, vcc, 0, v4, vcc
	v_mov_b32_e32 v4, s2
	v_mov_b32_e32 v5, s3
	;; [unrolled: 1-line block ×4, first 2 shown]
	s_mov_b64 s[6:7], 0xffff
	v_mov_b32_e32 v8, s0
	v_mov_b32_e32 v9, s0
.LBB90_32:                              ; =>This Inner Loop Header: Depth=1
	v_add_co_u32_e32 v22, vcc, s18, v0
	v_addc_co_u32_e32 v23, vcc, v4, v1, vcc
	v_add_co_u32_e32 v24, vcc, s16, v0
	v_addc_co_u32_e32 v25, vcc, v5, v1, vcc
	v_add_co_u32_e32 v26, vcc, s14, v0
	v_addc_co_u32_e32 v27, vcc, v6, v1, vcc
	global_load_dwordx4 v[10:13], v[24:25], off offset:-8
	global_load_dwordx4 v[14:17], v[22:23], off offset:-8
	;; [unrolled: 1-line block ×3, first 2 shown]
	v_add_co_u32_e32 v22, vcc, s10, v0
	v_addc_co_u32_e32 v23, vcc, v7, v1, vcc
	v_cmp_le_i64_e32 vcc, s[12:13], v[2:3]
	v_cmp_lt_u64_e64 s[0:1], s[6:7], v[2:3]
	v_add_co_u32_e64 v2, s[2:3], s9, v2
	s_or_b64 s[0:1], vcc, s[0:1]
	v_addc_co_u32_e64 v3, s[2:3], v3, v8, s[2:3]
	s_and_b64 s[0:1], exec, s[0:1]
	v_add_co_u32_e64 v0, s[2:3], s19, v0
	s_or_b64 s[4:5], s[0:1], s[4:5]
	v_addc_co_u32_e64 v1, s[2:3], v1, v9, s[2:3]
	s_waitcnt vmcnt(2)
	v_mul_lo_u32 v26, v10, s28
	v_mul_lo_u32 v11, v11, s8
	s_waitcnt vmcnt(1)
	v_mov_b32_e32 v10, v15
	v_mul_lo_u32 v27, v12, s28
	v_mul_lo_u32 v13, v13, s8
	v_mov_b32_e32 v12, v17
	s_waitcnt vmcnt(0)
	v_mad_u64_u32 v[24:25], s[0:1], v11, v19, v[10:11]
	v_mad_u64_u32 v[10:11], s[0:1], v26, v18, v[14:15]
	;; [unrolled: 1-line block ×4, first 2 shown]
	v_mov_b32_e32 v11, v24
	v_mov_b32_e32 v13, v14
	global_store_dwordx4 v[22:23], v[10:13], off
	s_andn2_b64 exec, exec, s[4:5]
	s_cbranch_execnz .LBB90_32
.LBB90_33:
	s_endpgm
	.section	.rodata,"a",@progbits
	.p2align	6, 0x0
	.amdhsa_kernel _ZN2at6native12_GLOBAL__N_125multi_tensor_apply_kernelINS1_28TensorListScalarListMetadataIiLi4EEENS1_28PointwiseOpScalarListFunctorIiLi4ELi3ELi3EEEJSt10multipliesIiEEEEvT_T0_DpT1_
		.amdhsa_group_segment_fixed_size 0
		.amdhsa_private_segment_fixed_size 0
		.amdhsa_kernarg_size 3448
		.amdhsa_user_sgpr_count 6
		.amdhsa_user_sgpr_private_segment_buffer 1
		.amdhsa_user_sgpr_dispatch_ptr 0
		.amdhsa_user_sgpr_queue_ptr 0
		.amdhsa_user_sgpr_kernarg_segment_ptr 1
		.amdhsa_user_sgpr_dispatch_id 0
		.amdhsa_user_sgpr_flat_scratch_init 0
		.amdhsa_user_sgpr_kernarg_preload_length 0
		.amdhsa_user_sgpr_kernarg_preload_offset 0
		.amdhsa_user_sgpr_private_segment_size 0
		.amdhsa_uses_dynamic_stack 0
		.amdhsa_system_sgpr_private_segment_wavefront_offset 0
		.amdhsa_system_sgpr_workgroup_id_x 1
		.amdhsa_system_sgpr_workgroup_id_y 0
		.amdhsa_system_sgpr_workgroup_id_z 0
		.amdhsa_system_sgpr_workgroup_info 0
		.amdhsa_system_vgpr_workitem_id 0
		.amdhsa_next_free_vgpr 56
		.amdhsa_next_free_sgpr 32
		.amdhsa_accum_offset 56
		.amdhsa_reserve_vcc 1
		.amdhsa_reserve_flat_scratch 0
		.amdhsa_float_round_mode_32 0
		.amdhsa_float_round_mode_16_64 0
		.amdhsa_float_denorm_mode_32 3
		.amdhsa_float_denorm_mode_16_64 3
		.amdhsa_dx10_clamp 1
		.amdhsa_ieee_mode 1
		.amdhsa_fp16_overflow 0
		.amdhsa_tg_split 0
		.amdhsa_exception_fp_ieee_invalid_op 0
		.amdhsa_exception_fp_denorm_src 0
		.amdhsa_exception_fp_ieee_div_zero 0
		.amdhsa_exception_fp_ieee_overflow 0
		.amdhsa_exception_fp_ieee_underflow 0
		.amdhsa_exception_fp_ieee_inexact 0
		.amdhsa_exception_int_div_zero 0
	.end_amdhsa_kernel
	.section	.text._ZN2at6native12_GLOBAL__N_125multi_tensor_apply_kernelINS1_28TensorListScalarListMetadataIiLi4EEENS1_28PointwiseOpScalarListFunctorIiLi4ELi3ELi3EEEJSt10multipliesIiEEEEvT_T0_DpT1_,"axG",@progbits,_ZN2at6native12_GLOBAL__N_125multi_tensor_apply_kernelINS1_28TensorListScalarListMetadataIiLi4EEENS1_28PointwiseOpScalarListFunctorIiLi4ELi3ELi3EEEJSt10multipliesIiEEEEvT_T0_DpT1_,comdat
.Lfunc_end90:
	.size	_ZN2at6native12_GLOBAL__N_125multi_tensor_apply_kernelINS1_28TensorListScalarListMetadataIiLi4EEENS1_28PointwiseOpScalarListFunctorIiLi4ELi3ELi3EEEJSt10multipliesIiEEEEvT_T0_DpT1_, .Lfunc_end90-_ZN2at6native12_GLOBAL__N_125multi_tensor_apply_kernelINS1_28TensorListScalarListMetadataIiLi4EEENS1_28PointwiseOpScalarListFunctorIiLi4ELi3ELi3EEEJSt10multipliesIiEEEEvT_T0_DpT1_
                                        ; -- End function
	.section	.AMDGPU.csdata,"",@progbits
; Kernel info:
; codeLenInByte = 2200
; NumSgprs: 36
; NumVgprs: 56
; NumAgprs: 0
; TotalNumVgprs: 56
; ScratchSize: 0
; MemoryBound: 0
; FloatMode: 240
; IeeeMode: 1
; LDSByteSize: 0 bytes/workgroup (compile time only)
; SGPRBlocks: 4
; VGPRBlocks: 6
; NumSGPRsForWavesPerEU: 36
; NumVGPRsForWavesPerEU: 56
; AccumOffset: 56
; Occupancy: 8
; WaveLimiterHint : 0
; COMPUTE_PGM_RSRC2:SCRATCH_EN: 0
; COMPUTE_PGM_RSRC2:USER_SGPR: 6
; COMPUTE_PGM_RSRC2:TRAP_HANDLER: 0
; COMPUTE_PGM_RSRC2:TGID_X_EN: 1
; COMPUTE_PGM_RSRC2:TGID_Y_EN: 0
; COMPUTE_PGM_RSRC2:TGID_Z_EN: 0
; COMPUTE_PGM_RSRC2:TIDIG_COMP_CNT: 0
; COMPUTE_PGM_RSRC3_GFX90A:ACCUM_OFFSET: 13
; COMPUTE_PGM_RSRC3_GFX90A:TG_SPLIT: 0
	.section	.text._ZN2at6native12_GLOBAL__N_125multi_tensor_apply_kernelINS1_28TensorListScalarListMetadataIlLi4EEENS1_28PointwiseOpScalarListFunctorIlLi4ELi3ELi3EEEJSt10multipliesIlEEEEvT_T0_DpT1_,"axG",@progbits,_ZN2at6native12_GLOBAL__N_125multi_tensor_apply_kernelINS1_28TensorListScalarListMetadataIlLi4EEENS1_28PointwiseOpScalarListFunctorIlLi4ELi3ELi3EEEJSt10multipliesIlEEEEvT_T0_DpT1_,comdat
	.globl	_ZN2at6native12_GLOBAL__N_125multi_tensor_apply_kernelINS1_28TensorListScalarListMetadataIlLi4EEENS1_28PointwiseOpScalarListFunctorIlLi4ELi3ELi3EEEJSt10multipliesIlEEEEvT_T0_DpT1_ ; -- Begin function _ZN2at6native12_GLOBAL__N_125multi_tensor_apply_kernelINS1_28TensorListScalarListMetadataIlLi4EEENS1_28PointwiseOpScalarListFunctorIlLi4ELi3ELi3EEEJSt10multipliesIlEEEEvT_T0_DpT1_
	.p2align	8
	.type	_ZN2at6native12_GLOBAL__N_125multi_tensor_apply_kernelINS1_28TensorListScalarListMetadataIlLi4EEENS1_28PointwiseOpScalarListFunctorIlLi4ELi3ELi3EEEJSt10multipliesIlEEEEvT_T0_DpT1_,@function
_ZN2at6native12_GLOBAL__N_125multi_tensor_apply_kernelINS1_28TensorListScalarListMetadataIlLi4EEENS1_28PointwiseOpScalarListFunctorIlLi4ELi3ELi3EEEJSt10multipliesIlEEEEvT_T0_DpT1_: ; @_ZN2at6native12_GLOBAL__N_125multi_tensor_apply_kernelINS1_28TensorListScalarListMetadataIlLi4EEENS1_28PointwiseOpScalarListFunctorIlLi4ELi3ELi3EEEJSt10multipliesIlEEEEvT_T0_DpT1_
; %bb.0:
	v_mov_b32_e32 v1, s6
	global_load_ubyte v1, v1, s[4:5] offset:1728
	s_add_u32 s0, s4, s6
	s_mul_hi_u32 s1, s6, 3
	s_mul_i32 s6, s6, 3
	s_addc_u32 s2, s5, 0
	s_add_u32 s0, s0, s6
	s_addc_u32 s1, s2, s1
	s_load_dword s20, s[0:1], 0x800
	s_mov_b32 s17, 0
	s_mov_b32 s13, s17
	;; [unrolled: 1-line block ×3, first 2 shown]
	s_waitcnt lgkmcnt(0)
	s_ashr_i32 s21, s20, 31
	s_lshl_b64 s[14:15], s[20:21], 19
	s_waitcnt vmcnt(0)
	v_readfirstlane_b32 s0, v1
	s_lshl_b32 s12, s0, 3
	s_load_dwordx2 s[30:31], s[4:5], s12 offset:0x480
	s_load_dwordx2 s[10:11], s[4:5], s12 offset:0x5a0
	;; [unrolled: 1-line block ×6, first 2 shown]
	s_waitcnt lgkmcnt(0)
	s_add_u32 s22, s8, s14
	s_addc_u32 s23, s9, s15
	s_and_b32 s16, s22, 31
	s_add_u32 s24, s6, s14
	s_addc_u32 s25, s7, s15
	s_and_b32 s12, s24, 31
	s_cmp_eq_u64 s[12:13], 0
	s_cselect_b64 s[12:13], -1, 0
	s_add_u32 s26, s2, s14
	s_addc_u32 s27, s3, s15
	s_add_u32 s28, s0, s14
	s_addc_u32 s29, s1, s15
	s_or_b32 s18, s28, s26
	s_and_b32 s18, s18, 31
	s_cmp_eq_u32 s18, 0
	s_cselect_b64 s[34:35], -1, 0
	s_lshl_b64 s[20:21], s[20:21], 16
	s_and_b64 s[34:35], s[34:35], s[12:13]
	s_sub_u32 s12, s30, s20
	s_subb_u32 s13, s31, s21
	s_and_b32 s18, s30, 3
	s_or_b64 s[16:17], s[16:17], s[18:19]
	s_cmp_eq_u64 s[16:17], 0
	s_cselect_b64 s[16:17], -1, 0
	s_and_b64 s[18:19], s[34:35], s[16:17]
	s_mov_b64 s[16:17], -1
	s_and_b64 vcc, exec, s[18:19]
	s_cbranch_vccnz .LBB91_29
; %bb.1:
	v_cmp_lt_i64_e64 s[16:17], s[12:13], 1
	s_and_b64 vcc, exec, s[16:17]
	s_cbranch_vccnz .LBB91_28
; %bb.2:
	s_load_dword s16, s[4:5], 0xd14
	v_mov_b32_e32 v2, 0x10000
	v_mov_b32_e32 v3, 0
	v_cmp_lt_u64_e32 vcc, s[12:13], v[2:3]
	v_lshlrev_b32_e32 v30, 3, v0
	s_waitcnt lgkmcnt(0)
	s_and_b32 s20, s16, 0xffff
	s_and_b64 s[16:17], vcc, exec
	v_mov_b32_e32 v21, s9
	v_add_co_u32_e32 v2, vcc, s8, v30
	v_addc_co_u32_e32 v1, vcc, 0, v21, vcc
	v_mov_b32_e32 v31, 0
	v_mov_b32_e32 v23, s7
	v_add_co_u32_e32 v4, vcc, s6, v30
	v_addc_co_u32_e32 v3, vcc, 0, v23, vcc
	v_mad_u64_u32 v[12:13], s[18:19], s20, 24, v[30:31]
	v_add_co_u32_e32 v6, vcc, s8, v12
	v_addc_co_u32_e32 v5, vcc, v21, v13, vcc
	v_add_co_u32_e32 v8, vcc, s6, v12
	v_addc_co_u32_e32 v7, vcc, v23, v13, vcc
	v_mov_b32_e32 v27, s3
	v_add_co_u32_e32 v10, vcc, s2, v12
	v_addc_co_u32_e32 v9, vcc, v27, v13, vcc
	v_mov_b32_e32 v34, s1
	v_add_co_u32_e32 v12, vcc, s0, v12
	s_mul_i32 s34, s20, 3
	v_addc_co_u32_e32 v11, vcc, v34, v13, vcc
	s_cselect_b32 s17, s13, 0
	s_cselect_b32 s16, s12, 0x10000
	v_add_co_u32_e32 v33, vcc, s34, v0
	s_lshl_b32 s1, s20, 4
	v_addc_co_u32_e64 v58, s[18:19], 0, 0, vcc
	v_add_co_u32_e32 v19, vcc, s1, v30
	v_addc_co_u32_e64 v22, s[18:19], 0, 0, vcc
	v_add_co_u32_e32 v14, vcc, s8, v19
	v_addc_co_u32_e32 v13, vcc, v21, v22, vcc
	v_add_co_u32_e32 v16, vcc, s6, v19
	v_addc_co_u32_e32 v15, vcc, v23, v22, vcc
	;; [unrolled: 2-line block ×3, first 2 shown]
	v_add_co_u32_e32 v20, vcc, s0, v19
	s_lshl_b32 s21, s20, 1
	v_addc_co_u32_e32 v19, vcc, v34, v22, vcc
	v_add_co_u32_e32 v59, vcc, s21, v0
	v_addc_co_u32_e64 v60, s[18:19], 0, 0, vcc
	v_add_co_u32_e32 v61, vcc, s20, v0
	v_lshlrev_b32_e32 v29, 3, v61
	v_addc_co_u32_e64 v62, s[18:19], 0, 0, vcc
	v_add_co_u32_e32 v22, vcc, s8, v29
	v_addc_co_u32_e32 v21, vcc, 0, v21, vcc
	v_add_co_u32_e32 v24, vcc, s6, v29
	v_addc_co_u32_e32 v23, vcc, 0, v23, vcc
	;; [unrolled: 2-line block ×4, first 2 shown]
	v_add_co_u32_e32 v30, vcc, s0, v30
	v_add_co_u32_e64 v32, s[0:1], s0, v29
	s_mov_b32 s30, 0
	s_lshl_b32 s31, s20, 2
	s_lshl_b32 s33, s20, 5
	s_mov_b64 s[18:19], 0
	v_addc_co_u32_e32 v29, vcc, 0, v34, vcc
	v_addc_co_u32_e64 v31, vcc, 0, v34, s[0:1]
	s_branch .LBB91_4
.LBB91_3:                               ;   in Loop: Header=BB91_4 Depth=1
	s_or_b64 exec, exec, s[0:1]
	s_add_u32 s18, s18, s31
	s_addc_u32 s19, s19, 0
	s_waitcnt vmcnt(0)
	v_pk_mov_b32 v[34:35], s[12:13], s[12:13] op_sel:[0,1]
	v_cmp_lt_i64_e32 vcc, s[18:19], v[34:35]
	v_mov_b32_e32 v34, 0x10000
	v_mov_b32_e32 v35, 0
	v_cmp_lt_u64_e64 s[0:1], s[18:19], v[34:35]
	s_and_b64 s[0:1], vcc, s[0:1]
	v_mov_b32_e32 v34, s30
	v_add_co_u32_e32 v2, vcc, s33, v2
	v_addc_co_u32_e32 v1, vcc, v1, v34, vcc
	v_add_co_u32_e32 v4, vcc, s33, v4
	v_addc_co_u32_e32 v3, vcc, v3, v34, vcc
	;; [unrolled: 2-line block ×16, first 2 shown]
	s_and_b64 vcc, exec, s[0:1]
	s_cbranch_vccz .LBB91_28
.LBB91_4:                               ; =>This Inner Loop Header: Depth=1
	v_mov_b32_e32 v35, s19
	v_add_co_u32_e32 v34, vcc, s18, v0
	v_addc_co_u32_e32 v35, vcc, 0, v35, vcc
	v_cmp_gt_u64_e32 vcc, s[16:17], v[34:35]
	v_pk_mov_b32 v[34:35], 0, 0
	v_pk_mov_b32 v[36:37], v[34:35], v[34:35] op_sel:[0,1]
	v_pk_mov_b32 v[38:39], v[34:35], v[34:35] op_sel:[0,1]
	s_and_saveexec_b64 s[2:3], vcc
	s_cbranch_execz .LBB91_6
; %bb.5:                                ;   in Loop: Header=BB91_4 Depth=1
	v_mov_b32_e32 v36, s15
	v_add_co_u32_e64 v40, s[0:1], s14, v2
	v_addc_co_u32_e64 v41, s[0:1], v1, v36, s[0:1]
	v_add_co_u32_e64 v42, s[0:1], s14, v4
	v_addc_co_u32_e64 v43, s[0:1], v3, v36, s[0:1]
	global_load_dwordx2 v[36:37], v[40:41], off
	global_load_dwordx2 v[38:39], v[42:43], off
.LBB91_6:                               ;   in Loop: Header=BB91_4 Depth=1
	s_or_b64 exec, exec, s[2:3]
	s_and_saveexec_b64 s[2:3], vcc
	s_cbranch_execz .LBB91_8
; %bb.7:                                ;   in Loop: Header=BB91_4 Depth=1
	v_mov_b32_e32 v35, s15
	v_add_co_u32_e64 v34, s[0:1], s14, v26
	v_addc_co_u32_e64 v35, s[0:1], v25, v35, s[0:1]
	global_load_dwordx2 v[34:35], v[34:35], off
.LBB91_8:                               ;   in Loop: Header=BB91_4 Depth=1
	s_or_b64 exec, exec, s[2:3]
	v_mov_b32_e32 v41, s19
	v_add_co_u32_e64 v40, s[0:1], s18, v61
	v_addc_co_u32_e64 v41, s[0:1], v62, v41, s[0:1]
	v_cmp_gt_u64_e64 s[0:1], s[16:17], v[40:41]
	v_pk_mov_b32 v[40:41], 0, 0
	v_pk_mov_b32 v[42:43], v[40:41], v[40:41] op_sel:[0,1]
	v_pk_mov_b32 v[44:45], v[40:41], v[40:41] op_sel:[0,1]
	s_and_saveexec_b64 s[6:7], s[0:1]
	s_cbranch_execz .LBB91_10
; %bb.9:                                ;   in Loop: Header=BB91_4 Depth=1
	v_mov_b32_e32 v42, s15
	v_add_co_u32_e64 v46, s[2:3], s14, v22
	v_addc_co_u32_e64 v47, s[2:3], v21, v42, s[2:3]
	v_add_co_u32_e64 v48, s[2:3], s14, v24
	v_addc_co_u32_e64 v49, s[2:3], v23, v42, s[2:3]
	global_load_dwordx2 v[42:43], v[46:47], off
	global_load_dwordx2 v[44:45], v[48:49], off
.LBB91_10:                              ;   in Loop: Header=BB91_4 Depth=1
	s_or_b64 exec, exec, s[6:7]
	s_and_saveexec_b64 s[6:7], s[0:1]
	s_cbranch_execz .LBB91_12
; %bb.11:                               ;   in Loop: Header=BB91_4 Depth=1
	v_mov_b32_e32 v41, s15
	v_add_co_u32_e64 v40, s[2:3], s14, v28
	v_addc_co_u32_e64 v41, s[2:3], v27, v41, s[2:3]
	global_load_dwordx2 v[40:41], v[40:41], off
.LBB91_12:                              ;   in Loop: Header=BB91_4 Depth=1
	s_or_b64 exec, exec, s[6:7]
	v_mov_b32_e32 v47, s19
	v_add_co_u32_e64 v46, s[2:3], s18, v59
	v_addc_co_u32_e64 v47, s[2:3], v60, v47, s[2:3]
	v_cmp_gt_u64_e64 s[2:3], s[16:17], v[46:47]
	v_pk_mov_b32 v[46:47], 0, 0
	v_pk_mov_b32 v[48:49], v[46:47], v[46:47] op_sel:[0,1]
	v_pk_mov_b32 v[50:51], v[46:47], v[46:47] op_sel:[0,1]
	s_and_saveexec_b64 s[8:9], s[2:3]
	s_cbranch_execz .LBB91_14
; %bb.13:                               ;   in Loop: Header=BB91_4 Depth=1
	v_mov_b32_e32 v48, s15
	v_add_co_u32_e64 v52, s[6:7], s14, v14
	v_addc_co_u32_e64 v53, s[6:7], v13, v48, s[6:7]
	v_add_co_u32_e64 v54, s[6:7], s14, v16
	v_addc_co_u32_e64 v55, s[6:7], v15, v48, s[6:7]
	global_load_dwordx2 v[48:49], v[52:53], off
	global_load_dwordx2 v[50:51], v[54:55], off
.LBB91_14:                              ;   in Loop: Header=BB91_4 Depth=1
	s_or_b64 exec, exec, s[8:9]
	s_and_saveexec_b64 s[8:9], s[2:3]
	s_cbranch_execz .LBB91_16
; %bb.15:                               ;   in Loop: Header=BB91_4 Depth=1
	v_mov_b32_e32 v47, s15
	v_add_co_u32_e64 v46, s[6:7], s14, v18
	v_addc_co_u32_e64 v47, s[6:7], v17, v47, s[6:7]
	global_load_dwordx2 v[46:47], v[46:47], off
.LBB91_16:                              ;   in Loop: Header=BB91_4 Depth=1
	s_or_b64 exec, exec, s[8:9]
	v_mov_b32_e32 v53, s19
	v_add_co_u32_e64 v52, s[6:7], s18, v33
	v_addc_co_u32_e64 v53, s[6:7], v58, v53, s[6:7]
	v_cmp_gt_u64_e64 s[6:7], s[16:17], v[52:53]
	v_pk_mov_b32 v[52:53], 0, 0
	v_pk_mov_b32 v[54:55], v[52:53], v[52:53] op_sel:[0,1]
	v_pk_mov_b32 v[56:57], v[52:53], v[52:53] op_sel:[0,1]
	s_and_saveexec_b64 s[20:21], s[6:7]
	s_cbranch_execnz .LBB91_22
; %bb.17:                               ;   in Loop: Header=BB91_4 Depth=1
	s_or_b64 exec, exec, s[20:21]
	s_and_saveexec_b64 s[20:21], s[6:7]
	s_cbranch_execnz .LBB91_23
.LBB91_18:                              ;   in Loop: Header=BB91_4 Depth=1
	s_or_b64 exec, exec, s[20:21]
	s_and_saveexec_b64 s[8:9], vcc
	s_cbranch_execnz .LBB91_24
.LBB91_19:                              ;   in Loop: Header=BB91_4 Depth=1
	s_or_b64 exec, exec, s[8:9]
	s_and_saveexec_b64 s[8:9], s[0:1]
	s_cbranch_execnz .LBB91_25
.LBB91_20:                              ;   in Loop: Header=BB91_4 Depth=1
	s_or_b64 exec, exec, s[8:9]
	s_and_saveexec_b64 s[0:1], s[2:3]
	s_cbranch_execnz .LBB91_26
.LBB91_21:                              ;   in Loop: Header=BB91_4 Depth=1
	s_or_b64 exec, exec, s[0:1]
	s_and_saveexec_b64 s[0:1], s[6:7]
	s_cbranch_execz .LBB91_3
	s_branch .LBB91_27
.LBB91_22:                              ;   in Loop: Header=BB91_4 Depth=1
	v_mov_b32_e32 v54, s15
	v_add_co_u32_e64 v64, s[8:9], s14, v6
	v_addc_co_u32_e64 v65, s[8:9], v5, v54, s[8:9]
	v_add_co_u32_e64 v66, s[8:9], s14, v8
	v_addc_co_u32_e64 v67, s[8:9], v7, v54, s[8:9]
	global_load_dwordx2 v[54:55], v[64:65], off
	global_load_dwordx2 v[56:57], v[66:67], off
	s_or_b64 exec, exec, s[20:21]
	s_and_saveexec_b64 s[20:21], s[6:7]
	s_cbranch_execz .LBB91_18
.LBB91_23:                              ;   in Loop: Header=BB91_4 Depth=1
	v_mov_b32_e32 v53, s15
	v_add_co_u32_e64 v52, s[8:9], s14, v10
	v_addc_co_u32_e64 v53, s[8:9], v9, v53, s[8:9]
	global_load_dwordx2 v[52:53], v[52:53], off
	s_or_b64 exec, exec, s[20:21]
	s_and_saveexec_b64 s[8:9], vcc
	s_cbranch_execz .LBB91_19
.LBB91_24:                              ;   in Loop: Header=BB91_4 Depth=1
	v_mov_b32_e32 v63, s15
	v_add_co_u32_e32 v64, vcc, s14, v30
	v_addc_co_u32_e32 v65, vcc, v29, v63, vcc
	s_waitcnt vmcnt(0)
	v_mul_lo_u32 v63, v39, s10
	v_mul_lo_u32 v66, v38, s11
	v_mad_u64_u32 v[38:39], s[20:21], v38, s10, 0
	v_add3_u32 v39, v39, v66, v63
	v_mul_lo_u32 v39, v39, v34
	v_mul_lo_u32 v63, v38, v35
	v_mad_u64_u32 v[34:35], s[20:21], v38, v34, v[36:37]
	v_add3_u32 v35, v39, v35, v63
	global_store_dwordx2 v[64:65], v[34:35], off
	s_or_b64 exec, exec, s[8:9]
	s_and_saveexec_b64 s[8:9], s[0:1]
	s_cbranch_execz .LBB91_20
.LBB91_25:                              ;   in Loop: Header=BB91_4 Depth=1
	s_waitcnt vmcnt(0)
	v_mul_lo_u32 v36, v45, s10
	v_mul_lo_u32 v37, v44, s11
	v_mad_u64_u32 v[34:35], s[0:1], v44, s10, 0
	v_add3_u32 v35, v35, v37, v36
	v_mul_lo_u32 v36, v35, v40
	v_mul_lo_u32 v37, v34, v41
	v_mad_u64_u32 v[34:35], s[0:1], v34, v40, v[42:43]
	v_add3_u32 v35, v36, v35, v37
	v_mov_b32_e32 v37, s15
	v_add_co_u32_e32 v36, vcc, s14, v32
	v_addc_co_u32_e32 v37, vcc, v31, v37, vcc
	global_store_dwordx2 v[36:37], v[34:35], off
	s_or_b64 exec, exec, s[8:9]
	s_and_saveexec_b64 s[0:1], s[2:3]
	s_cbranch_execz .LBB91_21
.LBB91_26:                              ;   in Loop: Header=BB91_4 Depth=1
	s_waitcnt vmcnt(0)
	v_mul_lo_u32 v36, v51, s10
	v_mul_lo_u32 v37, v50, s11
	v_mad_u64_u32 v[34:35], s[2:3], v50, s10, 0
	v_add3_u32 v35, v35, v37, v36
	v_mul_lo_u32 v36, v35, v46
	v_mul_lo_u32 v37, v34, v47
	v_mad_u64_u32 v[34:35], s[2:3], v34, v46, v[48:49]
	v_add3_u32 v35, v36, v35, v37
	v_mov_b32_e32 v37, s15
	v_add_co_u32_e32 v36, vcc, s14, v20
	v_addc_co_u32_e32 v37, vcc, v19, v37, vcc
	global_store_dwordx2 v[36:37], v[34:35], off
	s_or_b64 exec, exec, s[0:1]
	s_and_saveexec_b64 s[0:1], s[6:7]
	s_cbranch_execz .LBB91_3
.LBB91_27:                              ;   in Loop: Header=BB91_4 Depth=1
	s_waitcnt vmcnt(0)
	v_mul_lo_u32 v36, v57, s10
	v_mul_lo_u32 v37, v56, s11
	v_mad_u64_u32 v[34:35], s[2:3], v56, s10, 0
	v_add3_u32 v35, v35, v37, v36
	v_mul_lo_u32 v36, v35, v52
	v_mul_lo_u32 v37, v34, v53
	v_mad_u64_u32 v[34:35], s[2:3], v34, v52, v[54:55]
	v_add3_u32 v35, v36, v35, v37
	v_mov_b32_e32 v37, s15
	v_add_co_u32_e32 v36, vcc, s14, v12
	v_addc_co_u32_e32 v37, vcc, v11, v37, vcc
	global_store_dwordx2 v[36:37], v[34:35], off
	s_branch .LBB91_3
.LBB91_28:
	s_mov_b64 s[16:17], 0
.LBB91_29:
	s_andn2_b64 vcc, exec, s[16:17]
	s_cbranch_vccnz .LBB91_33
; %bb.30:
	v_mov_b32_e32 v3, 0
	v_lshlrev_b32_e32 v2, 2, v0
	s_mov_b32 s0, 0
	v_cmp_gt_i64_e32 vcc, s[12:13], v[2:3]
	s_and_saveexec_b64 s[2:3], vcc
	s_cbranch_execz .LBB91_33
; %bb.31:
	s_load_dword s1, s[4:5], 0xd14
	v_lshlrev_b32_e32 v4, 5, v0
	s_mov_b64 s[4:5], 0
	s_mov_b64 s[6:7], 0xffff
	s_waitcnt lgkmcnt(0)
	s_and_b32 s1, s1, 0xffff
	v_add_lshl_u32 v2, v0, s1, 2
	s_lshl_b32 s8, s1, 2
	s_lshl_b32 s9, s1, 5
	v_mov_b32_e32 v0, s0
.LBB91_32:                              ; =>This Inner Loop Header: Depth=1
	v_mov_b32_e32 v5, s25
	v_add_co_u32_e32 v30, vcc, s24, v4
	v_mov_b32_e32 v1, s23
	v_mov_b32_e32 v6, s27
	v_add_co_u32_e64 v32, s[0:1], s26, v4
	v_add_co_u32_e64 v34, s[2:3], s22, v4
	v_addc_co_u32_e32 v31, vcc, 0, v5, vcc
	v_addc_co_u32_e64 v35, s[2:3], 0, v1, s[2:3]
	v_addc_co_u32_e64 v33, vcc, 0, v6, s[0:1]
	global_load_dwordx4 v[6:9], v[30:31], off
	global_load_dwordx4 v[10:13], v[30:31], off offset:16
	global_load_dwordx4 v[14:17], v[32:33], off
	global_load_dwordx4 v[18:21], v[34:35], off
	global_load_dwordx4 v[22:25], v[32:33], off offset:16
	global_load_dwordx4 v[26:29], v[34:35], off offset:16
	v_cmp_le_i64_e32 vcc, s[12:13], v[2:3]
	v_cmp_lt_u64_e64 s[0:1], s[6:7], v[2:3]
	s_or_b64 s[0:1], vcc, s[0:1]
	v_add_co_u32_e64 v2, s[2:3], s8, v2
	s_add_u32 s22, s22, s9
	v_addc_co_u32_e64 v3, s[2:3], v3, v0, s[2:3]
	s_addc_u32 s23, s23, 0
	v_add_co_u32_e64 v30, s[2:3], s28, v4
	s_add_u32 s28, s28, s9
	v_mov_b32_e32 v1, s29
	s_addc_u32 s29, s29, 0
	s_add_u32 s24, s24, s9
	s_addc_u32 s25, s25, 0
	s_add_u32 s26, s26, s9
	s_addc_u32 s27, s27, 0
	s_and_b64 s[0:1], exec, s[0:1]
	v_addc_co_u32_e64 v31, s[2:3], 0, v1, s[2:3]
	s_or_b64 s[4:5], s[0:1], s[4:5]
	s_waitcnt vmcnt(5)
	v_mul_lo_u32 v1, v7, s10
	v_mul_lo_u32 v5, v6, s11
	v_mad_u64_u32 v[6:7], s[0:1], v6, s10, 0
	v_mul_lo_u32 v32, v9, s10
	v_mul_lo_u32 v33, v8, s11
	v_mad_u64_u32 v[8:9], s[0:1], v8, s10, 0
	s_waitcnt vmcnt(4)
	v_mul_lo_u32 v34, v11, s10
	v_mul_lo_u32 v35, v10, s11
	v_mad_u64_u32 v[10:11], s[0:1], v10, s10, 0
	v_mul_lo_u32 v36, v13, s10
	v_mul_lo_u32 v37, v12, s11
	v_mad_u64_u32 v[12:13], s[0:1], v12, s10, 0
	v_add3_u32 v1, v7, v5, v1
	s_waitcnt vmcnt(3)
	v_mul_lo_u32 v5, v6, v15
	v_add3_u32 v15, v9, v33, v32
	s_waitcnt vmcnt(2)
	v_mad_u64_u32 v[6:7], s[0:1], v6, v14, v[18:19]
	v_mul_lo_u32 v17, v8, v17
	v_mad_u64_u32 v[8:9], s[0:1], v8, v16, v[20:21]
	v_add3_u32 v18, v11, v35, v34
	v_add3_u32 v20, v13, v37, v36
	v_mul_lo_u32 v1, v1, v14
	v_mul_lo_u32 v14, v15, v16
	s_waitcnt vmcnt(1)
	v_mul_lo_u32 v19, v10, v23
	s_waitcnt vmcnt(0)
	v_mad_u64_u32 v[10:11], s[0:1], v10, v22, v[26:27]
	v_mul_lo_u32 v21, v12, v25
	v_mad_u64_u32 v[12:13], s[0:1], v12, v24, v[28:29]
	v_mul_lo_u32 v15, v18, v22
	v_mul_lo_u32 v16, v20, v24
	v_add3_u32 v7, v1, v7, v5
	v_add3_u32 v9, v14, v9, v17
	;; [unrolled: 1-line block ×4, first 2 shown]
	global_store_dwordx4 v[30:31], v[6:9], off
	global_store_dwordx4 v[30:31], v[10:13], off offset:16
	s_andn2_b64 exec, exec, s[4:5]
	s_cbranch_execnz .LBB91_32
.LBB91_33:
	s_endpgm
	.section	.rodata,"a",@progbits
	.p2align	6, 0x0
	.amdhsa_kernel _ZN2at6native12_GLOBAL__N_125multi_tensor_apply_kernelINS1_28TensorListScalarListMetadataIlLi4EEENS1_28PointwiseOpScalarListFunctorIlLi4ELi3ELi3EEEJSt10multipliesIlEEEEvT_T0_DpT1_
		.amdhsa_group_segment_fixed_size 0
		.amdhsa_private_segment_fixed_size 0
		.amdhsa_kernarg_size 3592
		.amdhsa_user_sgpr_count 6
		.amdhsa_user_sgpr_private_segment_buffer 1
		.amdhsa_user_sgpr_dispatch_ptr 0
		.amdhsa_user_sgpr_queue_ptr 0
		.amdhsa_user_sgpr_kernarg_segment_ptr 1
		.amdhsa_user_sgpr_dispatch_id 0
		.amdhsa_user_sgpr_flat_scratch_init 0
		.amdhsa_user_sgpr_kernarg_preload_length 0
		.amdhsa_user_sgpr_kernarg_preload_offset 0
		.amdhsa_user_sgpr_private_segment_size 0
		.amdhsa_uses_dynamic_stack 0
		.amdhsa_system_sgpr_private_segment_wavefront_offset 0
		.amdhsa_system_sgpr_workgroup_id_x 1
		.amdhsa_system_sgpr_workgroup_id_y 0
		.amdhsa_system_sgpr_workgroup_id_z 0
		.amdhsa_system_sgpr_workgroup_info 0
		.amdhsa_system_vgpr_workitem_id 0
		.amdhsa_next_free_vgpr 68
		.amdhsa_next_free_sgpr 36
		.amdhsa_accum_offset 68
		.amdhsa_reserve_vcc 1
		.amdhsa_reserve_flat_scratch 0
		.amdhsa_float_round_mode_32 0
		.amdhsa_float_round_mode_16_64 0
		.amdhsa_float_denorm_mode_32 3
		.amdhsa_float_denorm_mode_16_64 3
		.amdhsa_dx10_clamp 1
		.amdhsa_ieee_mode 1
		.amdhsa_fp16_overflow 0
		.amdhsa_tg_split 0
		.amdhsa_exception_fp_ieee_invalid_op 0
		.amdhsa_exception_fp_denorm_src 0
		.amdhsa_exception_fp_ieee_div_zero 0
		.amdhsa_exception_fp_ieee_overflow 0
		.amdhsa_exception_fp_ieee_underflow 0
		.amdhsa_exception_fp_ieee_inexact 0
		.amdhsa_exception_int_div_zero 0
	.end_amdhsa_kernel
	.section	.text._ZN2at6native12_GLOBAL__N_125multi_tensor_apply_kernelINS1_28TensorListScalarListMetadataIlLi4EEENS1_28PointwiseOpScalarListFunctorIlLi4ELi3ELi3EEEJSt10multipliesIlEEEEvT_T0_DpT1_,"axG",@progbits,_ZN2at6native12_GLOBAL__N_125multi_tensor_apply_kernelINS1_28TensorListScalarListMetadataIlLi4EEENS1_28PointwiseOpScalarListFunctorIlLi4ELi3ELi3EEEJSt10multipliesIlEEEEvT_T0_DpT1_,comdat
.Lfunc_end91:
	.size	_ZN2at6native12_GLOBAL__N_125multi_tensor_apply_kernelINS1_28TensorListScalarListMetadataIlLi4EEENS1_28PointwiseOpScalarListFunctorIlLi4ELi3ELi3EEEJSt10multipliesIlEEEEvT_T0_DpT1_, .Lfunc_end91-_ZN2at6native12_GLOBAL__N_125multi_tensor_apply_kernelINS1_28TensorListScalarListMetadataIlLi4EEENS1_28PointwiseOpScalarListFunctorIlLi4ELi3ELi3EEEJSt10multipliesIlEEEEvT_T0_DpT1_
                                        ; -- End function
	.section	.AMDGPU.csdata,"",@progbits
; Kernel info:
; codeLenInByte = 2424
; NumSgprs: 40
; NumVgprs: 68
; NumAgprs: 0
; TotalNumVgprs: 68
; ScratchSize: 0
; MemoryBound: 0
; FloatMode: 240
; IeeeMode: 1
; LDSByteSize: 0 bytes/workgroup (compile time only)
; SGPRBlocks: 4
; VGPRBlocks: 8
; NumSGPRsForWavesPerEU: 40
; NumVGPRsForWavesPerEU: 68
; AccumOffset: 68
; Occupancy: 7
; WaveLimiterHint : 1
; COMPUTE_PGM_RSRC2:SCRATCH_EN: 0
; COMPUTE_PGM_RSRC2:USER_SGPR: 6
; COMPUTE_PGM_RSRC2:TRAP_HANDLER: 0
; COMPUTE_PGM_RSRC2:TGID_X_EN: 1
; COMPUTE_PGM_RSRC2:TGID_Y_EN: 0
; COMPUTE_PGM_RSRC2:TGID_Z_EN: 0
; COMPUTE_PGM_RSRC2:TIDIG_COMP_CNT: 0
; COMPUTE_PGM_RSRC3_GFX90A:ACCUM_OFFSET: 16
; COMPUTE_PGM_RSRC3_GFX90A:TG_SPLIT: 0
	.section	.text._ZN2at6native12_GLOBAL__N_125multi_tensor_apply_kernelINS1_28TensorListScalarListMetadataIsLi4EEENS1_28PointwiseOpScalarListFunctorIsLi4ELi3ELi3EEEJSt10multipliesIsEEEEvT_T0_DpT1_,"axG",@progbits,_ZN2at6native12_GLOBAL__N_125multi_tensor_apply_kernelINS1_28TensorListScalarListMetadataIsLi4EEENS1_28PointwiseOpScalarListFunctorIsLi4ELi3ELi3EEEJSt10multipliesIsEEEEvT_T0_DpT1_,comdat
	.globl	_ZN2at6native12_GLOBAL__N_125multi_tensor_apply_kernelINS1_28TensorListScalarListMetadataIsLi4EEENS1_28PointwiseOpScalarListFunctorIsLi4ELi3ELi3EEEJSt10multipliesIsEEEEvT_T0_DpT1_ ; -- Begin function _ZN2at6native12_GLOBAL__N_125multi_tensor_apply_kernelINS1_28TensorListScalarListMetadataIsLi4EEENS1_28PointwiseOpScalarListFunctorIsLi4ELi3ELi3EEEJSt10multipliesIsEEEEvT_T0_DpT1_
	.p2align	8
	.type	_ZN2at6native12_GLOBAL__N_125multi_tensor_apply_kernelINS1_28TensorListScalarListMetadataIsLi4EEENS1_28PointwiseOpScalarListFunctorIsLi4ELi3ELi3EEEJSt10multipliesIsEEEEvT_T0_DpT1_,@function
_ZN2at6native12_GLOBAL__N_125multi_tensor_apply_kernelINS1_28TensorListScalarListMetadataIsLi4EEENS1_28PointwiseOpScalarListFunctorIsLi4ELi3ELi3EEEJSt10multipliesIsEEEEvT_T0_DpT1_: ; @_ZN2at6native12_GLOBAL__N_125multi_tensor_apply_kernelINS1_28TensorListScalarListMetadataIsLi4EEENS1_28PointwiseOpScalarListFunctorIsLi4ELi3ELi3EEEJSt10multipliesIsEEEEvT_T0_DpT1_
; %bb.0:
	v_mov_b32_e32 v1, s6
	global_load_ubyte v1, v1, s[4:5] offset:1512
	s_add_u32 s0, s4, s6
	s_mul_i32 s1, s6, 3
	s_addc_u32 s2, s5, 0
	s_mul_hi_u32 s3, s6, 3
	s_add_u32 s0, s0, s1
	s_addc_u32 s1, s2, s3
	s_load_dword s0, s[0:1], 0x728
	s_waitcnt lgkmcnt(0)
	s_ashr_i32 s1, s0, 31
	s_waitcnt vmcnt(0)
	v_readfirstlane_b32 s2, v1
	s_lshl_b32 s6, s2, 3
	s_add_u32 s7, s4, s6
	v_mul_hi_i32 v3, v1, -6
	v_mul_lo_u32 v1, v1, -6
	s_addc_u32 s8, s5, 0
	v_mov_b32_e32 v4, s8
	v_add_co_u32_e32 v2, vcc, s7, v1
	v_addc_co_u32_e32 v3, vcc, v4, v3, vcc
	s_load_dwordx2 s[2:3], s[4:5], s6 offset:0x480
	global_load_ushort v33, v[2:3], off offset:1440
	s_load_dwordx2 s[10:11], s[4:5], s6 offset:0x0
	s_load_dwordx2 s[12:13], s[4:5], s6 offset:0x120
	s_lshl_b64 s[20:21], s[0:1], 17
	s_load_dwordx2 s[14:15], s[4:5], s6 offset:0x240
	s_load_dwordx2 s[16:17], s[4:5], s6 offset:0x360
	s_mov_b32 s7, 0
	s_waitcnt lgkmcnt(0)
	s_and_b32 s22, s10, 7
	s_add_u32 s6, s12, s20
	s_and_b32 s6, s6, 7
	s_cmp_eq_u64 s[6:7], 0
	s_cselect_b64 s[8:9], -1, 0
	s_add_u32 s6, s14, s20
	s_or_b32 s6, s16, s6
	s_and_b32 s6, s6, 7
	s_cmp_eq_u32 s6, 0
	s_cselect_b64 s[18:19], -1, 0
	s_and_b64 s[8:9], s[18:19], s[8:9]
	s_lshl_b64 s[0:1], s[0:1], 16
	s_sub_u32 s18, s2, s0
	s_subb_u32 s19, s3, s1
	s_and_b32 s0, s2, 3
	s_or_b32 s6, s22, s0
	s_cmp_eq_u64 s[6:7], 0
	s_cselect_b64 s[0:1], -1, 0
	s_and_b64 s[2:3], s[8:9], s[0:1]
	s_mov_b64 s[0:1], -1
	s_and_b64 vcc, exec, s[2:3]
	s_cbranch_vccnz .LBB92_29
; %bb.1:
	v_cmp_lt_i64_e64 s[0:1], s[18:19], 1
	s_and_b64 vcc, exec, s[0:1]
	s_cbranch_vccnz .LBB92_28
; %bb.2:
	s_load_dword s0, s[4:5], 0xc3c
	v_mov_b32_e32 v19, 0
	v_lshlrev_b32_e32 v18, 1, v0
	v_mov_b32_e32 v21, s11
	v_mov_b32_e32 v23, s13
	s_waitcnt lgkmcnt(0)
	s_and_b32 s6, s0, 0xffff
	v_mad_u64_u32 v[16:17], s[2:3], s6, 6, v[18:19]
	v_add_co_u32_e64 v10, s[2:3], s10, v16
	v_addc_co_u32_e64 v5, s[2:3], v21, v17, s[2:3]
	v_add_co_u32_e64 v12, s[2:3], s12, v16
	v_addc_co_u32_e64 v7, s[2:3], v23, v17, s[2:3]
	v_mov_b32_e32 v27, s15
	v_add_co_u32_e64 v14, s[2:3], s14, v16
	v_mov_b32_e32 v2, 0x10000
	v_addc_co_u32_e64 v9, s[2:3], v27, v17, s[2:3]
	v_mov_b32_e32 v3, 0
	v_mov_b32_e32 v31, s17
	v_add_co_u32_e64 v16, s[2:3], s16, v16
	v_cmp_lt_u64_e32 vcc, s[18:19], v[2:3]
	s_mul_i32 s8, s6, 3
	v_addc_co_u32_e64 v11, s[2:3], v31, v17, s[2:3]
	s_and_b64 s[0:1], vcc, exec
	v_add_co_u32_e32 v2, vcc, s10, v18
	v_add_co_u32_e64 v34, s[2:3], s8, v0
	s_cselect_b32 s23, s19, 0
	s_cselect_b32 s22, s18, 0x10000
	s_lshl_b32 s29, s6, 2
	v_addc_co_u32_e32 v1, vcc, 0, v21, vcc
	v_addc_co_u32_e64 v35, s[2:3], 0, 0, s[2:3]
	v_add_co_u32_e32 v4, vcc, s12, v18
	v_add_co_u32_e64 v19, s[2:3], s29, v18
	v_addc_co_u32_e32 v3, vcc, 0, v23, vcc
	v_addc_co_u32_e64 v25, s[2:3], 0, 0, s[2:3]
	v_add_co_u32_e32 v6, vcc, s14, v18
	v_add_co_u32_e64 v8, s[0:1], s16, v18
	v_add_co_u32_e64 v18, s[2:3], s10, v19
	v_addc_co_u32_e64 v13, s[2:3], v21, v25, s[2:3]
	v_add_co_u32_e64 v20, s[2:3], s12, v19
	v_addc_co_u32_e64 v15, s[2:3], v23, v25, s[2:3]
	;; [unrolled: 2-line block ×3, first 2 shown]
	v_add_co_u32_e64 v24, s[2:3], s16, v19
	s_lshl_b32 s7, s6, 1
	v_addc_co_u32_e64 v19, s[2:3], v31, v25, s[2:3]
	v_add_co_u32_e64 v36, s[2:3], s7, v0
	v_addc_co_u32_e64 v37, s[2:3], 0, 0, s[2:3]
	v_add_co_u32_e64 v38, s[2:3], s6, v0
	v_addc_co_u32_e64 v39, s[2:3], 0, 0, s[2:3]
	v_lshlrev_b32_e32 v29, 1, v38
	v_addc_co_u32_e32 v25, vcc, 0, v27, vcc
	v_add_co_u32_e64 v26, s[2:3], s10, v29
	v_add_co_u32_e32 v30, vcc, s14, v29
	v_addc_co_u32_e64 v21, s[2:3], 0, v21, s[2:3]
	v_addc_co_u32_e32 v27, vcc, 0, v27, vcc
	v_add_co_u32_e64 v28, s[2:3], s12, v29
	v_add_co_u32_e32 v32, vcc, s16, v29
	s_mov_b32 s28, 0
	s_lshl_b32 s30, s6, 3
	s_mov_b64 s[24:25], 0
	v_addc_co_u32_e64 v23, s[2:3], 0, v23, s[2:3]
	v_addc_co_u32_e64 v29, s[0:1], 0, v31, s[0:1]
	v_addc_co_u32_e32 v31, vcc, 0, v31, vcc
	s_branch .LBB92_4
.LBB92_3:                               ;   in Loop: Header=BB92_4 Depth=1
	s_or_b64 exec, exec, s[0:1]
	s_add_u32 s24, s24, s29
	s_addc_u32 s25, s25, 0
	s_waitcnt vmcnt(0)
	v_pk_mov_b32 v[40:41], s[18:19], s[18:19] op_sel:[0,1]
	v_cmp_lt_i64_e32 vcc, s[24:25], v[40:41]
	v_mov_b32_e32 v40, 0x10000
	v_mov_b32_e32 v41, 0
	v_cmp_lt_u64_e64 s[0:1], s[24:25], v[40:41]
	v_mov_b32_e32 v40, s28
	v_add_co_u32_e64 v2, s[2:3], s30, v2
	v_addc_co_u32_e64 v1, s[2:3], v1, v40, s[2:3]
	v_add_co_u32_e64 v4, s[2:3], s30, v4
	v_addc_co_u32_e64 v3, s[2:3], v3, v40, s[2:3]
	;; [unrolled: 2-line block ×15, first 2 shown]
	v_add_co_u32_e64 v32, s[2:3], s30, v32
	s_and_b64 s[0:1], vcc, s[0:1]
	v_addc_co_u32_e64 v31, s[2:3], v31, v40, s[2:3]
	s_and_b64 vcc, exec, s[0:1]
	s_cbranch_vccz .LBB92_28
.LBB92_4:                               ; =>This Inner Loop Header: Depth=1
	v_mov_b32_e32 v41, s25
	v_add_co_u32_e32 v40, vcc, s24, v0
	v_addc_co_u32_e32 v41, vcc, 0, v41, vcc
	v_cmp_gt_u64_e32 vcc, s[22:23], v[40:41]
	v_mov_b32_e32 v40, 0
	v_mov_b32_e32 v41, 0
	s_and_saveexec_b64 s[2:3], vcc
	s_cbranch_execz .LBB92_6
; %bb.5:                                ;   in Loop: Header=BB92_4 Depth=1
	v_mov_b32_e32 v40, s21
	v_add_co_u32_e64 v42, s[0:1], s20, v2
	v_addc_co_u32_e64 v43, s[0:1], v1, v40, s[0:1]
	v_add_co_u32_e64 v44, s[0:1], s20, v4
	v_addc_co_u32_e64 v45, s[0:1], v3, v40, s[0:1]
	global_load_ushort v40, v[42:43], off
	global_load_ushort v41, v[44:45], off
.LBB92_6:                               ;   in Loop: Header=BB92_4 Depth=1
	s_or_b64 exec, exec, s[2:3]
	v_mov_b32_e32 v42, 0
	v_mov_b32_e32 v43, 0
	s_and_saveexec_b64 s[2:3], vcc
	s_cbranch_execz .LBB92_8
; %bb.7:                                ;   in Loop: Header=BB92_4 Depth=1
	v_mov_b32_e32 v43, s21
	v_add_co_u32_e64 v44, s[0:1], s20, v6
	v_addc_co_u32_e64 v45, s[0:1], v25, v43, s[0:1]
	global_load_ushort v43, v[44:45], off
.LBB92_8:                               ;   in Loop: Header=BB92_4 Depth=1
	s_or_b64 exec, exec, s[2:3]
	v_mov_b32_e32 v45, s25
	v_add_co_u32_e64 v44, s[0:1], s24, v38
	v_addc_co_u32_e64 v45, s[0:1], v39, v45, s[0:1]
	v_cmp_gt_u64_e64 s[0:1], s[22:23], v[44:45]
	v_mov_b32_e32 v44, 0
	s_and_saveexec_b64 s[6:7], s[0:1]
	s_cbranch_execz .LBB92_10
; %bb.9:                                ;   in Loop: Header=BB92_4 Depth=1
	v_mov_b32_e32 v42, s21
	v_add_co_u32_e64 v46, s[2:3], s20, v28
	v_addc_co_u32_e64 v47, s[2:3], v23, v42, s[2:3]
	v_add_co_u32_e64 v48, s[2:3], s20, v26
	v_addc_co_u32_e64 v49, s[2:3], v21, v42, s[2:3]
	global_load_ushort v42, v[48:49], off
	global_load_ushort v44, v[46:47], off
.LBB92_10:                              ;   in Loop: Header=BB92_4 Depth=1
	s_or_b64 exec, exec, s[6:7]
	v_mov_b32_e32 v45, 0
	v_mov_b32_e32 v46, 0
	s_and_saveexec_b64 s[6:7], s[0:1]
	s_cbranch_execz .LBB92_12
; %bb.11:                               ;   in Loop: Header=BB92_4 Depth=1
	v_mov_b32_e32 v47, s21
	v_add_co_u32_e64 v46, s[2:3], s20, v30
	v_addc_co_u32_e64 v47, s[2:3], v27, v47, s[2:3]
	global_load_ushort v46, v[46:47], off
.LBB92_12:                              ;   in Loop: Header=BB92_4 Depth=1
	s_or_b64 exec, exec, s[6:7]
	v_mov_b32_e32 v47, s25
	v_add_co_u32_e64 v48, s[2:3], s24, v36
	v_addc_co_u32_e64 v49, s[2:3], v37, v47, s[2:3]
	v_cmp_gt_u64_e64 s[2:3], s[22:23], v[48:49]
	v_mov_b32_e32 v47, 0
	s_and_saveexec_b64 s[8:9], s[2:3]
	s_cbranch_execz .LBB92_14
; %bb.13:                               ;   in Loop: Header=BB92_4 Depth=1
	v_mov_b32_e32 v45, s21
	v_add_co_u32_e64 v48, s[6:7], s20, v20
	v_addc_co_u32_e64 v49, s[6:7], v15, v45, s[6:7]
	v_add_co_u32_e64 v50, s[6:7], s20, v18
	v_addc_co_u32_e64 v51, s[6:7], v13, v45, s[6:7]
	global_load_ushort v45, v[50:51], off
	global_load_ushort v47, v[48:49], off
.LBB92_14:                              ;   in Loop: Header=BB92_4 Depth=1
	s_or_b64 exec, exec, s[8:9]
	v_mov_b32_e32 v48, 0
	v_mov_b32_e32 v49, 0
	s_and_saveexec_b64 s[8:9], s[2:3]
	s_cbranch_execz .LBB92_16
; %bb.15:                               ;   in Loop: Header=BB92_4 Depth=1
	v_mov_b32_e32 v49, s21
	v_add_co_u32_e64 v50, s[6:7], s20, v22
	v_addc_co_u32_e64 v51, s[6:7], v17, v49, s[6:7]
	global_load_ushort v49, v[50:51], off
.LBB92_16:                              ;   in Loop: Header=BB92_4 Depth=1
	s_or_b64 exec, exec, s[8:9]
	v_mov_b32_e32 v51, s25
	v_add_co_u32_e64 v50, s[6:7], s24, v34
	v_addc_co_u32_e64 v51, s[6:7], v35, v51, s[6:7]
	v_cmp_gt_u64_e64 s[6:7], s[22:23], v[50:51]
	v_mov_b32_e32 v50, 0
	s_and_saveexec_b64 s[26:27], s[6:7]
	s_cbranch_execnz .LBB92_22
; %bb.17:                               ;   in Loop: Header=BB92_4 Depth=1
	s_or_b64 exec, exec, s[26:27]
	v_mov_b32_e32 v51, 0
	s_and_saveexec_b64 s[26:27], s[6:7]
	s_cbranch_execnz .LBB92_23
.LBB92_18:                              ;   in Loop: Header=BB92_4 Depth=1
	s_or_b64 exec, exec, s[26:27]
	s_and_saveexec_b64 s[8:9], vcc
	s_cbranch_execnz .LBB92_24
.LBB92_19:                              ;   in Loop: Header=BB92_4 Depth=1
	s_or_b64 exec, exec, s[8:9]
	s_and_saveexec_b64 s[8:9], s[0:1]
	s_cbranch_execnz .LBB92_25
.LBB92_20:                              ;   in Loop: Header=BB92_4 Depth=1
	s_or_b64 exec, exec, s[8:9]
	s_and_saveexec_b64 s[0:1], s[2:3]
	s_cbranch_execnz .LBB92_26
.LBB92_21:                              ;   in Loop: Header=BB92_4 Depth=1
	s_or_b64 exec, exec, s[0:1]
	s_and_saveexec_b64 s[0:1], s[6:7]
	s_cbranch_execz .LBB92_3
	s_branch .LBB92_27
.LBB92_22:                              ;   in Loop: Header=BB92_4 Depth=1
	v_mov_b32_e32 v48, s21
	v_add_co_u32_e64 v52, s[8:9], s20, v12
	v_addc_co_u32_e64 v53, s[8:9], v7, v48, s[8:9]
	v_add_co_u32_e64 v54, s[8:9], s20, v10
	v_addc_co_u32_e64 v55, s[8:9], v5, v48, s[8:9]
	global_load_ushort v48, v[54:55], off
	global_load_ushort v50, v[52:53], off
	s_or_b64 exec, exec, s[26:27]
	v_mov_b32_e32 v51, 0
	s_and_saveexec_b64 s[26:27], s[6:7]
	s_cbranch_execz .LBB92_18
.LBB92_23:                              ;   in Loop: Header=BB92_4 Depth=1
	v_mov_b32_e32 v51, s21
	v_add_co_u32_e64 v52, s[8:9], s20, v14
	v_addc_co_u32_e64 v53, s[8:9], v9, v51, s[8:9]
	global_load_ushort v51, v[52:53], off
	s_or_b64 exec, exec, s[26:27]
	s_and_saveexec_b64 s[8:9], vcc
	s_cbranch_execz .LBB92_19
.LBB92_24:                              ;   in Loop: Header=BB92_4 Depth=1
	s_waitcnt vmcnt(0)
	v_mul_lo_u16_e32 v41, v41, v33
	v_mad_legacy_u16 v43, v41, v43, v40
	v_mov_b32_e32 v41, s21
	v_add_co_u32_e32 v40, vcc, s20, v8
	v_addc_co_u32_e32 v41, vcc, v29, v41, vcc
	global_store_short v[40:41], v43, off
	s_or_b64 exec, exec, s[8:9]
	s_and_saveexec_b64 s[8:9], s[0:1]
	s_cbranch_execz .LBB92_20
.LBB92_25:                              ;   in Loop: Header=BB92_4 Depth=1
	s_waitcnt vmcnt(0)
	v_mul_lo_u16_e32 v40, v44, v33
	v_mad_legacy_u16 v42, v40, v46, v42
	v_mov_b32_e32 v41, s21
	v_add_co_u32_e32 v40, vcc, s20, v32
	v_addc_co_u32_e32 v41, vcc, v31, v41, vcc
	global_store_short v[40:41], v42, off
	s_or_b64 exec, exec, s[8:9]
	s_and_saveexec_b64 s[0:1], s[2:3]
	s_cbranch_execz .LBB92_21
.LBB92_26:                              ;   in Loop: Header=BB92_4 Depth=1
	s_waitcnt vmcnt(0)
	v_mul_lo_u16_e32 v40, v47, v33
	v_mad_legacy_u16 v42, v40, v49, v45
	v_mov_b32_e32 v41, s21
	v_add_co_u32_e32 v40, vcc, s20, v24
	v_addc_co_u32_e32 v41, vcc, v19, v41, vcc
	global_store_short v[40:41], v42, off
	s_or_b64 exec, exec, s[0:1]
	s_and_saveexec_b64 s[0:1], s[6:7]
	s_cbranch_execz .LBB92_3
.LBB92_27:                              ;   in Loop: Header=BB92_4 Depth=1
	s_waitcnt vmcnt(0)
	v_mul_lo_u16_e32 v40, v50, v33
	v_mad_legacy_u16 v42, v40, v51, v48
	v_mov_b32_e32 v41, s21
	v_add_co_u32_e32 v40, vcc, s20, v16
	v_addc_co_u32_e32 v41, vcc, v11, v41, vcc
	global_store_short v[40:41], v42, off
	s_branch .LBB92_3
.LBB92_28:
	s_mov_b64 s[0:1], 0
.LBB92_29:
	s_andn2_b64 vcc, exec, s[0:1]
	s_cbranch_vccnz .LBB92_33
; %bb.30:
	v_mov_b32_e32 v3, 0
	v_lshlrev_b32_e32 v2, 2, v0
	s_mov_b32 s0, 0
	v_cmp_gt_i64_e32 vcc, s[18:19], v[2:3]
	s_and_saveexec_b64 s[2:3], vcc
	s_cbranch_execz .LBB92_33
; %bb.31:
	s_load_dword s1, s[4:5], 0xc3c
	v_lshlrev_b32_e32 v1, 3, v0
	v_mov_b32_e32 v2, s21
	v_add_co_u32_e32 v4, vcc, s20, v1
	s_waitcnt lgkmcnt(0)
	s_and_b32 s1, s1, 0xffff
	v_addc_co_u32_e32 v1, vcc, 0, v2, vcc
	s_lshl_b32 s8, s1, 3
	v_add_lshl_u32 v2, v0, s1, 2
	s_lshl_b32 s9, s1, 2
	s_mov_b64 s[4:5], 0
	v_mov_b32_e32 v0, s11
	v_mov_b32_e32 v5, s13
	v_mov_b32_e32 v6, s15
	v_mov_b32_e32 v7, s17
	s_mov_b64 s[6:7], 0xffff
	v_mov_b32_e32 v8, s0
	v_mov_b32_e32 v9, s0
.LBB92_32:                              ; =>This Inner Loop Header: Depth=1
	v_add_co_u32_e32 v10, vcc, s10, v4
	v_addc_co_u32_e32 v11, vcc, v0, v1, vcc
	v_add_co_u32_e32 v12, vcc, s12, v4
	v_addc_co_u32_e32 v13, vcc, v5, v1, vcc
	;; [unrolled: 2-line block ×3, first 2 shown]
	global_load_dwordx2 v[16:17], v[12:13], off
	global_load_dwordx2 v[18:19], v[10:11], off
	;; [unrolled: 1-line block ×3, first 2 shown]
	v_add_co_u32_e32 v10, vcc, s16, v4
	v_addc_co_u32_e32 v11, vcc, v7, v1, vcc
	v_cmp_le_i64_e32 vcc, s[18:19], v[2:3]
	v_cmp_lt_u64_e64 s[0:1], s[6:7], v[2:3]
	v_add_co_u32_e64 v4, s[2:3], s8, v4
	v_addc_co_u32_e64 v1, s[2:3], v1, v8, s[2:3]
	s_or_b64 s[0:1], vcc, s[0:1]
	v_add_co_u32_e64 v2, s[2:3], s9, v2
	s_and_b64 s[0:1], exec, s[0:1]
	v_addc_co_u32_e64 v3, s[2:3], v3, v9, s[2:3]
	s_or_b64 s[4:5], s[0:1], s[4:5]
	s_waitcnt vmcnt(2)
	v_mul_lo_u16_e32 v12, v33, v16
	s_waitcnt vmcnt(1)
	v_lshrrev_b32_e32 v13, 16, v18
	s_waitcnt vmcnt(0)
	v_lshrrev_b32_e32 v14, 16, v20
	v_mul_lo_u16_sdwa v15, v33, v16 dst_sel:DWORD dst_unused:UNUSED_PAD src0_sel:DWORD src1_sel:WORD_1
	v_mul_lo_u16_e32 v16, v33, v17
	v_lshrrev_b32_e32 v22, 16, v19
	v_lshrrev_b32_e32 v23, 16, v21
	v_mul_lo_u16_sdwa v17, v33, v17 dst_sel:DWORD dst_unused:UNUSED_PAD src0_sel:DWORD src1_sel:WORD_1
	v_mul_lo_u16_e32 v12, v12, v20
	v_mad_legacy_u16 v13, v15, v14, v13
	v_mad_legacy_u16 v15, v17, v23, v22
	v_add_u16_e32 v12, v12, v18
	v_lshlrev_b32_e32 v13, 16, v13
	v_mad_legacy_u16 v14, v16, v21, v19
	v_lshlrev_b32_e32 v15, 16, v15
	v_or_b32_e32 v12, v13, v12
	v_or3_b32 v13, 0, v14, v15
	v_or3_b32 v12, v12, 0, 0
	global_store_dwordx2 v[10:11], v[12:13], off
	s_andn2_b64 exec, exec, s[4:5]
	s_cbranch_execnz .LBB92_32
.LBB92_33:
	s_endpgm
	.section	.rodata,"a",@progbits
	.p2align	6, 0x0
	.amdhsa_kernel _ZN2at6native12_GLOBAL__N_125multi_tensor_apply_kernelINS1_28TensorListScalarListMetadataIsLi4EEENS1_28PointwiseOpScalarListFunctorIsLi4ELi3ELi3EEEJSt10multipliesIsEEEEvT_T0_DpT1_
		.amdhsa_group_segment_fixed_size 0
		.amdhsa_private_segment_fixed_size 0
		.amdhsa_kernarg_size 3376
		.amdhsa_user_sgpr_count 6
		.amdhsa_user_sgpr_private_segment_buffer 1
		.amdhsa_user_sgpr_dispatch_ptr 0
		.amdhsa_user_sgpr_queue_ptr 0
		.amdhsa_user_sgpr_kernarg_segment_ptr 1
		.amdhsa_user_sgpr_dispatch_id 0
		.amdhsa_user_sgpr_flat_scratch_init 0
		.amdhsa_user_sgpr_kernarg_preload_length 0
		.amdhsa_user_sgpr_kernarg_preload_offset 0
		.amdhsa_user_sgpr_private_segment_size 0
		.amdhsa_uses_dynamic_stack 0
		.amdhsa_system_sgpr_private_segment_wavefront_offset 0
		.amdhsa_system_sgpr_workgroup_id_x 1
		.amdhsa_system_sgpr_workgroup_id_y 0
		.amdhsa_system_sgpr_workgroup_id_z 0
		.amdhsa_system_sgpr_workgroup_info 0
		.amdhsa_system_vgpr_workitem_id 0
		.amdhsa_next_free_vgpr 56
		.amdhsa_next_free_sgpr 31
		.amdhsa_accum_offset 56
		.amdhsa_reserve_vcc 1
		.amdhsa_reserve_flat_scratch 0
		.amdhsa_float_round_mode_32 0
		.amdhsa_float_round_mode_16_64 0
		.amdhsa_float_denorm_mode_32 3
		.amdhsa_float_denorm_mode_16_64 3
		.amdhsa_dx10_clamp 1
		.amdhsa_ieee_mode 1
		.amdhsa_fp16_overflow 0
		.amdhsa_tg_split 0
		.amdhsa_exception_fp_ieee_invalid_op 0
		.amdhsa_exception_fp_denorm_src 0
		.amdhsa_exception_fp_ieee_div_zero 0
		.amdhsa_exception_fp_ieee_overflow 0
		.amdhsa_exception_fp_ieee_underflow 0
		.amdhsa_exception_fp_ieee_inexact 0
		.amdhsa_exception_int_div_zero 0
	.end_amdhsa_kernel
	.section	.text._ZN2at6native12_GLOBAL__N_125multi_tensor_apply_kernelINS1_28TensorListScalarListMetadataIsLi4EEENS1_28PointwiseOpScalarListFunctorIsLi4ELi3ELi3EEEJSt10multipliesIsEEEEvT_T0_DpT1_,"axG",@progbits,_ZN2at6native12_GLOBAL__N_125multi_tensor_apply_kernelINS1_28TensorListScalarListMetadataIsLi4EEENS1_28PointwiseOpScalarListFunctorIsLi4ELi3ELi3EEEJSt10multipliesIsEEEEvT_T0_DpT1_,comdat
.Lfunc_end92:
	.size	_ZN2at6native12_GLOBAL__N_125multi_tensor_apply_kernelINS1_28TensorListScalarListMetadataIsLi4EEENS1_28PointwiseOpScalarListFunctorIsLi4ELi3ELi3EEEJSt10multipliesIsEEEEvT_T0_DpT1_, .Lfunc_end92-_ZN2at6native12_GLOBAL__N_125multi_tensor_apply_kernelINS1_28TensorListScalarListMetadataIsLi4EEENS1_28PointwiseOpScalarListFunctorIsLi4ELi3ELi3EEEJSt10multipliesIsEEEEvT_T0_DpT1_
                                        ; -- End function
	.section	.AMDGPU.csdata,"",@progbits
; Kernel info:
; codeLenInByte = 2172
; NumSgprs: 35
; NumVgprs: 56
; NumAgprs: 0
; TotalNumVgprs: 56
; ScratchSize: 0
; MemoryBound: 0
; FloatMode: 240
; IeeeMode: 1
; LDSByteSize: 0 bytes/workgroup (compile time only)
; SGPRBlocks: 4
; VGPRBlocks: 6
; NumSGPRsForWavesPerEU: 35
; NumVGPRsForWavesPerEU: 56
; AccumOffset: 56
; Occupancy: 8
; WaveLimiterHint : 0
; COMPUTE_PGM_RSRC2:SCRATCH_EN: 0
; COMPUTE_PGM_RSRC2:USER_SGPR: 6
; COMPUTE_PGM_RSRC2:TRAP_HANDLER: 0
; COMPUTE_PGM_RSRC2:TGID_X_EN: 1
; COMPUTE_PGM_RSRC2:TGID_Y_EN: 0
; COMPUTE_PGM_RSRC2:TGID_Z_EN: 0
; COMPUTE_PGM_RSRC2:TIDIG_COMP_CNT: 0
; COMPUTE_PGM_RSRC3_GFX90A:ACCUM_OFFSET: 13
; COMPUTE_PGM_RSRC3_GFX90A:TG_SPLIT: 0
	.section	.text._ZN2at6native12_GLOBAL__N_125multi_tensor_apply_kernelINS1_28TensorListScalarListMetadataIdLi4EEENS1_28PointwiseOpScalarListFunctorIdLi4ELi3ELi3EEEJSt10multipliesIdEEEEvT_T0_DpT1_,"axG",@progbits,_ZN2at6native12_GLOBAL__N_125multi_tensor_apply_kernelINS1_28TensorListScalarListMetadataIdLi4EEENS1_28PointwiseOpScalarListFunctorIdLi4ELi3ELi3EEEJSt10multipliesIdEEEEvT_T0_DpT1_,comdat
	.globl	_ZN2at6native12_GLOBAL__N_125multi_tensor_apply_kernelINS1_28TensorListScalarListMetadataIdLi4EEENS1_28PointwiseOpScalarListFunctorIdLi4ELi3ELi3EEEJSt10multipliesIdEEEEvT_T0_DpT1_ ; -- Begin function _ZN2at6native12_GLOBAL__N_125multi_tensor_apply_kernelINS1_28TensorListScalarListMetadataIdLi4EEENS1_28PointwiseOpScalarListFunctorIdLi4ELi3ELi3EEEJSt10multipliesIdEEEEvT_T0_DpT1_
	.p2align	8
	.type	_ZN2at6native12_GLOBAL__N_125multi_tensor_apply_kernelINS1_28TensorListScalarListMetadataIdLi4EEENS1_28PointwiseOpScalarListFunctorIdLi4ELi3ELi3EEEJSt10multipliesIdEEEEvT_T0_DpT1_,@function
_ZN2at6native12_GLOBAL__N_125multi_tensor_apply_kernelINS1_28TensorListScalarListMetadataIdLi4EEENS1_28PointwiseOpScalarListFunctorIdLi4ELi3ELi3EEEJSt10multipliesIdEEEEvT_T0_DpT1_: ; @_ZN2at6native12_GLOBAL__N_125multi_tensor_apply_kernelINS1_28TensorListScalarListMetadataIdLi4EEENS1_28PointwiseOpScalarListFunctorIdLi4ELi3ELi3EEEJSt10multipliesIdEEEEvT_T0_DpT1_
; %bb.0:
	v_mov_b32_e32 v1, s6
	global_load_ubyte v1, v1, s[4:5] offset:1728
	s_add_u32 s0, s4, s6
	s_mul_hi_u32 s3, s6, 3
	s_mul_i32 s6, s6, 3
	s_addc_u32 s7, s5, 0
	s_add_u32 s2, s0, s6
	s_addc_u32 s3, s7, s3
	s_load_dword s20, s[2:3], 0x800
	s_mov_b32 s1, 0
	s_mov_b32 s15, s1
	;; [unrolled: 1-line block ×3, first 2 shown]
	s_waitcnt lgkmcnt(0)
	s_ashr_i32 s21, s20, 31
	s_lshl_b64 s[16:17], s[20:21], 19
	s_waitcnt vmcnt(0)
	v_readfirstlane_b32 s0, v1
	s_lshl_b32 s0, s0, 3
	s_load_dwordx2 s[22:23], s[4:5], s0 offset:0x480
	s_load_dwordx2 s[12:13], s[4:5], s0 offset:0x5a0
	;; [unrolled: 1-line block ×6, first 2 shown]
	s_waitcnt lgkmcnt(0)
	s_add_u32 s24, s10, s16
	s_addc_u32 s25, s11, s17
	s_and_b32 s0, s24, 31
	s_add_u32 s26, s8, s16
	s_addc_u32 s27, s9, s17
	s_and_b32 s14, s26, 31
	s_cmp_eq_u64 s[14:15], 0
	s_cselect_b64 s[14:15], -1, 0
	s_add_u32 s28, s6, s16
	s_addc_u32 s29, s7, s17
	s_add_u32 s30, s2, s16
	s_addc_u32 s31, s3, s17
	s_or_b32 s18, s30, s28
	s_and_b32 s18, s18, 31
	s_cmp_eq_u32 s18, 0
	s_cselect_b64 s[34:35], -1, 0
	s_lshl_b64 s[20:21], s[20:21], 16
	s_and_b64 s[34:35], s[34:35], s[14:15]
	s_sub_u32 s14, s22, s20
	s_subb_u32 s15, s23, s21
	s_and_b32 s18, s22, 3
	s_or_b64 s[0:1], s[0:1], s[18:19]
	s_cmp_eq_u64 s[0:1], 0
	s_cselect_b64 s[0:1], -1, 0
	s_and_b64 s[18:19], s[34:35], s[0:1]
	s_mov_b64 s[0:1], -1
	s_and_b64 vcc, exec, s[18:19]
	s_cbranch_vccnz .LBB93_29
; %bb.1:
	v_cmp_lt_i64_e64 s[0:1], s[14:15], 1
	s_and_b64 vcc, exec, s[0:1]
	s_cbranch_vccnz .LBB93_28
; %bb.2:
	s_load_dword s0, s[4:5], 0xd14
	v_mov_b32_e32 v2, 0x10000
	v_mov_b32_e32 v3, 0
	v_cmp_lt_u64_e32 vcc, s[14:15], v[2:3]
	v_lshlrev_b32_e32 v30, 3, v0
	s_waitcnt lgkmcnt(0)
	s_and_b32 s22, s0, 0xffff
	s_and_b64 s[0:1], vcc, exec
	v_mov_b32_e32 v21, s11
	v_add_co_u32_e32 v2, vcc, s10, v30
	v_addc_co_u32_e32 v1, vcc, 0, v21, vcc
	v_mov_b32_e32 v31, 0
	v_mov_b32_e32 v23, s9
	v_add_co_u32_e32 v4, vcc, s8, v30
	v_addc_co_u32_e32 v3, vcc, 0, v23, vcc
	v_mad_u64_u32 v[12:13], s[20:21], s22, 24, v[30:31]
	v_add_co_u32_e32 v6, vcc, s10, v12
	v_addc_co_u32_e32 v5, vcc, v21, v13, vcc
	v_add_co_u32_e32 v8, vcc, s8, v12
	v_addc_co_u32_e32 v7, vcc, v23, v13, vcc
	v_mov_b32_e32 v27, s7
	v_add_co_u32_e32 v10, vcc, s6, v12
	v_addc_co_u32_e32 v9, vcc, v27, v13, vcc
	v_mov_b32_e32 v34, s3
	v_add_co_u32_e32 v12, vcc, s2, v12
	s_mul_i32 s36, s22, 3
	v_addc_co_u32_e32 v11, vcc, v34, v13, vcc
	s_cselect_b32 s19, s15, 0
	s_cselect_b32 s18, s14, 0x10000
	v_add_co_u32_e32 v33, vcc, s36, v0
	s_lshl_b32 s3, s22, 4
	v_addc_co_u32_e64 v58, s[20:21], 0, 0, vcc
	v_add_co_u32_e32 v19, vcc, s3, v30
	v_addc_co_u32_e64 v22, s[20:21], 0, 0, vcc
	v_add_co_u32_e32 v14, vcc, s10, v19
	v_addc_co_u32_e32 v13, vcc, v21, v22, vcc
	v_add_co_u32_e32 v16, vcc, s8, v19
	v_addc_co_u32_e32 v15, vcc, v23, v22, vcc
	;; [unrolled: 2-line block ×3, first 2 shown]
	v_add_co_u32_e32 v20, vcc, s2, v19
	s_lshl_b32 s23, s22, 1
	v_addc_co_u32_e32 v19, vcc, v34, v22, vcc
	v_add_co_u32_e32 v59, vcc, s23, v0
	v_addc_co_u32_e64 v60, s[20:21], 0, 0, vcc
	v_add_co_u32_e32 v61, vcc, s22, v0
	v_lshlrev_b32_e32 v29, 3, v61
	v_addc_co_u32_e64 v62, s[20:21], 0, 0, vcc
	v_add_co_u32_e32 v22, vcc, s10, v29
	v_addc_co_u32_e32 v21, vcc, 0, v21, vcc
	v_add_co_u32_e32 v24, vcc, s8, v29
	v_addc_co_u32_e32 v23, vcc, 0, v23, vcc
	;; [unrolled: 2-line block ×4, first 2 shown]
	v_add_co_u32_e32 v30, vcc, s2, v30
	v_add_co_u32_e64 v32, s[2:3], s2, v29
	s_mov_b32 s33, 0
	v_cmp_eq_f64_e64 s[0:1], s[12:13], 1.0
	s_lshl_b32 s34, s22, 2
	s_lshl_b32 s35, s22, 5
	s_mov_b64 s[20:21], 0
	v_addc_co_u32_e32 v29, vcc, 0, v34, vcc
	v_addc_co_u32_e64 v31, vcc, 0, v34, s[2:3]
	s_branch .LBB93_4
.LBB93_3:                               ;   in Loop: Header=BB93_4 Depth=1
	s_or_b64 exec, exec, s[2:3]
	s_add_u32 s20, s20, s34
	s_addc_u32 s21, s21, 0
	s_waitcnt vmcnt(0)
	v_pk_mov_b32 v[34:35], s[14:15], s[14:15] op_sel:[0,1]
	v_cmp_lt_i64_e32 vcc, s[20:21], v[34:35]
	v_mov_b32_e32 v34, 0x10000
	v_mov_b32_e32 v35, 0
	v_cmp_lt_u64_e64 s[2:3], s[20:21], v[34:35]
	s_and_b64 s[2:3], vcc, s[2:3]
	v_mov_b32_e32 v34, s33
	v_add_co_u32_e32 v2, vcc, s35, v2
	v_addc_co_u32_e32 v1, vcc, v1, v34, vcc
	v_add_co_u32_e32 v4, vcc, s35, v4
	v_addc_co_u32_e32 v3, vcc, v3, v34, vcc
	;; [unrolled: 2-line block ×16, first 2 shown]
	s_and_b64 vcc, exec, s[2:3]
	s_cbranch_vccz .LBB93_28
.LBB93_4:                               ; =>This Inner Loop Header: Depth=1
	v_mov_b32_e32 v35, s21
	v_add_co_u32_e32 v34, vcc, s20, v0
	v_addc_co_u32_e32 v35, vcc, 0, v35, vcc
	v_cmp_gt_u64_e32 vcc, s[18:19], v[34:35]
	v_pk_mov_b32 v[34:35], 0, 0
	v_pk_mov_b32 v[36:37], v[34:35], v[34:35] op_sel:[0,1]
	v_pk_mov_b32 v[38:39], v[34:35], v[34:35] op_sel:[0,1]
	s_and_saveexec_b64 s[6:7], vcc
	s_cbranch_execz .LBB93_6
; %bb.5:                                ;   in Loop: Header=BB93_4 Depth=1
	v_mov_b32_e32 v36, s17
	v_add_co_u32_e64 v40, s[2:3], s16, v2
	v_addc_co_u32_e64 v41, s[2:3], v1, v36, s[2:3]
	v_add_co_u32_e64 v42, s[2:3], s16, v4
	v_addc_co_u32_e64 v43, s[2:3], v3, v36, s[2:3]
	global_load_dwordx2 v[36:37], v[40:41], off
	global_load_dwordx2 v[38:39], v[42:43], off
.LBB93_6:                               ;   in Loop: Header=BB93_4 Depth=1
	s_or_b64 exec, exec, s[6:7]
	s_and_saveexec_b64 s[6:7], vcc
	s_cbranch_execz .LBB93_8
; %bb.7:                                ;   in Loop: Header=BB93_4 Depth=1
	v_mov_b32_e32 v35, s17
	v_add_co_u32_e64 v34, s[2:3], s16, v26
	v_addc_co_u32_e64 v35, s[2:3], v25, v35, s[2:3]
	global_load_dwordx2 v[34:35], v[34:35], off
.LBB93_8:                               ;   in Loop: Header=BB93_4 Depth=1
	s_or_b64 exec, exec, s[6:7]
	v_mov_b32_e32 v41, s21
	v_add_co_u32_e64 v40, s[2:3], s20, v61
	v_addc_co_u32_e64 v41, s[2:3], v62, v41, s[2:3]
	v_cmp_gt_u64_e64 s[2:3], s[18:19], v[40:41]
	v_pk_mov_b32 v[40:41], 0, 0
	v_pk_mov_b32 v[42:43], v[40:41], v[40:41] op_sel:[0,1]
	v_pk_mov_b32 v[44:45], v[40:41], v[40:41] op_sel:[0,1]
	s_and_saveexec_b64 s[8:9], s[2:3]
	s_cbranch_execz .LBB93_10
; %bb.9:                                ;   in Loop: Header=BB93_4 Depth=1
	v_mov_b32_e32 v42, s17
	v_add_co_u32_e64 v46, s[6:7], s16, v22
	v_addc_co_u32_e64 v47, s[6:7], v21, v42, s[6:7]
	v_add_co_u32_e64 v48, s[6:7], s16, v24
	v_addc_co_u32_e64 v49, s[6:7], v23, v42, s[6:7]
	global_load_dwordx2 v[42:43], v[46:47], off
	global_load_dwordx2 v[44:45], v[48:49], off
.LBB93_10:                              ;   in Loop: Header=BB93_4 Depth=1
	s_or_b64 exec, exec, s[8:9]
	s_and_saveexec_b64 s[8:9], s[2:3]
	s_cbranch_execz .LBB93_12
; %bb.11:                               ;   in Loop: Header=BB93_4 Depth=1
	v_mov_b32_e32 v41, s17
	v_add_co_u32_e64 v40, s[6:7], s16, v28
	v_addc_co_u32_e64 v41, s[6:7], v27, v41, s[6:7]
	global_load_dwordx2 v[40:41], v[40:41], off
.LBB93_12:                              ;   in Loop: Header=BB93_4 Depth=1
	s_or_b64 exec, exec, s[8:9]
	v_mov_b32_e32 v47, s21
	v_add_co_u32_e64 v46, s[6:7], s20, v59
	v_addc_co_u32_e64 v47, s[6:7], v60, v47, s[6:7]
	v_cmp_gt_u64_e64 s[6:7], s[18:19], v[46:47]
	v_pk_mov_b32 v[46:47], 0, 0
	v_pk_mov_b32 v[48:49], v[46:47], v[46:47] op_sel:[0,1]
	v_pk_mov_b32 v[50:51], v[46:47], v[46:47] op_sel:[0,1]
	s_and_saveexec_b64 s[10:11], s[6:7]
	s_cbranch_execz .LBB93_14
; %bb.13:                               ;   in Loop: Header=BB93_4 Depth=1
	v_mov_b32_e32 v48, s17
	v_add_co_u32_e64 v52, s[8:9], s16, v14
	v_addc_co_u32_e64 v53, s[8:9], v13, v48, s[8:9]
	v_add_co_u32_e64 v54, s[8:9], s16, v16
	v_addc_co_u32_e64 v55, s[8:9], v15, v48, s[8:9]
	global_load_dwordx2 v[48:49], v[52:53], off
	global_load_dwordx2 v[50:51], v[54:55], off
.LBB93_14:                              ;   in Loop: Header=BB93_4 Depth=1
	s_or_b64 exec, exec, s[10:11]
	s_and_saveexec_b64 s[10:11], s[6:7]
	s_cbranch_execz .LBB93_16
; %bb.15:                               ;   in Loop: Header=BB93_4 Depth=1
	v_mov_b32_e32 v47, s17
	v_add_co_u32_e64 v46, s[8:9], s16, v18
	v_addc_co_u32_e64 v47, s[8:9], v17, v47, s[8:9]
	global_load_dwordx2 v[46:47], v[46:47], off
.LBB93_16:                              ;   in Loop: Header=BB93_4 Depth=1
	s_or_b64 exec, exec, s[10:11]
	v_mov_b32_e32 v53, s21
	v_add_co_u32_e64 v52, s[8:9], s20, v33
	v_addc_co_u32_e64 v53, s[8:9], v58, v53, s[8:9]
	v_cmp_gt_u64_e64 s[8:9], s[18:19], v[52:53]
	v_pk_mov_b32 v[52:53], 0, 0
	v_pk_mov_b32 v[54:55], v[52:53], v[52:53] op_sel:[0,1]
	v_pk_mov_b32 v[56:57], v[52:53], v[52:53] op_sel:[0,1]
	s_and_saveexec_b64 s[22:23], s[8:9]
	s_cbranch_execnz .LBB93_22
; %bb.17:                               ;   in Loop: Header=BB93_4 Depth=1
	s_or_b64 exec, exec, s[22:23]
	s_and_saveexec_b64 s[22:23], s[8:9]
	s_cbranch_execnz .LBB93_23
.LBB93_18:                              ;   in Loop: Header=BB93_4 Depth=1
	s_or_b64 exec, exec, s[22:23]
	s_and_saveexec_b64 s[10:11], vcc
	s_cbranch_execnz .LBB93_24
.LBB93_19:                              ;   in Loop: Header=BB93_4 Depth=1
	s_or_b64 exec, exec, s[10:11]
	s_and_saveexec_b64 s[10:11], s[2:3]
	s_cbranch_execnz .LBB93_25
.LBB93_20:                              ;   in Loop: Header=BB93_4 Depth=1
	s_or_b64 exec, exec, s[10:11]
	s_and_saveexec_b64 s[2:3], s[6:7]
	s_cbranch_execnz .LBB93_26
.LBB93_21:                              ;   in Loop: Header=BB93_4 Depth=1
	s_or_b64 exec, exec, s[2:3]
	s_and_saveexec_b64 s[2:3], s[8:9]
	s_cbranch_execz .LBB93_3
	s_branch .LBB93_27
.LBB93_22:                              ;   in Loop: Header=BB93_4 Depth=1
	v_mov_b32_e32 v54, s17
	v_add_co_u32_e64 v64, s[10:11], s16, v6
	v_addc_co_u32_e64 v65, s[10:11], v5, v54, s[10:11]
	v_add_co_u32_e64 v66, s[10:11], s16, v8
	v_addc_co_u32_e64 v67, s[10:11], v7, v54, s[10:11]
	global_load_dwordx2 v[54:55], v[64:65], off
	global_load_dwordx2 v[56:57], v[66:67], off
	s_or_b64 exec, exec, s[22:23]
	s_and_saveexec_b64 s[22:23], s[8:9]
	s_cbranch_execz .LBB93_18
.LBB93_23:                              ;   in Loop: Header=BB93_4 Depth=1
	v_mov_b32_e32 v53, s17
	v_add_co_u32_e64 v52, s[10:11], s16, v10
	v_addc_co_u32_e64 v53, s[10:11], v9, v53, s[10:11]
	global_load_dwordx2 v[52:53], v[52:53], off
	s_or_b64 exec, exec, s[22:23]
	s_and_saveexec_b64 s[10:11], vcc
	s_cbranch_execz .LBB93_19
.LBB93_24:                              ;   in Loop: Header=BB93_4 Depth=1
	s_waitcnt vmcnt(0)
	v_fma_f64 v[64:65], v[38:39], v[34:35], v[36:37]
	v_mul_f64 v[34:35], v[38:39], v[34:35]
	v_fmac_f64_e32 v[36:37], s[12:13], v[34:35]
	v_cndmask_b32_e64 v35, v37, v65, s[0:1]
	v_cndmask_b32_e64 v34, v36, v64, s[0:1]
	v_mov_b32_e32 v37, s17
	v_add_co_u32_e32 v36, vcc, s16, v30
	v_addc_co_u32_e32 v37, vcc, v29, v37, vcc
	global_store_dwordx2 v[36:37], v[34:35], off
	s_or_b64 exec, exec, s[10:11]
	s_and_saveexec_b64 s[10:11], s[2:3]
	s_cbranch_execz .LBB93_20
.LBB93_25:                              ;   in Loop: Header=BB93_4 Depth=1
	s_waitcnt vmcnt(0)
	v_mul_f64 v[36:37], v[44:45], v[40:41]
	v_fma_f64 v[34:35], v[44:45], v[40:41], v[42:43]
	v_fmac_f64_e32 v[42:43], s[12:13], v[36:37]
	v_mov_b32_e32 v37, s17
	v_add_co_u32_e32 v36, vcc, s16, v32
	v_cndmask_b32_e64 v35, v43, v35, s[0:1]
	v_cndmask_b32_e64 v34, v42, v34, s[0:1]
	v_addc_co_u32_e32 v37, vcc, v31, v37, vcc
	global_store_dwordx2 v[36:37], v[34:35], off
	s_or_b64 exec, exec, s[10:11]
	s_and_saveexec_b64 s[2:3], s[6:7]
	s_cbranch_execz .LBB93_21
.LBB93_26:                              ;   in Loop: Header=BB93_4 Depth=1
	s_waitcnt vmcnt(0)
	v_mul_f64 v[36:37], v[50:51], v[46:47]
	v_fma_f64 v[34:35], v[50:51], v[46:47], v[48:49]
	v_fmac_f64_e32 v[48:49], s[12:13], v[36:37]
	v_mov_b32_e32 v37, s17
	v_add_co_u32_e32 v36, vcc, s16, v20
	v_cndmask_b32_e64 v35, v49, v35, s[0:1]
	v_cndmask_b32_e64 v34, v48, v34, s[0:1]
	v_addc_co_u32_e32 v37, vcc, v19, v37, vcc
	global_store_dwordx2 v[36:37], v[34:35], off
	s_or_b64 exec, exec, s[2:3]
	s_and_saveexec_b64 s[2:3], s[8:9]
	s_cbranch_execz .LBB93_3
.LBB93_27:                              ;   in Loop: Header=BB93_4 Depth=1
	s_waitcnt vmcnt(0)
	v_mul_f64 v[36:37], v[56:57], v[52:53]
	v_fma_f64 v[34:35], v[56:57], v[52:53], v[54:55]
	v_fmac_f64_e32 v[54:55], s[12:13], v[36:37]
	v_mov_b32_e32 v37, s17
	v_add_co_u32_e32 v36, vcc, s16, v12
	v_cndmask_b32_e64 v35, v55, v35, s[0:1]
	v_cndmask_b32_e64 v34, v54, v34, s[0:1]
	v_addc_co_u32_e32 v37, vcc, v11, v37, vcc
	global_store_dwordx2 v[36:37], v[34:35], off
	s_branch .LBB93_3
.LBB93_28:
	s_mov_b64 s[0:1], 0
.LBB93_29:
	s_andn2_b64 vcc, exec, s[0:1]
	s_cbranch_vccnz .LBB93_33
; %bb.30:
	v_mov_b32_e32 v3, 0
	v_lshlrev_b32_e32 v2, 2, v0
	s_mov_b32 s0, 0
	v_cmp_gt_i64_e32 vcc, s[14:15], v[2:3]
	s_and_saveexec_b64 s[2:3], vcc
	s_cbranch_execz .LBB93_33
; %bb.31:
	s_load_dword s1, s[4:5], 0xd14
	v_cmp_eq_f64_e64 vcc, s[12:13], 1.0
	v_lshlrev_b32_e32 v4, 5, v0
	s_mov_b64 s[6:7], 0
	s_mov_b64 s[8:9], 0xffff
	s_waitcnt lgkmcnt(0)
	s_and_b32 s1, s1, 0xffff
	v_add_lshl_u32 v2, v0, s1, 2
	s_lshl_b32 s10, s1, 2
	s_lshl_b32 s11, s1, 5
	v_mov_b32_e32 v0, s0
.LBB93_32:                              ; =>This Inner Loop Header: Depth=1
	v_mov_b32_e32 v1, s25
	v_add_co_u32_e64 v34, s[4:5], s24, v4
	v_mov_b32_e32 v5, s27
	v_add_co_u32_e64 v30, s[0:1], s26, v4
	;; [unrolled: 2-line block ×3, first 2 shown]
	v_addc_co_u32_e64 v35, s[4:5], 0, v1, s[4:5]
	v_addc_co_u32_e64 v31, s[0:1], 0, v5, s[0:1]
	;; [unrolled: 1-line block ×3, first 2 shown]
	global_load_dwordx4 v[6:9], v[34:35], off
	global_load_dwordx4 v[10:13], v[30:31], off
	;; [unrolled: 1-line block ×3, first 2 shown]
	global_load_dwordx4 v[18:21], v[30:31], off offset:16
	global_load_dwordx4 v[22:25], v[32:33], off offset:16
	;; [unrolled: 1-line block ×3, first 2 shown]
	v_cmp_le_i64_e64 s[0:1], s[14:15], v[2:3]
	v_cmp_lt_u64_e64 s[2:3], s[8:9], v[2:3]
	s_or_b64 s[0:1], s[0:1], s[2:3]
	v_add_co_u32_e64 v2, s[4:5], s10, v2
	s_add_u32 s24, s24, s11
	v_addc_co_u32_e64 v3, s[4:5], v3, v0, s[4:5]
	s_addc_u32 s25, s25, 0
	v_add_co_u32_e64 v30, s[4:5], s30, v4
	s_add_u32 s30, s30, s11
	v_mov_b32_e32 v1, s31
	s_addc_u32 s31, s31, 0
	s_add_u32 s26, s26, s11
	s_addc_u32 s27, s27, 0
	s_add_u32 s28, s28, s11
	s_addc_u32 s29, s29, 0
	s_and_b64 s[0:1], exec, s[0:1]
	v_addc_co_u32_e64 v31, s[4:5], 0, v1, s[4:5]
	s_or_b64 s[6:7], s[0:1], s[6:7]
	s_waitcnt vmcnt(3)
	v_fma_f64 v[32:33], v[10:11], v[14:15], v[6:7]
	v_mul_f64 v[10:11], v[10:11], v[14:15]
	v_fma_f64 v[14:15], v[12:13], v[16:17], v[8:9]
	v_mul_f64 v[12:13], v[12:13], v[16:17]
	s_waitcnt vmcnt(0)
	v_fma_f64 v[16:17], v[18:19], v[22:23], v[26:27]
	v_mul_f64 v[18:19], v[18:19], v[22:23]
	v_fma_f64 v[22:23], v[20:21], v[24:25], v[28:29]
	v_mul_f64 v[20:21], v[20:21], v[24:25]
	v_fmac_f64_e32 v[6:7], s[12:13], v[10:11]
	v_fmac_f64_e32 v[8:9], s[12:13], v[12:13]
	;; [unrolled: 1-line block ×4, first 2 shown]
	v_cndmask_b32_e32 v7, v7, v33, vcc
	v_cndmask_b32_e32 v6, v6, v32, vcc
	;; [unrolled: 1-line block ×8, first 2 shown]
	global_store_dwordx4 v[30:31], v[6:9], off
	global_store_dwordx4 v[30:31], v[10:13], off offset:16
	s_andn2_b64 exec, exec, s[6:7]
	s_cbranch_execnz .LBB93_32
.LBB93_33:
	s_endpgm
	.section	.rodata,"a",@progbits
	.p2align	6, 0x0
	.amdhsa_kernel _ZN2at6native12_GLOBAL__N_125multi_tensor_apply_kernelINS1_28TensorListScalarListMetadataIdLi4EEENS1_28PointwiseOpScalarListFunctorIdLi4ELi3ELi3EEEJSt10multipliesIdEEEEvT_T0_DpT1_
		.amdhsa_group_segment_fixed_size 0
		.amdhsa_private_segment_fixed_size 0
		.amdhsa_kernarg_size 3592
		.amdhsa_user_sgpr_count 6
		.amdhsa_user_sgpr_private_segment_buffer 1
		.amdhsa_user_sgpr_dispatch_ptr 0
		.amdhsa_user_sgpr_queue_ptr 0
		.amdhsa_user_sgpr_kernarg_segment_ptr 1
		.amdhsa_user_sgpr_dispatch_id 0
		.amdhsa_user_sgpr_flat_scratch_init 0
		.amdhsa_user_sgpr_kernarg_preload_length 0
		.amdhsa_user_sgpr_kernarg_preload_offset 0
		.amdhsa_user_sgpr_private_segment_size 0
		.amdhsa_uses_dynamic_stack 0
		.amdhsa_system_sgpr_private_segment_wavefront_offset 0
		.amdhsa_system_sgpr_workgroup_id_x 1
		.amdhsa_system_sgpr_workgroup_id_y 0
		.amdhsa_system_sgpr_workgroup_id_z 0
		.amdhsa_system_sgpr_workgroup_info 0
		.amdhsa_system_vgpr_workitem_id 0
		.amdhsa_next_free_vgpr 68
		.amdhsa_next_free_sgpr 37
		.amdhsa_accum_offset 68
		.amdhsa_reserve_vcc 1
		.amdhsa_reserve_flat_scratch 0
		.amdhsa_float_round_mode_32 0
		.amdhsa_float_round_mode_16_64 0
		.amdhsa_float_denorm_mode_32 3
		.amdhsa_float_denorm_mode_16_64 3
		.amdhsa_dx10_clamp 1
		.amdhsa_ieee_mode 1
		.amdhsa_fp16_overflow 0
		.amdhsa_tg_split 0
		.amdhsa_exception_fp_ieee_invalid_op 0
		.amdhsa_exception_fp_denorm_src 0
		.amdhsa_exception_fp_ieee_div_zero 0
		.amdhsa_exception_fp_ieee_overflow 0
		.amdhsa_exception_fp_ieee_underflow 0
		.amdhsa_exception_fp_ieee_inexact 0
		.amdhsa_exception_int_div_zero 0
	.end_amdhsa_kernel
	.section	.text._ZN2at6native12_GLOBAL__N_125multi_tensor_apply_kernelINS1_28TensorListScalarListMetadataIdLi4EEENS1_28PointwiseOpScalarListFunctorIdLi4ELi3ELi3EEEJSt10multipliesIdEEEEvT_T0_DpT1_,"axG",@progbits,_ZN2at6native12_GLOBAL__N_125multi_tensor_apply_kernelINS1_28TensorListScalarListMetadataIdLi4EEENS1_28PointwiseOpScalarListFunctorIdLi4ELi3ELi3EEEJSt10multipliesIdEEEEvT_T0_DpT1_,comdat
.Lfunc_end93:
	.size	_ZN2at6native12_GLOBAL__N_125multi_tensor_apply_kernelINS1_28TensorListScalarListMetadataIdLi4EEENS1_28PointwiseOpScalarListFunctorIdLi4ELi3ELi3EEEJSt10multipliesIdEEEEvT_T0_DpT1_, .Lfunc_end93-_ZN2at6native12_GLOBAL__N_125multi_tensor_apply_kernelINS1_28TensorListScalarListMetadataIdLi4EEENS1_28PointwiseOpScalarListFunctorIdLi4ELi3ELi3EEEJSt10multipliesIdEEEEvT_T0_DpT1_
                                        ; -- End function
	.section	.AMDGPU.csdata,"",@progbits
; Kernel info:
; codeLenInByte = 2180
; NumSgprs: 41
; NumVgprs: 68
; NumAgprs: 0
; TotalNumVgprs: 68
; ScratchSize: 0
; MemoryBound: 0
; FloatMode: 240
; IeeeMode: 1
; LDSByteSize: 0 bytes/workgroup (compile time only)
; SGPRBlocks: 5
; VGPRBlocks: 8
; NumSGPRsForWavesPerEU: 41
; NumVGPRsForWavesPerEU: 68
; AccumOffset: 68
; Occupancy: 7
; WaveLimiterHint : 1
; COMPUTE_PGM_RSRC2:SCRATCH_EN: 0
; COMPUTE_PGM_RSRC2:USER_SGPR: 6
; COMPUTE_PGM_RSRC2:TRAP_HANDLER: 0
; COMPUTE_PGM_RSRC2:TGID_X_EN: 1
; COMPUTE_PGM_RSRC2:TGID_Y_EN: 0
; COMPUTE_PGM_RSRC2:TGID_Z_EN: 0
; COMPUTE_PGM_RSRC2:TIDIG_COMP_CNT: 0
; COMPUTE_PGM_RSRC3_GFX90A:ACCUM_OFFSET: 16
; COMPUTE_PGM_RSRC3_GFX90A:TG_SPLIT: 0
	.section	.text._ZN2at6native12_GLOBAL__N_125multi_tensor_apply_kernelINS1_28TensorListScalarListMetadataIfLi4EEENS1_28PointwiseOpScalarListFunctorIfLi4ELi3ELi3EEEJSt10multipliesIfEEEEvT_T0_DpT1_,"axG",@progbits,_ZN2at6native12_GLOBAL__N_125multi_tensor_apply_kernelINS1_28TensorListScalarListMetadataIfLi4EEENS1_28PointwiseOpScalarListFunctorIfLi4ELi3ELi3EEEJSt10multipliesIfEEEEvT_T0_DpT1_,comdat
	.globl	_ZN2at6native12_GLOBAL__N_125multi_tensor_apply_kernelINS1_28TensorListScalarListMetadataIfLi4EEENS1_28PointwiseOpScalarListFunctorIfLi4ELi3ELi3EEEJSt10multipliesIfEEEEvT_T0_DpT1_ ; -- Begin function _ZN2at6native12_GLOBAL__N_125multi_tensor_apply_kernelINS1_28TensorListScalarListMetadataIfLi4EEENS1_28PointwiseOpScalarListFunctorIfLi4ELi3ELi3EEEJSt10multipliesIfEEEEvT_T0_DpT1_
	.p2align	8
	.type	_ZN2at6native12_GLOBAL__N_125multi_tensor_apply_kernelINS1_28TensorListScalarListMetadataIfLi4EEENS1_28PointwiseOpScalarListFunctorIfLi4ELi3ELi3EEEJSt10multipliesIfEEEEvT_T0_DpT1_,@function
_ZN2at6native12_GLOBAL__N_125multi_tensor_apply_kernelINS1_28TensorListScalarListMetadataIfLi4EEENS1_28PointwiseOpScalarListFunctorIfLi4ELi3ELi3EEEJSt10multipliesIfEEEEvT_T0_DpT1_: ; @_ZN2at6native12_GLOBAL__N_125multi_tensor_apply_kernelINS1_28TensorListScalarListMetadataIfLi4EEENS1_28PointwiseOpScalarListFunctorIfLi4ELi3ELi3EEEJSt10multipliesIfEEEEvT_T0_DpT1_
; %bb.0:
	v_mov_b32_e32 v1, s6
	global_load_ubyte v1, v1, s[4:5] offset:1584
	s_add_u32 s0, s4, s6
	s_mul_i32 s1, s6, 3
	s_addc_u32 s2, s5, 0
	s_mul_hi_u32 s3, s6, 3
	s_add_u32 s0, s0, s1
	s_addc_u32 s1, s2, s3
	s_load_dword s0, s[0:1], 0x770
	s_mov_b32 s3, 0
	s_waitcnt vmcnt(0)
	v_readfirstlane_b32 s1, v1
	s_lshl_b32 s2, s1, 3
	s_waitcnt lgkmcnt(0)
	s_ashr_i32 s1, s0, 31
	s_load_dwordx2 s[16:17], s[4:5], s2 offset:0x480
	s_load_dwordx2 s[20:21], s[4:5], s2 offset:0x0
	;; [unrolled: 1-line block ×5, first 2 shown]
	s_add_u32 s2, s4, s2
	s_addc_u32 s12, s5, 0
	s_lshl_b64 s[14:15], s[0:1], 18
	s_waitcnt lgkmcnt(0)
	s_add_u32 s24, s20, s14
	v_lshlrev_b32_e32 v1, 2, v1
	s_addc_u32 s25, s21, s15
	s_and_b32 s22, s24, 15
	v_mov_b32_e32 v3, s12
	v_sub_co_u32_e32 v2, vcc, s2, v1
	s_add_u32 s27, s10, s14
	v_subbrev_co_u32_e32 v1, vcc, 0, v3, vcc
	s_addc_u32 s28, s11, s15
	s_and_b32 s2, s27, 15
	v_readfirstlane_b32 s12, v2
	v_readfirstlane_b32 s13, v1
	s_cmp_eq_u64 s[2:3], 0
	s_load_dword s26, s[12:13], 0x5a0
	s_cselect_b64 s[12:13], -1, 0
	s_add_u32 s29, s8, s14
	s_addc_u32 s30, s9, s15
	s_add_u32 s31, s6, s14
	s_addc_u32 s33, s7, s15
	s_or_b32 s2, s31, s29
	s_and_b32 s2, s2, 15
	s_cmp_eq_u32 s2, 0
	s_cselect_b64 s[18:19], -1, 0
	s_lshl_b64 s[0:1], s[0:1], 16
	s_and_b64 s[18:19], s[18:19], s[12:13]
	s_sub_u32 s12, s16, s0
	s_subb_u32 s13, s17, s1
	s_and_b32 s0, s16, 3
	s_or_b32 s2, s22, s0
	s_cmp_eq_u64 s[2:3], 0
	s_cselect_b64 s[0:1], -1, 0
	s_and_b64 s[2:3], s[18:19], s[0:1]
	s_mov_b64 s[0:1], -1
	s_and_b64 vcc, exec, s[2:3]
	s_cbranch_vccnz .LBB94_45
; %bb.1:
	v_cmp_lt_i64_e64 s[0:1], s[12:13], 1
	s_and_b64 vcc, exec, s[0:1]
	s_cbranch_vccnz .LBB94_44
; %bb.2:
	s_load_dword s0, s[4:5], 0xc84
	v_mov_b32_e32 v19, 0
	v_lshlrev_b32_e32 v18, 2, v0
	v_mov_b32_e32 v21, s21
	v_mov_b32_e32 v23, s11
	s_waitcnt lgkmcnt(0)
	s_and_b32 s22, s0, 0xffff
	v_mad_u64_u32 v[16:17], s[2:3], s22, 12, v[18:19]
	v_add_co_u32_e64 v10, s[2:3], s20, v16
	v_addc_co_u32_e64 v5, s[2:3], v21, v17, s[2:3]
	v_add_co_u32_e64 v12, s[2:3], s10, v16
	v_addc_co_u32_e64 v7, s[2:3], v23, v17, s[2:3]
	v_mov_b32_e32 v27, s9
	v_add_co_u32_e64 v14, s[2:3], s8, v16
	v_addc_co_u32_e64 v9, s[2:3], v27, v17, s[2:3]
	v_mov_b32_e32 v2, 0x10000
	v_mov_b32_e32 v31, s7
	v_add_co_u32_e64 v16, s[2:3], s6, v16
	v_mov_b32_e32 v3, 0
	s_mul_i32 s37, s22, 3
	v_addc_co_u32_e64 v11, s[2:3], v31, v17, s[2:3]
	v_cmp_lt_u64_e32 vcc, s[12:13], v[2:3]
	v_add_co_u32_e64 v33, s[2:3], s37, v0
	s_and_b64 s[0:1], vcc, exec
	v_add_co_u32_e32 v2, vcc, s20, v18
	v_addc_co_u32_e64 v34, s[2:3], 0, 0, s[2:3]
	s_cselect_b32 s17, s13, 0
	s_cselect_b32 s16, s12, 0x10000
	v_addc_co_u32_e32 v1, vcc, 0, v21, vcc
	s_lshl_b32 s2, s22, 3
	v_add_co_u32_e32 v4, vcc, s10, v18
	v_add_co_u32_e64 v19, s[2:3], s2, v18
	v_addc_co_u32_e32 v3, vcc, 0, v23, vcc
	v_addc_co_u32_e64 v25, s[2:3], 0, 0, s[2:3]
	v_add_co_u32_e32 v6, vcc, s8, v18
	v_add_co_u32_e64 v8, s[0:1], s6, v18
	v_add_co_u32_e64 v18, s[2:3], s20, v19
	v_addc_co_u32_e64 v13, s[2:3], v21, v25, s[2:3]
	v_add_co_u32_e64 v20, s[2:3], s10, v19
	v_addc_co_u32_e64 v15, s[2:3], v23, v25, s[2:3]
	;; [unrolled: 2-line block ×3, first 2 shown]
	v_add_co_u32_e64 v24, s[2:3], s6, v19
	s_lshl_b32 s23, s22, 1
	v_addc_co_u32_e64 v19, s[2:3], v31, v25, s[2:3]
	v_add_co_u32_e64 v35, s[2:3], s23, v0
	v_addc_co_u32_e64 v36, s[2:3], 0, 0, s[2:3]
	v_add_co_u32_e64 v37, s[2:3], s22, v0
	v_addc_co_u32_e64 v38, s[2:3], 0, 0, s[2:3]
	v_lshlrev_b32_e32 v29, 2, v37
	v_addc_co_u32_e32 v25, vcc, 0, v27, vcc
	v_add_co_u32_e64 v26, s[2:3], s20, v29
	v_add_co_u32_e32 v30, vcc, s8, v29
	v_addc_co_u32_e64 v21, s[2:3], 0, v21, s[2:3]
	v_addc_co_u32_e32 v27, vcc, 0, v27, vcc
	v_add_co_u32_e64 v28, s[2:3], s10, v29
	v_add_co_u32_e32 v32, vcc, s6, v29
	s_mov_b32 s34, 0
	v_cmp_neq_f32_e64 s[18:19], s26, 1.0
	s_lshl_b32 s35, s22, 2
	s_lshl_b32 s36, s22, 4
	s_mov_b64 s[20:21], 0
	v_addc_co_u32_e64 v23, s[2:3], 0, v23, s[2:3]
	v_addc_co_u32_e64 v29, s[0:1], 0, v31, s[0:1]
	v_addc_co_u32_e32 v31, vcc, 0, v31, vcc
	s_branch .LBB94_4
.LBB94_3:                               ;   in Loop: Header=BB94_4 Depth=1
	s_or_b64 exec, exec, s[0:1]
	v_mov_b32_e32 v39, s34
	v_add_co_u32_e64 v2, s[2:3], s36, v2
	v_addc_co_u32_e64 v1, s[2:3], v1, v39, s[2:3]
	v_add_co_u32_e64 v4, s[2:3], s36, v4
	v_addc_co_u32_e64 v3, s[2:3], v3, v39, s[2:3]
	;; [unrolled: 2-line block ×12, first 2 shown]
	v_add_co_u32_e64 v26, s[2:3], s36, v26
	s_add_u32 s20, s20, s35
	v_addc_co_u32_e64 v21, s[2:3], v21, v39, s[2:3]
	s_addc_u32 s21, s21, 0
	s_waitcnt vmcnt(0)
	v_pk_mov_b32 v[40:41], s[12:13], s[12:13] op_sel:[0,1]
	v_add_co_u32_e64 v28, s[2:3], s36, v28
	v_cmp_ge_i64_e32 vcc, s[20:21], v[40:41]
	v_mov_b32_e32 v40, 0xffff
	v_addc_co_u32_e64 v23, s[2:3], v23, v39, s[2:3]
	v_mov_b32_e32 v41, 0
	v_add_co_u32_e64 v30, s[2:3], s36, v30
	v_cmp_gt_u64_e64 s[0:1], s[20:21], v[40:41]
	v_addc_co_u32_e64 v27, s[2:3], v27, v39, s[2:3]
	v_add_co_u32_e64 v32, s[2:3], s36, v32
	s_or_b64 s[0:1], vcc, s[0:1]
	v_addc_co_u32_e64 v31, s[2:3], v31, v39, s[2:3]
	s_and_b64 vcc, exec, s[0:1]
	s_cbranch_vccnz .LBB94_44
.LBB94_4:                               ; =>This Inner Loop Header: Depth=1
	v_mov_b32_e32 v39, s21
	v_add_co_u32_e32 v40, vcc, s20, v0
	v_addc_co_u32_e32 v41, vcc, 0, v39, vcc
	v_cmp_gt_u64_e64 s[0:1], s[16:17], v[40:41]
	v_mov_b32_e32 v40, 0
	v_mov_b32_e32 v41, 0
	s_and_saveexec_b64 s[2:3], s[0:1]
	s_cbranch_execz .LBB94_6
; %bb.5:                                ;   in Loop: Header=BB94_4 Depth=1
	v_mov_b32_e32 v39, s15
	v_add_co_u32_e32 v42, vcc, s14, v2
	v_addc_co_u32_e32 v43, vcc, v1, v39, vcc
	v_add_co_u32_e32 v44, vcc, s14, v4
	v_addc_co_u32_e32 v45, vcc, v3, v39, vcc
	global_load_dword v40, v[42:43], off
	global_load_dword v41, v[44:45], off
.LBB94_6:                               ;   in Loop: Header=BB94_4 Depth=1
	s_or_b64 exec, exec, s[2:3]
	v_mov_b32_e32 v39, 0
	v_mov_b32_e32 v43, 0
	s_and_saveexec_b64 s[2:3], s[0:1]
	s_cbranch_execz .LBB94_8
; %bb.7:                                ;   in Loop: Header=BB94_4 Depth=1
	v_mov_b32_e32 v43, s15
	v_add_co_u32_e32 v42, vcc, s14, v6
	v_addc_co_u32_e32 v43, vcc, v25, v43, vcc
	global_load_dword v43, v[42:43], off
.LBB94_8:                               ;   in Loop: Header=BB94_4 Depth=1
	s_or_b64 exec, exec, s[2:3]
	v_mov_b32_e32 v42, s21
	v_add_co_u32_e32 v44, vcc, s20, v37
	v_addc_co_u32_e32 v45, vcc, v38, v42, vcc
	v_cmp_gt_u64_e64 s[2:3], s[16:17], v[44:45]
	v_mov_b32_e32 v44, 0
	s_and_saveexec_b64 s[6:7], s[2:3]
	s_cbranch_execz .LBB94_10
; %bb.9:                                ;   in Loop: Header=BB94_4 Depth=1
	v_mov_b32_e32 v39, s15
	v_add_co_u32_e32 v46, vcc, s14, v26
	v_addc_co_u32_e32 v47, vcc, v21, v39, vcc
	v_add_co_u32_e32 v48, vcc, s14, v28
	v_addc_co_u32_e32 v49, vcc, v23, v39, vcc
	global_load_dword v39, v[46:47], off
	global_load_dword v44, v[48:49], off
.LBB94_10:                              ;   in Loop: Header=BB94_4 Depth=1
	s_or_b64 exec, exec, s[6:7]
	v_mov_b32_e32 v42, 0
	v_mov_b32_e32 v45, 0
	s_and_saveexec_b64 s[6:7], s[2:3]
	s_cbranch_execz .LBB94_12
; %bb.11:                               ;   in Loop: Header=BB94_4 Depth=1
	v_mov_b32_e32 v45, s15
	v_add_co_u32_e32 v46, vcc, s14, v30
	v_addc_co_u32_e32 v47, vcc, v27, v45, vcc
	global_load_dword v45, v[46:47], off
.LBB94_12:                              ;   in Loop: Header=BB94_4 Depth=1
	s_or_b64 exec, exec, s[6:7]
	v_mov_b32_e32 v47, s21
	v_add_co_u32_e32 v46, vcc, s20, v35
	v_addc_co_u32_e32 v47, vcc, v36, v47, vcc
	v_cmp_gt_u64_e64 s[6:7], s[16:17], v[46:47]
	v_mov_b32_e32 v47, 0
	s_and_saveexec_b64 s[8:9], s[6:7]
	s_cbranch_execz .LBB94_14
; %bb.13:                               ;   in Loop: Header=BB94_4 Depth=1
	v_mov_b32_e32 v42, s15
	v_add_co_u32_e32 v48, vcc, s14, v18
	v_addc_co_u32_e32 v49, vcc, v13, v42, vcc
	v_add_co_u32_e32 v50, vcc, s14, v20
	v_addc_co_u32_e32 v51, vcc, v15, v42, vcc
	global_load_dword v42, v[48:49], off
	global_load_dword v47, v[50:51], off
.LBB94_14:                              ;   in Loop: Header=BB94_4 Depth=1
	s_or_b64 exec, exec, s[8:9]
	v_mov_b32_e32 v46, 0
	v_mov_b32_e32 v48, 0
	s_and_saveexec_b64 s[8:9], s[6:7]
	s_cbranch_execz .LBB94_16
; %bb.15:                               ;   in Loop: Header=BB94_4 Depth=1
	v_mov_b32_e32 v49, s15
	v_add_co_u32_e32 v48, vcc, s14, v22
	v_addc_co_u32_e32 v49, vcc, v17, v49, vcc
	global_load_dword v48, v[48:49], off
.LBB94_16:                              ;   in Loop: Header=BB94_4 Depth=1
	s_or_b64 exec, exec, s[8:9]
	v_mov_b32_e32 v49, s21
	v_add_co_u32_e32 v50, vcc, s20, v33
	v_addc_co_u32_e32 v51, vcc, v34, v49, vcc
	v_cmp_gt_u64_e64 s[8:9], s[16:17], v[50:51]
	v_mov_b32_e32 v49, 0
	s_and_saveexec_b64 s[10:11], s[8:9]
	s_cbranch_execnz .LBB94_34
; %bb.17:                               ;   in Loop: Header=BB94_4 Depth=1
	s_or_b64 exec, exec, s[10:11]
	v_mov_b32_e32 v50, 0
	s_and_saveexec_b64 s[10:11], s[8:9]
	s_cbranch_execnz .LBB94_35
.LBB94_18:                              ;   in Loop: Header=BB94_4 Depth=1
	s_or_b64 exec, exec, s[10:11]
	s_and_b64 vcc, exec, s[18:19]
	s_cbranch_vccz .LBB94_36
.LBB94_19:                              ;   in Loop: Header=BB94_4 Depth=1
	s_waitcnt vmcnt(0)
	v_mul_f32_e32 v51, v41, v43
	v_fma_f32 v51, s26, v51, v40
	s_cbranch_execnz .LBB94_21
.LBB94_20:                              ;   in Loop: Header=BB94_4 Depth=1
	s_waitcnt vmcnt(0)
	v_fmac_f32_e32 v40, v41, v43
	v_mov_b32_e32 v51, v40
.LBB94_21:                              ;   in Loop: Header=BB94_4 Depth=1
	s_waitcnt vmcnt(1)
	v_cndmask_b32_e64 v40, 0, 1, s[18:19]
	v_cmp_ne_u32_e64 s[10:11], 1, v40
	s_andn2_b64 vcc, exec, s[18:19]
	s_cbranch_vccnz .LBB94_41
; %bb.22:                               ;   in Loop: Header=BB94_4 Depth=1
	s_waitcnt vmcnt(0)
	v_mul_f32_e32 v40, v44, v45
	v_fma_f32 v40, s26, v40, v39
	s_cbranch_execnz .LBB94_24
.LBB94_23:                              ;   in Loop: Header=BB94_4 Depth=1
	s_waitcnt vmcnt(0)
	v_fmac_f32_e32 v39, v44, v45
	v_mov_b32_e32 v40, v39
.LBB94_24:                              ;   in Loop: Header=BB94_4 Depth=1
	s_and_b64 vcc, exec, s[10:11]
	s_cbranch_vccnz .LBB94_42
; %bb.25:                               ;   in Loop: Header=BB94_4 Depth=1
	s_waitcnt vmcnt(0)
	v_mul_f32_e32 v39, v47, v48
	v_fma_f32 v39, s26, v39, v42
	s_cbranch_execnz .LBB94_27
.LBB94_26:                              ;   in Loop: Header=BB94_4 Depth=1
	s_waitcnt vmcnt(0)
	v_fmac_f32_e32 v42, v47, v48
	v_mov_b32_e32 v39, v42
.LBB94_27:                              ;   in Loop: Header=BB94_4 Depth=1
	s_and_b64 vcc, exec, s[10:11]
	s_cbranch_vccnz .LBB94_43
; %bb.28:                               ;   in Loop: Header=BB94_4 Depth=1
	s_waitcnt vmcnt(0)
	v_mul_f32_e32 v41, v49, v50
	v_fma_f32 v41, s26, v41, v46
	s_cbranch_execnz .LBB94_30
.LBB94_29:                              ;   in Loop: Header=BB94_4 Depth=1
	s_waitcnt vmcnt(0)
	v_fmac_f32_e32 v46, v49, v50
	v_mov_b32_e32 v41, v46
.LBB94_30:                              ;   in Loop: Header=BB94_4 Depth=1
	s_and_saveexec_b64 s[10:11], s[0:1]
	s_xor_b64 s[0:1], exec, s[10:11]
	s_cbranch_execnz .LBB94_37
; %bb.31:                               ;   in Loop: Header=BB94_4 Depth=1
	s_or_b64 exec, exec, s[0:1]
	s_and_saveexec_b64 s[0:1], s[2:3]
	s_cbranch_execnz .LBB94_38
.LBB94_32:                              ;   in Loop: Header=BB94_4 Depth=1
	s_or_b64 exec, exec, s[0:1]
	s_and_saveexec_b64 s[0:1], s[6:7]
	s_cbranch_execnz .LBB94_39
.LBB94_33:                              ;   in Loop: Header=BB94_4 Depth=1
	s_or_b64 exec, exec, s[0:1]
	s_and_saveexec_b64 s[0:1], s[8:9]
	s_cbranch_execz .LBB94_3
	s_branch .LBB94_40
.LBB94_34:                              ;   in Loop: Header=BB94_4 Depth=1
	v_mov_b32_e32 v46, s15
	v_add_co_u32_e32 v50, vcc, s14, v10
	v_addc_co_u32_e32 v51, vcc, v5, v46, vcc
	v_add_co_u32_e32 v52, vcc, s14, v12
	v_addc_co_u32_e32 v53, vcc, v7, v46, vcc
	global_load_dword v46, v[50:51], off
	global_load_dword v49, v[52:53], off
	s_or_b64 exec, exec, s[10:11]
	v_mov_b32_e32 v50, 0
	s_and_saveexec_b64 s[10:11], s[8:9]
	s_cbranch_execz .LBB94_18
.LBB94_35:                              ;   in Loop: Header=BB94_4 Depth=1
	v_mov_b32_e32 v51, s15
	v_add_co_u32_e32 v50, vcc, s14, v14
	v_addc_co_u32_e32 v51, vcc, v9, v51, vcc
	global_load_dword v50, v[50:51], off
	s_or_b64 exec, exec, s[10:11]
	s_and_b64 vcc, exec, s[18:19]
	s_cbranch_vccnz .LBB94_19
.LBB94_36:                              ;   in Loop: Header=BB94_4 Depth=1
                                        ; implicit-def: $vgpr51
	s_branch .LBB94_20
.LBB94_37:                              ;   in Loop: Header=BB94_4 Depth=1
	s_waitcnt vmcnt(0)
	v_mov_b32_e32 v43, s15
	v_add_co_u32_e32 v42, vcc, s14, v8
	v_addc_co_u32_e32 v43, vcc, v29, v43, vcc
	global_store_dword v[42:43], v51, off
	s_or_b64 exec, exec, s[0:1]
	s_and_saveexec_b64 s[0:1], s[2:3]
	s_cbranch_execz .LBB94_32
.LBB94_38:                              ;   in Loop: Header=BB94_4 Depth=1
	s_waitcnt vmcnt(0)
	v_mov_b32_e32 v43, s15
	v_add_co_u32_e32 v42, vcc, s14, v32
	v_addc_co_u32_e32 v43, vcc, v31, v43, vcc
	global_store_dword v[42:43], v40, off
	s_or_b64 exec, exec, s[0:1]
	s_and_saveexec_b64 s[0:1], s[6:7]
	s_cbranch_execz .LBB94_33
.LBB94_39:                              ;   in Loop: Header=BB94_4 Depth=1
	v_mov_b32_e32 v40, s15
	v_add_co_u32_e32 v42, vcc, s14, v24
	s_waitcnt vmcnt(0)
	v_addc_co_u32_e32 v43, vcc, v19, v40, vcc
	global_store_dword v[42:43], v39, off
	s_or_b64 exec, exec, s[0:1]
	s_and_saveexec_b64 s[0:1], s[8:9]
	s_cbranch_execz .LBB94_3
.LBB94_40:                              ;   in Loop: Header=BB94_4 Depth=1
	v_mov_b32_e32 v39, s15
	v_add_co_u32_e32 v42, vcc, s14, v16
	s_waitcnt vmcnt(0)
	v_addc_co_u32_e32 v43, vcc, v11, v39, vcc
	global_store_dword v[42:43], v41, off
	s_branch .LBB94_3
.LBB94_41:                              ;   in Loop: Header=BB94_4 Depth=1
                                        ; implicit-def: $vgpr40
	s_branch .LBB94_23
.LBB94_42:                              ;   in Loop: Header=BB94_4 Depth=1
                                        ; implicit-def: $vgpr39
	s_branch .LBB94_26
.LBB94_43:                              ;   in Loop: Header=BB94_4 Depth=1
                                        ; implicit-def: $vgpr41
	s_branch .LBB94_29
.LBB94_44:
	s_mov_b64 s[0:1], 0
.LBB94_45:
	s_andn2_b64 vcc, exec, s[0:1]
	s_cbranch_vccnz .LBB94_65
; %bb.46:
	v_mov_b32_e32 v15, 0
	v_lshlrev_b32_e32 v14, 2, v0
	s_mov_b32 s2, 0
	v_cmp_gt_i64_e32 vcc, s[12:13], v[14:15]
	s_and_saveexec_b64 s[0:1], vcc
	s_cbranch_execz .LBB94_65
; %bb.47:
	s_load_dword s0, s[4:5], 0xc84
	s_waitcnt lgkmcnt(0)
	v_cmp_neq_f32_e64 s[6:7], s26, 1.0
	v_lshlrev_b32_e32 v16, 4, v0
	s_mov_b64 s[4:5], 0
	s_mov_b64 s[8:9], 0xffff
	s_and_b32 s0, s0, 0xffff
	v_add_lshl_u32 v14, v0, s0, 2
	v_cndmask_b32_e64 v0, 0, 1, s[6:7]
	s_lshl_b32 s10, s0, 2
	s_lshl_b32 s11, s0, 4
	v_cmp_ne_u32_e64 s[0:1], 1, v0
	v_mov_b32_e32 v17, s2
	s_branch .LBB94_49
.LBB94_48:                              ;   in Loop: Header=BB94_49 Depth=1
	s_waitcnt vmcnt(2)
	v_mov_b32_e32 v1, s33
	v_add_co_u32_e32 v0, vcc, s31, v16
	v_addc_co_u32_e32 v1, vcc, 0, v1, vcc
	v_cmp_le_i64_e32 vcc, s[12:13], v[14:15]
	v_cmp_lt_u64_e64 s[2:3], s[8:9], v[14:15]
	s_or_b64 s[2:3], vcc, s[2:3]
	s_add_u32 s24, s24, s11
	s_addc_u32 s25, s25, 0
	s_add_u32 s31, s31, s11
	s_addc_u32 s33, s33, 0
	;; [unrolled: 2-line block ×4, first 2 shown]
	s_and_b64 s[2:3], exec, s[2:3]
	v_add_co_u32_e32 v14, vcc, s10, v14
	s_or_b64 s[4:5], s[2:3], s[4:5]
	v_addc_co_u32_e32 v15, vcc, v15, v17, vcc
	s_waitcnt vmcnt(0)
	global_store_dwordx4 v[0:1], v[8:11], off
	s_andn2_b64 exec, exec, s[4:5]
	s_cbranch_execz .LBB94_65
.LBB94_49:                              ; =>This Inner Loop Header: Depth=1
	v_mov_b32_e32 v1, s25
	v_add_co_u32_e32 v0, vcc, s24, v16
	v_addc_co_u32_e32 v1, vcc, 0, v1, vcc
	v_mov_b32_e32 v5, s28
	v_add_co_u32_e32 v4, vcc, s27, v16
	v_addc_co_u32_e32 v5, vcc, 0, v5, vcc
	;; [unrolled: 3-line block ×3, first 2 shown]
	global_load_dwordx4 v[0:3], v[0:1], off
	s_and_b64 vcc, exec, s[6:7]
	global_load_dwordx4 v[4:7], v[4:5], off
	s_nop 0
	global_load_dwordx4 v[10:13], v[8:9], off
	s_cbranch_vccz .LBB94_60
; %bb.50:                               ;   in Loop: Header=BB94_49 Depth=1
	s_waitcnt vmcnt(0)
	v_mul_f32_e32 v8, v4, v10
	v_fma_f32 v8, s26, v8, v0
	s_cbranch_execnz .LBB94_52
.LBB94_51:                              ;   in Loop: Header=BB94_49 Depth=1
	s_waitcnt vmcnt(0)
	v_fma_f32 v8, v4, v10, v0
.LBB94_52:                              ;   in Loop: Header=BB94_49 Depth=1
	s_and_b64 vcc, exec, s[0:1]
	s_cbranch_vccnz .LBB94_61
; %bb.53:                               ;   in Loop: Header=BB94_49 Depth=1
	s_waitcnt vmcnt(0)
	v_mul_f32_e32 v0, v5, v11
	v_fma_f32 v9, s26, v0, v1
	s_cbranch_execnz .LBB94_55
.LBB94_54:                              ;   in Loop: Header=BB94_49 Depth=1
	s_waitcnt vmcnt(0)
	v_fma_f32 v9, v5, v11, v1
.LBB94_55:                              ;   in Loop: Header=BB94_49 Depth=1
	s_and_b64 vcc, exec, s[0:1]
	s_cbranch_vccnz .LBB94_62
; %bb.56:                               ;   in Loop: Header=BB94_49 Depth=1
	s_waitcnt vmcnt(0)
	v_mul_f32_e32 v0, v6, v12
	v_fma_f32 v10, s26, v0, v2
	s_cbranch_execnz .LBB94_58
.LBB94_57:                              ;   in Loop: Header=BB94_49 Depth=1
	s_waitcnt vmcnt(0)
	v_fma_f32 v10, v6, v12, v2
.LBB94_58:                              ;   in Loop: Header=BB94_49 Depth=1
	s_and_b64 vcc, exec, s[0:1]
	s_cbranch_vccnz .LBB94_63
; %bb.59:                               ;   in Loop: Header=BB94_49 Depth=1
	s_waitcnt vmcnt(0)
	v_mul_f32_e32 v0, v7, v13
	v_fma_f32 v11, s26, v0, v3
	s_cbranch_execnz .LBB94_48
	s_branch .LBB94_64
.LBB94_60:                              ;   in Loop: Header=BB94_49 Depth=1
                                        ; implicit-def: $vgpr8
	s_branch .LBB94_51
.LBB94_61:                              ;   in Loop: Header=BB94_49 Depth=1
	s_branch .LBB94_54
.LBB94_62:                              ;   in Loop: Header=BB94_49 Depth=1
	s_branch .LBB94_57
.LBB94_63:                              ;   in Loop: Header=BB94_49 Depth=1
.LBB94_64:                              ;   in Loop: Header=BB94_49 Depth=1
	s_waitcnt vmcnt(0)
	v_fmac_f32_e32 v3, v7, v13
	v_mov_b32_e32 v11, v3
	s_branch .LBB94_48
.LBB94_65:
	s_endpgm
	.section	.rodata,"a",@progbits
	.p2align	6, 0x0
	.amdhsa_kernel _ZN2at6native12_GLOBAL__N_125multi_tensor_apply_kernelINS1_28TensorListScalarListMetadataIfLi4EEENS1_28PointwiseOpScalarListFunctorIfLi4ELi3ELi3EEEJSt10multipliesIfEEEEvT_T0_DpT1_
		.amdhsa_group_segment_fixed_size 0
		.amdhsa_private_segment_fixed_size 0
		.amdhsa_kernarg_size 3448
		.amdhsa_user_sgpr_count 6
		.amdhsa_user_sgpr_private_segment_buffer 1
		.amdhsa_user_sgpr_dispatch_ptr 0
		.amdhsa_user_sgpr_queue_ptr 0
		.amdhsa_user_sgpr_kernarg_segment_ptr 1
		.amdhsa_user_sgpr_dispatch_id 0
		.amdhsa_user_sgpr_flat_scratch_init 0
		.amdhsa_user_sgpr_kernarg_preload_length 0
		.amdhsa_user_sgpr_kernarg_preload_offset 0
		.amdhsa_user_sgpr_private_segment_size 0
		.amdhsa_uses_dynamic_stack 0
		.amdhsa_system_sgpr_private_segment_wavefront_offset 0
		.amdhsa_system_sgpr_workgroup_id_x 1
		.amdhsa_system_sgpr_workgroup_id_y 0
		.amdhsa_system_sgpr_workgroup_id_z 0
		.amdhsa_system_sgpr_workgroup_info 0
		.amdhsa_system_vgpr_workitem_id 0
		.amdhsa_next_free_vgpr 54
		.amdhsa_next_free_sgpr 38
		.amdhsa_accum_offset 56
		.amdhsa_reserve_vcc 1
		.amdhsa_reserve_flat_scratch 0
		.amdhsa_float_round_mode_32 0
		.amdhsa_float_round_mode_16_64 0
		.amdhsa_float_denorm_mode_32 3
		.amdhsa_float_denorm_mode_16_64 3
		.amdhsa_dx10_clamp 1
		.amdhsa_ieee_mode 1
		.amdhsa_fp16_overflow 0
		.amdhsa_tg_split 0
		.amdhsa_exception_fp_ieee_invalid_op 0
		.amdhsa_exception_fp_denorm_src 0
		.amdhsa_exception_fp_ieee_div_zero 0
		.amdhsa_exception_fp_ieee_overflow 0
		.amdhsa_exception_fp_ieee_underflow 0
		.amdhsa_exception_fp_ieee_inexact 0
		.amdhsa_exception_int_div_zero 0
	.end_amdhsa_kernel
	.section	.text._ZN2at6native12_GLOBAL__N_125multi_tensor_apply_kernelINS1_28TensorListScalarListMetadataIfLi4EEENS1_28PointwiseOpScalarListFunctorIfLi4ELi3ELi3EEEJSt10multipliesIfEEEEvT_T0_DpT1_,"axG",@progbits,_ZN2at6native12_GLOBAL__N_125multi_tensor_apply_kernelINS1_28TensorListScalarListMetadataIfLi4EEENS1_28PointwiseOpScalarListFunctorIfLi4ELi3ELi3EEEJSt10multipliesIfEEEEvT_T0_DpT1_,comdat
.Lfunc_end94:
	.size	_ZN2at6native12_GLOBAL__N_125multi_tensor_apply_kernelINS1_28TensorListScalarListMetadataIfLi4EEENS1_28PointwiseOpScalarListFunctorIfLi4ELi3ELi3EEEJSt10multipliesIfEEEEvT_T0_DpT1_, .Lfunc_end94-_ZN2at6native12_GLOBAL__N_125multi_tensor_apply_kernelINS1_28TensorListScalarListMetadataIfLi4EEENS1_28PointwiseOpScalarListFunctorIfLi4ELi3ELi3EEEJSt10multipliesIfEEEEvT_T0_DpT1_
                                        ; -- End function
	.section	.AMDGPU.csdata,"",@progbits
; Kernel info:
; codeLenInByte = 2340
; NumSgprs: 42
; NumVgprs: 54
; NumAgprs: 0
; TotalNumVgprs: 54
; ScratchSize: 0
; MemoryBound: 1
; FloatMode: 240
; IeeeMode: 1
; LDSByteSize: 0 bytes/workgroup (compile time only)
; SGPRBlocks: 5
; VGPRBlocks: 6
; NumSGPRsForWavesPerEU: 42
; NumVGPRsForWavesPerEU: 54
; AccumOffset: 56
; Occupancy: 8
; WaveLimiterHint : 0
; COMPUTE_PGM_RSRC2:SCRATCH_EN: 0
; COMPUTE_PGM_RSRC2:USER_SGPR: 6
; COMPUTE_PGM_RSRC2:TRAP_HANDLER: 0
; COMPUTE_PGM_RSRC2:TGID_X_EN: 1
; COMPUTE_PGM_RSRC2:TGID_Y_EN: 0
; COMPUTE_PGM_RSRC2:TGID_Z_EN: 0
; COMPUTE_PGM_RSRC2:TIDIG_COMP_CNT: 0
; COMPUTE_PGM_RSRC3_GFX90A:ACCUM_OFFSET: 13
; COMPUTE_PGM_RSRC3_GFX90A:TG_SPLIT: 0
	.section	.text._ZN2at6native12_GLOBAL__N_125multi_tensor_apply_kernelINS1_28TensorListScalarListMetadataIN3c107complexIdEELi4EEENS1_28PointwiseOpScalarListFunctorIS6_Li4ELi3ELi3EEEJSt10multipliesIS6_EEEEvT_T0_DpT1_,"axG",@progbits,_ZN2at6native12_GLOBAL__N_125multi_tensor_apply_kernelINS1_28TensorListScalarListMetadataIN3c107complexIdEELi4EEENS1_28PointwiseOpScalarListFunctorIS6_Li4ELi3ELi3EEEJSt10multipliesIS6_EEEEvT_T0_DpT1_,comdat
	.globl	_ZN2at6native12_GLOBAL__N_125multi_tensor_apply_kernelINS1_28TensorListScalarListMetadataIN3c107complexIdEELi4EEENS1_28PointwiseOpScalarListFunctorIS6_Li4ELi3ELi3EEEJSt10multipliesIS6_EEEEvT_T0_DpT1_ ; -- Begin function _ZN2at6native12_GLOBAL__N_125multi_tensor_apply_kernelINS1_28TensorListScalarListMetadataIN3c107complexIdEELi4EEENS1_28PointwiseOpScalarListFunctorIS6_Li4ELi3ELi3EEEJSt10multipliesIS6_EEEEvT_T0_DpT1_
	.p2align	8
	.type	_ZN2at6native12_GLOBAL__N_125multi_tensor_apply_kernelINS1_28TensorListScalarListMetadataIN3c107complexIdEELi4EEENS1_28PointwiseOpScalarListFunctorIS6_Li4ELi3ELi3EEEJSt10multipliesIS6_EEEEvT_T0_DpT1_,@function
_ZN2at6native12_GLOBAL__N_125multi_tensor_apply_kernelINS1_28TensorListScalarListMetadataIN3c107complexIdEELi4EEENS1_28PointwiseOpScalarListFunctorIS6_Li4ELi3ELi3EEEJSt10multipliesIS6_EEEEvT_T0_DpT1_: ; @_ZN2at6native12_GLOBAL__N_125multi_tensor_apply_kernelINS1_28TensorListScalarListMetadataIN3c107complexIdEELi4EEENS1_28PointwiseOpScalarListFunctorIS6_Li4ELi3ELi3EEEJSt10multipliesIS6_EEEEvT_T0_DpT1_
; %bb.0:
	v_mov_b32_e32 v1, s6
	global_load_ubyte v1, v1, s[4:5] offset:2016
	s_add_u32 s0, s4, s6
	s_mul_i32 s1, s6, 3
	s_addc_u32 s2, s5, 0
	s_mul_hi_u32 s3, s6, 3
	s_add_u32 s0, s0, s1
	s_addc_u32 s1, s2, s3
	s_load_dword s0, s[0:1], 0x920
	s_mov_b32 s21, 0
	s_waitcnt vmcnt(0)
	v_readfirstlane_b32 s1, v1
	s_lshl_b32 s14, s1, 3
	s_waitcnt lgkmcnt(0)
	s_ashr_i32 s1, s0, 31
	s_load_dwordx2 s[22:23], s[4:5], s14 offset:0x480
	s_load_dwordx2 s[6:7], s[4:5], s14 offset:0x0
	;; [unrolled: 1-line block ×5, first 2 shown]
	s_add_u32 s12, s4, s14
	s_addc_u32 s13, s5, 0
	s_lshl_b64 s[18:19], s[0:1], 20
	s_waitcnt lgkmcnt(0)
	s_add_u32 s28, s6, s18
	s_addc_u32 s29, s7, s19
	s_add_u32 s30, s2, s18
	s_addc_u32 s31, s3, s19
	s_and_b32 s20, s30, 63
	s_add_u32 s33, s8, s18
	s_addc_u32 s34, s9, s19
	s_add_u32 s35, s10, s18
	s_addc_u32 s36, s11, s19
	s_or_b32 s16, s35, s33
	s_and_b32 s16, s16, 63
	s_cmp_eq_u32 s16, 0
	s_cselect_b64 s[16:17], -1, 0
	s_and_b32 s26, s28, 63
	s_cmp_eq_u64 s[20:21], 0
	s_cselect_b64 s[24:25], -1, 0
	s_lshl_b64 s[0:1], s[0:1], 16
	s_and_b64 s[24:25], s[16:17], s[24:25]
	s_sub_u32 s16, s22, s0
	s_subb_u32 s17, s23, s1
	s_and_b32 s0, s22, 3
	s_load_dwordx4 s[12:15], s[12:13], s14 offset:0x5a0
	s_or_b32 s20, s26, s0
	s_cmp_eq_u64 s[20:21], 0
	s_cselect_b64 s[0:1], -1, 0
	s_and_b64 s[20:21], s[24:25], s[0:1]
	s_mov_b64 s[0:1], -1
	s_and_b64 vcc, exec, s[20:21]
	s_cbranch_vccnz .LBB95_29
; %bb.1:
	v_cmp_lt_i64_e64 s[0:1], s[16:17], 1
	s_and_b64 vcc, exec, s[0:1]
	s_cbranch_vccnz .LBB95_28
; %bb.2:
	s_load_dword s0, s[4:5], 0xe34
	v_mov_b32_e32 v2, 0x10000
	v_mov_b32_e32 v3, 0
	v_lshlrev_b32_e32 v6, 4, v0
	v_cmp_lt_u64_e32 vcc, s[16:17], v[2:3]
	s_waitcnt lgkmcnt(0)
	s_and_b32 s38, s0, 0xffff
	v_or_b32_e32 v2, 8, v6
	s_and_b64 s[0:1], vcc, exec
	v_mov_b32_e32 v8, s7
	v_add_co_u32_e32 v50, vcc, s6, v2
	v_addc_co_u32_e32 v51, vcc, 0, v8, vcc
	v_add_lshl_u32 v9, v0, s38, 4
	v_mov_b32_e32 v10, s11
	v_add_co_u32_e32 v52, vcc, s10, v9
	v_addc_co_u32_e32 v53, vcc, 0, v10, vcc
	v_mov_b32_e32 v11, s9
	v_add_co_u32_e32 v54, vcc, s8, v2
	v_addc_co_u32_e32 v55, vcc, 0, v11, vcc
	v_add_co_u32_e32 v56, vcc, s8, v9
	v_addc_co_u32_e32 v57, vcc, 0, v11, vcc
	v_add_co_u32_e32 v58, vcc, s10, v2
	v_mov_b32_e32 v1, 0
	v_addc_co_u32_e32 v59, vcc, 0, v10, vcc
	v_mov_b32_e32 v3, v1
	v_add_co_u32_e32 v60, vcc, s6, v9
	v_addc_co_u32_e32 v61, vcc, 0, v8, vcc
	v_mad_u64_u32 v[4:5], s[24:25], s38, 48, v[2:3]
	v_mov_b32_e32 v7, s3
	v_add_co_u32_e32 v62, vcc, s2, v4
	v_addc_co_u32_e32 v63, vcc, v7, v5, vcc
	v_add_co_u32_e32 v64, vcc, s6, v4
	v_addc_co_u32_e32 v65, vcc, v8, v5, vcc
	v_add_co_u32_e32 v66, vcc, s8, v4
	s_cselect_b32 s21, s17, 0
	s_cselect_b32 s20, s16, 0x10000
	v_addc_co_u32_e32 v67, vcc, v11, v5, vcc
	s_lshl_b32 s3, s38, 5
	v_add_co_u32_e32 v3, vcc, s3, v6
	v_addc_co_u32_e64 v6, s[24:25], 0, 0, vcc
	v_add_co_u32_e32 v68, vcc, s10, v3
	v_addc_co_u32_e32 v69, vcc, v10, v6, vcc
	v_add_co_u32_e32 v70, vcc, s10, v4
	v_addc_co_u32_e32 v71, vcc, v10, v5, vcc
	;; [unrolled: 2-line block ×3, first 2 shown]
	v_or_b32_e32 v3, 8, v3
	v_add_co_u32_e32 v74, vcc, s6, v3
	v_addc_co_u32_e32 v75, vcc, v8, v6, vcc
	v_add_co_u32_e32 v76, vcc, s2, v3
	v_addc_co_u32_e32 v77, vcc, v7, v6, vcc
	v_add_co_u32_e32 v78, vcc, s2, v2
	s_mov_b32 s37, 0
	v_cmp_eq_f64_e64 s[0:1], s[12:13], 1.0
	v_cmp_eq_f64_e64 s[22:23], s[14:15], 0
	v_addc_co_u32_e32 v79, vcc, 0, v7, vcc
	s_and_b64 s[0:1], s[0:1], s[22:23]
	s_lshl_b32 s22, s38, 2
	s_mov_b32 s23, s37
	v_add_co_u32_e32 v80, vcc, s2, v9
	s_lshl_b32 s39, s38, 1
	s_mov_b32 s40, s37
	s_mul_i32 s41, s38, 3
	s_mov_b32 s42, s37
	s_lshl_b32 s43, s38, 6
	s_mov_b32 s44, s37
	s_mov_b64 s[24:25], s[22:23]
	v_addc_co_u32_e32 v81, vcc, 0, v7, vcc
	v_pk_mov_b32 v[82:83], v[0:1], v[0:1] op_sel:[0,1]
	s_branch .LBB95_4
.LBB95_3:                               ;   in Loop: Header=BB95_4 Depth=1
	s_or_b64 exec, exec, s[2:3]
	s_waitcnt vmcnt(1)
	v_pk_mov_b32 v[2:3], s[16:17], s[16:17] op_sel:[0,1]
	v_cmp_lt_i64_e32 vcc, s[24:25], v[2:3]
	v_mov_b32_e32 v2, 0x10000
	v_mov_b32_e32 v3, 0
	v_cmp_lt_u64_e64 s[2:3], s[24:25], v[2:3]
	s_and_b64 s[2:3], vcc, s[2:3]
	v_mov_b32_e32 v1, s23
	v_add_co_u32_e32 v82, vcc, s22, v82
	v_addc_co_u32_e32 v83, vcc, v83, v1, vcc
	v_mov_b32_e32 v1, s44
	v_add_co_u32_e32 v78, vcc, s43, v78
	v_addc_co_u32_e32 v79, vcc, v79, v1, vcc
	v_add_co_u32_e32 v50, vcc, s43, v50
	v_addc_co_u32_e32 v51, vcc, v51, v1, vcc
	;; [unrolled: 2-line block ×15, first 2 shown]
	v_add_co_u32_e32 v74, vcc, s43, v74
	s_add_u32 s24, s24, s22
	v_addc_co_u32_e32 v75, vcc, v75, v1, vcc
	s_addc_u32 s25, s25, 0
	s_and_b64 vcc, exec, s[2:3]
	s_cbranch_vccz .LBB95_28
.LBB95_4:                               ; =>This Inner Loop Header: Depth=1
	s_waitcnt vmcnt(0)
	v_pk_mov_b32 v[8:9], 0, 0
	v_cmp_gt_u64_e32 vcc, s[20:21], v[82:83]
	v_pk_mov_b32 v[12:13], v[8:9], v[8:9] op_sel:[0,1]
	v_pk_mov_b32 v[10:11], v[8:9], v[8:9] op_sel:[0,1]
	v_pk_mov_b32 v[4:5], v[8:9], v[8:9] op_sel:[0,1]
	v_pk_mov_b32 v[2:3], v[8:9], v[8:9] op_sel:[0,1]
	s_and_saveexec_b64 s[6:7], vcc
	s_cbranch_execz .LBB95_6
; %bb.5:                                ;   in Loop: Header=BB95_4 Depth=1
	v_mov_b32_e32 v1, s19
	v_add_co_u32_e64 v6, s[2:3], s18, v78
	v_addc_co_u32_e64 v7, s[2:3], v79, v1, s[2:3]
	v_add_co_u32_e64 v14, s[2:3], s18, v50
	v_addc_co_u32_e64 v15, s[2:3], v51, v1, s[2:3]
	global_load_dwordx4 v[2:5], v[14:15], off offset:-8
	global_load_dwordx4 v[10:13], v[6:7], off offset:-8
.LBB95_6:                               ;   in Loop: Header=BB95_4 Depth=1
	s_or_b64 exec, exec, s[6:7]
	v_pk_mov_b32 v[6:7], v[8:9], v[8:9] op_sel:[0,1]
	s_and_saveexec_b64 s[6:7], vcc
	s_cbranch_execz .LBB95_8
; %bb.7:                                ;   in Loop: Header=BB95_4 Depth=1
	v_mov_b32_e32 v1, s19
	v_add_co_u32_e64 v6, s[2:3], s18, v54
	v_addc_co_u32_e64 v7, s[2:3], v55, v1, s[2:3]
	global_load_dwordx4 v[6:9], v[6:7], off offset:-8
.LBB95_8:                               ;   in Loop: Header=BB95_4 Depth=1
	s_or_b64 exec, exec, s[6:7]
	v_mov_b32_e32 v1, s37
	v_add_co_u32_e64 v14, s[2:3], s38, v82
	v_addc_co_u32_e64 v15, s[2:3], v1, v83, s[2:3]
	v_pk_mov_b32 v[20:21], 0, 0
	v_cmp_gt_u64_e64 s[2:3], s[20:21], v[14:15]
	v_pk_mov_b32 v[24:25], v[20:21], v[20:21] op_sel:[0,1]
	v_pk_mov_b32 v[22:23], v[20:21], v[20:21] op_sel:[0,1]
	;; [unrolled: 1-line block ×4, first 2 shown]
	s_and_saveexec_b64 s[8:9], s[2:3]
	s_cbranch_execz .LBB95_10
; %bb.9:                                ;   in Loop: Header=BB95_4 Depth=1
	v_mov_b32_e32 v1, s19
	v_add_co_u32_e64 v18, s[6:7], s18, v80
	v_addc_co_u32_e64 v19, s[6:7], v81, v1, s[6:7]
	v_add_co_u32_e64 v26, s[6:7], s18, v60
	v_addc_co_u32_e64 v27, s[6:7], v61, v1, s[6:7]
	global_load_dwordx4 v[14:17], v[26:27], off
	global_load_dwordx4 v[22:25], v[18:19], off
.LBB95_10:                              ;   in Loop: Header=BB95_4 Depth=1
	s_or_b64 exec, exec, s[8:9]
	v_pk_mov_b32 v[18:19], v[20:21], v[20:21] op_sel:[0,1]
	s_and_saveexec_b64 s[8:9], s[2:3]
	s_cbranch_execz .LBB95_12
; %bb.11:                               ;   in Loop: Header=BB95_4 Depth=1
	v_mov_b32_e32 v1, s19
	v_add_co_u32_e64 v18, s[6:7], s18, v56
	v_addc_co_u32_e64 v19, s[6:7], v57, v1, s[6:7]
	global_load_dwordx4 v[18:21], v[18:19], off
.LBB95_12:                              ;   in Loop: Header=BB95_4 Depth=1
	s_or_b64 exec, exec, s[8:9]
	v_mov_b32_e32 v1, s40
	v_add_co_u32_e64 v26, s[6:7], s39, v82
	v_addc_co_u32_e64 v27, s[6:7], v1, v83, s[6:7]
	v_pk_mov_b32 v[32:33], 0, 0
	v_cmp_gt_u64_e64 s[6:7], s[20:21], v[26:27]
	v_pk_mov_b32 v[36:37], v[32:33], v[32:33] op_sel:[0,1]
	v_pk_mov_b32 v[34:35], v[32:33], v[32:33] op_sel:[0,1]
	;; [unrolled: 1-line block ×4, first 2 shown]
	s_and_saveexec_b64 s[10:11], s[6:7]
	s_cbranch_execz .LBB95_14
; %bb.13:                               ;   in Loop: Header=BB95_4 Depth=1
	v_mov_b32_e32 v1, s19
	v_add_co_u32_e64 v30, s[8:9], s18, v76
	v_addc_co_u32_e64 v31, s[8:9], v77, v1, s[8:9]
	v_add_co_u32_e64 v38, s[8:9], s18, v74
	v_addc_co_u32_e64 v39, s[8:9], v75, v1, s[8:9]
	global_load_dwordx4 v[26:29], v[38:39], off offset:-8
	global_load_dwordx4 v[34:37], v[30:31], off offset:-8
.LBB95_14:                              ;   in Loop: Header=BB95_4 Depth=1
	s_or_b64 exec, exec, s[10:11]
	v_pk_mov_b32 v[30:31], v[32:33], v[32:33] op_sel:[0,1]
	s_and_saveexec_b64 s[10:11], s[6:7]
	s_cbranch_execz .LBB95_16
; %bb.15:                               ;   in Loop: Header=BB95_4 Depth=1
	v_mov_b32_e32 v1, s19
	v_add_co_u32_e64 v30, s[8:9], s18, v72
	v_addc_co_u32_e64 v31, s[8:9], v73, v1, s[8:9]
	global_load_dwordx4 v[30:33], v[30:31], off
.LBB95_16:                              ;   in Loop: Header=BB95_4 Depth=1
	s_or_b64 exec, exec, s[10:11]
	v_mov_b32_e32 v1, s42
	v_add_co_u32_e64 v38, s[8:9], s41, v82
	v_addc_co_u32_e64 v39, s[8:9], v1, v83, s[8:9]
	v_pk_mov_b32 v[44:45], 0, 0
	v_cmp_gt_u64_e64 s[8:9], s[20:21], v[38:39]
	v_pk_mov_b32 v[48:49], v[44:45], v[44:45] op_sel:[0,1]
	v_pk_mov_b32 v[46:47], v[44:45], v[44:45] op_sel:[0,1]
	;; [unrolled: 1-line block ×4, first 2 shown]
	s_and_saveexec_b64 s[26:27], s[8:9]
	s_cbranch_execnz .LBB95_22
; %bb.17:                               ;   in Loop: Header=BB95_4 Depth=1
	s_or_b64 exec, exec, s[26:27]
	v_pk_mov_b32 v[42:43], v[44:45], v[44:45] op_sel:[0,1]
	s_and_saveexec_b64 s[26:27], s[8:9]
	s_cbranch_execnz .LBB95_23
.LBB95_18:                              ;   in Loop: Header=BB95_4 Depth=1
	s_or_b64 exec, exec, s[26:27]
	s_and_saveexec_b64 s[10:11], vcc
	s_cbranch_execnz .LBB95_24
.LBB95_19:                              ;   in Loop: Header=BB95_4 Depth=1
	s_or_b64 exec, exec, s[10:11]
	s_and_saveexec_b64 s[10:11], s[2:3]
	s_cbranch_execnz .LBB95_25
.LBB95_20:                              ;   in Loop: Header=BB95_4 Depth=1
	s_or_b64 exec, exec, s[10:11]
	s_and_saveexec_b64 s[2:3], s[6:7]
	s_cbranch_execnz .LBB95_26
.LBB95_21:                              ;   in Loop: Header=BB95_4 Depth=1
	s_or_b64 exec, exec, s[2:3]
	s_and_saveexec_b64 s[2:3], s[8:9]
	s_cbranch_execz .LBB95_3
	s_branch .LBB95_27
.LBB95_22:                              ;   in Loop: Header=BB95_4 Depth=1
	v_mov_b32_e32 v1, s19
	v_add_co_u32_e64 v42, s[10:11], s18, v62
	v_addc_co_u32_e64 v43, s[10:11], v63, v1, s[10:11]
	v_add_co_u32_e64 v84, s[10:11], s18, v64
	v_addc_co_u32_e64 v85, s[10:11], v65, v1, s[10:11]
	global_load_dwordx4 v[38:41], v[84:85], off offset:-8
	global_load_dwordx4 v[46:49], v[42:43], off offset:-8
	s_or_b64 exec, exec, s[26:27]
	v_pk_mov_b32 v[42:43], v[44:45], v[44:45] op_sel:[0,1]
	s_and_saveexec_b64 s[26:27], s[8:9]
	s_cbranch_execz .LBB95_18
.LBB95_23:                              ;   in Loop: Header=BB95_4 Depth=1
	v_mov_b32_e32 v1, s19
	v_add_co_u32_e64 v42, s[10:11], s18, v66
	v_addc_co_u32_e64 v43, s[10:11], v67, v1, s[10:11]
	global_load_dwordx4 v[42:45], v[42:43], off offset:-8
	s_or_b64 exec, exec, s[26:27]
	s_and_saveexec_b64 s[10:11], vcc
	s_cbranch_execz .LBB95_19
.LBB95_24:                              ;   in Loop: Header=BB95_4 Depth=1
	s_waitcnt vmcnt(0)
	v_mul_f64 v[84:85], v[12:13], v[8:9]
	v_fma_f64 v[84:85], v[10:11], v[6:7], -v[84:85]
	v_mul_f64 v[6:7], v[12:13], v[6:7]
	v_fmac_f64_e32 v[6:7], v[10:11], v[8:9]
	v_mul_f64 v[8:9], s[14:15], v[6:7]
	v_fma_f64 v[8:9], s[12:13], v[84:85], -v[8:9]
	v_cndmask_b32_e64 v9, v9, v85, s[0:1]
	v_cndmask_b32_e64 v8, v8, v84, s[0:1]
	v_add_f64 v[2:3], v[2:3], v[8:9]
	v_mul_f64 v[8:9], s[14:15], v[84:85]
	v_fmac_f64_e32 v[8:9], s[12:13], v[6:7]
	v_cndmask_b32_e64 v7, v9, v7, s[0:1]
	v_cndmask_b32_e64 v6, v8, v6, s[0:1]
	v_add_f64 v[4:5], v[4:5], v[6:7]
	v_mov_b32_e32 v1, s19
	v_add_co_u32_e32 v6, vcc, s18, v58
	v_addc_co_u32_e32 v7, vcc, v59, v1, vcc
	global_store_dwordx4 v[6:7], v[2:5], off offset:-8
	s_or_b64 exec, exec, s[10:11]
	s_and_saveexec_b64 s[10:11], s[2:3]
	s_cbranch_execz .LBB95_20
.LBB95_25:                              ;   in Loop: Header=BB95_4 Depth=1
	s_waitcnt vmcnt(0)
	v_mul_f64 v[2:3], v[24:25], v[20:21]
	v_mul_f64 v[4:5], v[24:25], v[18:19]
	v_fma_f64 v[2:3], v[22:23], v[18:19], -v[2:3]
	v_fmac_f64_e32 v[4:5], v[22:23], v[20:21]
	v_mul_f64 v[6:7], s[14:15], v[4:5]
	v_mul_f64 v[8:9], s[14:15], v[2:3]
	v_fma_f64 v[6:7], s[12:13], v[2:3], -v[6:7]
	v_fmac_f64_e32 v[8:9], s[12:13], v[4:5]
	v_cndmask_b32_e64 v3, v7, v3, s[0:1]
	v_cndmask_b32_e64 v2, v6, v2, s[0:1]
	;; [unrolled: 1-line block ×4, first 2 shown]
	v_mov_b32_e32 v1, s19
	v_add_co_u32_e32 v6, vcc, s18, v52
	v_add_f64 v[4:5], v[16:17], v[4:5]
	v_add_f64 v[2:3], v[14:15], v[2:3]
	v_addc_co_u32_e32 v7, vcc, v53, v1, vcc
	global_store_dwordx4 v[6:7], v[2:5], off
	s_or_b64 exec, exec, s[10:11]
	s_and_saveexec_b64 s[2:3], s[6:7]
	s_cbranch_execz .LBB95_21
.LBB95_26:                              ;   in Loop: Header=BB95_4 Depth=1
	s_waitcnt vmcnt(0)
	v_mul_f64 v[2:3], v[36:37], v[32:33]
	v_mul_f64 v[4:5], v[36:37], v[30:31]
	v_fma_f64 v[2:3], v[34:35], v[30:31], -v[2:3]
	v_fmac_f64_e32 v[4:5], v[34:35], v[32:33]
	v_mul_f64 v[6:7], s[14:15], v[4:5]
	v_mul_f64 v[8:9], s[14:15], v[2:3]
	v_fma_f64 v[6:7], s[12:13], v[2:3], -v[6:7]
	v_fmac_f64_e32 v[8:9], s[12:13], v[4:5]
	v_cndmask_b32_e64 v3, v7, v3, s[0:1]
	v_cndmask_b32_e64 v2, v6, v2, s[0:1]
	;; [unrolled: 1-line block ×4, first 2 shown]
	v_mov_b32_e32 v1, s19
	v_add_co_u32_e32 v6, vcc, s18, v68
	v_add_f64 v[4:5], v[28:29], v[4:5]
	v_add_f64 v[2:3], v[26:27], v[2:3]
	v_addc_co_u32_e32 v7, vcc, v69, v1, vcc
	global_store_dwordx4 v[6:7], v[2:5], off
	s_or_b64 exec, exec, s[2:3]
	s_and_saveexec_b64 s[2:3], s[8:9]
	s_cbranch_execz .LBB95_3
.LBB95_27:                              ;   in Loop: Header=BB95_4 Depth=1
	s_waitcnt vmcnt(0)
	v_mul_f64 v[2:3], v[48:49], v[44:45]
	v_mul_f64 v[4:5], v[48:49], v[42:43]
	v_fma_f64 v[2:3], v[46:47], v[42:43], -v[2:3]
	v_fmac_f64_e32 v[4:5], v[46:47], v[44:45]
	v_mul_f64 v[6:7], s[14:15], v[4:5]
	v_mul_f64 v[8:9], s[14:15], v[2:3]
	v_fma_f64 v[6:7], s[12:13], v[2:3], -v[6:7]
	v_fmac_f64_e32 v[8:9], s[12:13], v[4:5]
	v_cndmask_b32_e64 v3, v7, v3, s[0:1]
	v_cndmask_b32_e64 v2, v6, v2, s[0:1]
	;; [unrolled: 1-line block ×4, first 2 shown]
	v_mov_b32_e32 v1, s19
	v_add_co_u32_e32 v6, vcc, s18, v70
	v_add_f64 v[4:5], v[40:41], v[4:5]
	v_add_f64 v[2:3], v[38:39], v[2:3]
	v_addc_co_u32_e32 v7, vcc, v71, v1, vcc
	global_store_dwordx4 v[6:7], v[2:5], off offset:-8
	s_branch .LBB95_3
.LBB95_28:
	s_mov_b64 s[0:1], 0
.LBB95_29:
	s_andn2_b64 vcc, exec, s[0:1]
	s_cbranch_vccnz .LBB95_33
; %bb.30:
	v_mov_b32_e32 v3, 0
	v_lshlrev_b32_e32 v2, 2, v0
	s_mov_b32 s0, 0
	v_cmp_gt_i64_e32 vcc, s[16:17], v[2:3]
	s_and_saveexec_b64 s[2:3], vcc
	s_cbranch_execz .LBB95_33
; %bb.31:
	s_load_dword s1, s[4:5], 0xe34
	s_waitcnt lgkmcnt(0)
	v_cmp_eq_f64_e64 s[2:3], s[12:13], 1.0
	v_cmp_eq_f64_e64 s[4:5], s[14:15], 0
	s_mov_b64 s[6:7], 0
	s_and_b64 vcc, s[2:3], s[4:5]
	s_and_b32 s1, s1, 0xffff
	v_add_lshl_u32 v2, v0, s1, 2
	s_lshl_b32 s10, s1, 2
	v_lshlrev_b32_e32 v0, 6, v0
	s_lshl_b32 s11, s1, 6
	s_mov_b64 s[8:9], 0xffff
	v_mov_b32_e32 v1, s0
.LBB95_32:                              ; =>This Inner Loop Header: Depth=1
	v_mov_b32_e32 v5, s31
	v_add_co_u32_e64 v52, s[0:1], s30, v0
	s_waitcnt vmcnt(0)
	v_mov_b32_e32 v6, s34
	v_add_co_u32_e64 v54, s[2:3], s33, v0
	v_mov_b32_e32 v4, s29
	v_add_co_u32_e64 v56, s[4:5], s28, v0
	v_addc_co_u32_e64 v53, s[0:1], 0, v5, s[0:1]
	v_addc_co_u32_e64 v55, s[0:1], 0, v6, s[2:3]
	;; [unrolled: 1-line block ×3, first 2 shown]
	global_load_dwordx4 v[4:7], v[54:55], off
	global_load_dwordx4 v[8:11], v[52:53], off
	global_load_dwordx4 v[12:15], v[52:53], off offset:16
	global_load_dwordx4 v[16:19], v[54:55], off offset:16
	;; [unrolled: 1-line block ×6, first 2 shown]
	global_load_dwordx4 v[36:39], v[56:57], off
	global_load_dwordx4 v[40:43], v[56:57], off offset:16
	global_load_dwordx4 v[44:47], v[56:57], off offset:32
	;; [unrolled: 1-line block ×3, first 2 shown]
	v_cmp_le_i64_e64 s[0:1], s[16:17], v[2:3]
	v_cmp_lt_u64_e64 s[2:3], s[8:9], v[2:3]
	s_or_b64 s[0:1], s[0:1], s[2:3]
	v_add_co_u32_e64 v2, s[4:5], s10, v2
	s_add_u32 s28, s28, s11
	v_addc_co_u32_e64 v3, s[4:5], v3, v1, s[4:5]
	s_addc_u32 s29, s29, 0
	v_add_co_u32_e64 v52, s[4:5], s35, v0
	s_add_u32 s35, s35, s11
	v_mov_b32_e32 v58, s36
	s_addc_u32 s36, s36, 0
	s_add_u32 s30, s30, s11
	v_addc_co_u32_e64 v53, s[4:5], 0, v58, s[4:5]
	s_addc_u32 s31, s31, 0
	s_add_u32 s33, s33, s11
	s_addc_u32 s34, s34, 0
	s_and_b64 s[0:1], exec, s[0:1]
	s_or_b64 s[6:7], s[0:1], s[6:7]
	s_waitcnt vmcnt(10)
	v_mul_f64 v[54:55], v[10:11], v[6:7]
	v_mul_f64 v[6:7], v[8:9], v[6:7]
	s_waitcnt vmcnt(8)
	v_mul_f64 v[56:57], v[14:15], v[18:19]
	v_mul_f64 v[18:19], v[12:13], v[18:19]
	s_waitcnt vmcnt(6)
	v_mul_f64 v[58:59], v[26:27], v[22:23]
	v_mul_f64 v[22:23], v[24:25], v[22:23]
	s_waitcnt vmcnt(4)
	v_mul_f64 v[60:61], v[30:31], v[34:35]
	v_mul_f64 v[34:35], v[28:29], v[34:35]
	v_fma_f64 v[8:9], v[8:9], v[4:5], -v[54:55]
	v_fmac_f64_e32 v[6:7], v[10:11], v[4:5]
	v_fma_f64 v[4:5], v[12:13], v[16:17], -v[56:57]
	v_fmac_f64_e32 v[18:19], v[14:15], v[16:17]
	;; [unrolled: 2-line block ×4, first 2 shown]
	v_mul_f64 v[14:15], s[14:15], v[6:7]
	v_mul_f64 v[16:17], s[14:15], v[8:9]
	v_mul_f64 v[20:21], s[14:15], v[18:19]
	v_mul_f64 v[24:25], s[14:15], v[4:5]
	v_mul_f64 v[26:27], s[14:15], v[22:23]
	v_mul_f64 v[28:29], s[14:15], v[10:11]
	v_mul_f64 v[30:31], s[14:15], v[34:35]
	v_mul_f64 v[32:33], s[14:15], v[12:13]
	v_fma_f64 v[14:15], s[12:13], v[8:9], -v[14:15]
	v_fmac_f64_e32 v[16:17], s[12:13], v[6:7]
	v_fma_f64 v[20:21], s[12:13], v[4:5], -v[20:21]
	v_fmac_f64_e32 v[24:25], s[12:13], v[18:19]
	v_fma_f64 v[26:27], s[12:13], v[10:11], -v[26:27]
	v_fmac_f64_e32 v[28:29], s[12:13], v[22:23]
	v_fma_f64 v[30:31], s[12:13], v[12:13], -v[30:31]
	v_fmac_f64_e32 v[32:33], s[12:13], v[34:35]
	v_cndmask_b32_e32 v9, v15, v9, vcc
	v_cndmask_b32_e32 v8, v14, v8, vcc
	;; [unrolled: 1-line block ×16, first 2 shown]
	s_waitcnt vmcnt(3)
	v_add_f64 v[6:7], v[38:39], v[6:7]
	v_add_f64 v[4:5], v[36:37], v[8:9]
	s_waitcnt vmcnt(2)
	v_add_f64 v[10:11], v[42:43], v[16:17]
	v_add_f64 v[8:9], v[40:41], v[14:15]
	;; [unrolled: 3-line block ×4, first 2 shown]
	global_store_dwordx4 v[52:53], v[4:7], off
	global_store_dwordx4 v[52:53], v[8:11], off offset:16
	global_store_dwordx4 v[52:53], v[12:15], off offset:32
	;; [unrolled: 1-line block ×3, first 2 shown]
	s_andn2_b64 exec, exec, s[6:7]
	s_cbranch_execnz .LBB95_32
.LBB95_33:
	s_endpgm
	.section	.rodata,"a",@progbits
	.p2align	6, 0x0
	.amdhsa_kernel _ZN2at6native12_GLOBAL__N_125multi_tensor_apply_kernelINS1_28TensorListScalarListMetadataIN3c107complexIdEELi4EEENS1_28PointwiseOpScalarListFunctorIS6_Li4ELi3ELi3EEEJSt10multipliesIS6_EEEEvT_T0_DpT1_
		.amdhsa_group_segment_fixed_size 0
		.amdhsa_private_segment_fixed_size 0
		.amdhsa_kernarg_size 3880
		.amdhsa_user_sgpr_count 6
		.amdhsa_user_sgpr_private_segment_buffer 1
		.amdhsa_user_sgpr_dispatch_ptr 0
		.amdhsa_user_sgpr_queue_ptr 0
		.amdhsa_user_sgpr_kernarg_segment_ptr 1
		.amdhsa_user_sgpr_dispatch_id 0
		.amdhsa_user_sgpr_flat_scratch_init 0
		.amdhsa_user_sgpr_kernarg_preload_length 0
		.amdhsa_user_sgpr_kernarg_preload_offset 0
		.amdhsa_user_sgpr_private_segment_size 0
		.amdhsa_uses_dynamic_stack 0
		.amdhsa_system_sgpr_private_segment_wavefront_offset 0
		.amdhsa_system_sgpr_workgroup_id_x 1
		.amdhsa_system_sgpr_workgroup_id_y 0
		.amdhsa_system_sgpr_workgroup_id_z 0
		.amdhsa_system_sgpr_workgroup_info 0
		.amdhsa_system_vgpr_workitem_id 0
		.amdhsa_next_free_vgpr 86
		.amdhsa_next_free_sgpr 45
		.amdhsa_accum_offset 88
		.amdhsa_reserve_vcc 1
		.amdhsa_reserve_flat_scratch 0
		.amdhsa_float_round_mode_32 0
		.amdhsa_float_round_mode_16_64 0
		.amdhsa_float_denorm_mode_32 3
		.amdhsa_float_denorm_mode_16_64 3
		.amdhsa_dx10_clamp 1
		.amdhsa_ieee_mode 1
		.amdhsa_fp16_overflow 0
		.amdhsa_tg_split 0
		.amdhsa_exception_fp_ieee_invalid_op 0
		.amdhsa_exception_fp_denorm_src 0
		.amdhsa_exception_fp_ieee_div_zero 0
		.amdhsa_exception_fp_ieee_overflow 0
		.amdhsa_exception_fp_ieee_underflow 0
		.amdhsa_exception_fp_ieee_inexact 0
		.amdhsa_exception_int_div_zero 0
	.end_amdhsa_kernel
	.section	.text._ZN2at6native12_GLOBAL__N_125multi_tensor_apply_kernelINS1_28TensorListScalarListMetadataIN3c107complexIdEELi4EEENS1_28PointwiseOpScalarListFunctorIS6_Li4ELi3ELi3EEEJSt10multipliesIS6_EEEEvT_T0_DpT1_,"axG",@progbits,_ZN2at6native12_GLOBAL__N_125multi_tensor_apply_kernelINS1_28TensorListScalarListMetadataIN3c107complexIdEELi4EEENS1_28PointwiseOpScalarListFunctorIS6_Li4ELi3ELi3EEEJSt10multipliesIS6_EEEEvT_T0_DpT1_,comdat
.Lfunc_end95:
	.size	_ZN2at6native12_GLOBAL__N_125multi_tensor_apply_kernelINS1_28TensorListScalarListMetadataIN3c107complexIdEELi4EEENS1_28PointwiseOpScalarListFunctorIS6_Li4ELi3ELi3EEEJSt10multipliesIS6_EEEEvT_T0_DpT1_, .Lfunc_end95-_ZN2at6native12_GLOBAL__N_125multi_tensor_apply_kernelINS1_28TensorListScalarListMetadataIN3c107complexIdEELi4EEENS1_28PointwiseOpScalarListFunctorIS6_Li4ELi3ELi3EEEJSt10multipliesIS6_EEEEvT_T0_DpT1_
                                        ; -- End function
	.section	.AMDGPU.csdata,"",@progbits
; Kernel info:
; codeLenInByte = 2912
; NumSgprs: 49
; NumVgprs: 86
; NumAgprs: 0
; TotalNumVgprs: 86
; ScratchSize: 0
; MemoryBound: 1
; FloatMode: 240
; IeeeMode: 1
; LDSByteSize: 0 bytes/workgroup (compile time only)
; SGPRBlocks: 6
; VGPRBlocks: 10
; NumSGPRsForWavesPerEU: 49
; NumVGPRsForWavesPerEU: 86
; AccumOffset: 88
; Occupancy: 5
; WaveLimiterHint : 0
; COMPUTE_PGM_RSRC2:SCRATCH_EN: 0
; COMPUTE_PGM_RSRC2:USER_SGPR: 6
; COMPUTE_PGM_RSRC2:TRAP_HANDLER: 0
; COMPUTE_PGM_RSRC2:TGID_X_EN: 1
; COMPUTE_PGM_RSRC2:TGID_Y_EN: 0
; COMPUTE_PGM_RSRC2:TGID_Z_EN: 0
; COMPUTE_PGM_RSRC2:TIDIG_COMP_CNT: 0
; COMPUTE_PGM_RSRC3_GFX90A:ACCUM_OFFSET: 21
; COMPUTE_PGM_RSRC3_GFX90A:TG_SPLIT: 0
	.section	.text._ZN2at6native12_GLOBAL__N_125multi_tensor_apply_kernelINS1_28TensorListScalarListMetadataIN3c107complexIfEELi4EEENS1_28PointwiseOpScalarListFunctorIS6_Li4ELi3ELi3EEEJSt10multipliesIS6_EEEEvT_T0_DpT1_,"axG",@progbits,_ZN2at6native12_GLOBAL__N_125multi_tensor_apply_kernelINS1_28TensorListScalarListMetadataIN3c107complexIfEELi4EEENS1_28PointwiseOpScalarListFunctorIS6_Li4ELi3ELi3EEEJSt10multipliesIS6_EEEEvT_T0_DpT1_,comdat
	.globl	_ZN2at6native12_GLOBAL__N_125multi_tensor_apply_kernelINS1_28TensorListScalarListMetadataIN3c107complexIfEELi4EEENS1_28PointwiseOpScalarListFunctorIS6_Li4ELi3ELi3EEEJSt10multipliesIS6_EEEEvT_T0_DpT1_ ; -- Begin function _ZN2at6native12_GLOBAL__N_125multi_tensor_apply_kernelINS1_28TensorListScalarListMetadataIN3c107complexIfEELi4EEENS1_28PointwiseOpScalarListFunctorIS6_Li4ELi3ELi3EEEJSt10multipliesIS6_EEEEvT_T0_DpT1_
	.p2align	8
	.type	_ZN2at6native12_GLOBAL__N_125multi_tensor_apply_kernelINS1_28TensorListScalarListMetadataIN3c107complexIfEELi4EEENS1_28PointwiseOpScalarListFunctorIS6_Li4ELi3ELi3EEEJSt10multipliesIS6_EEEEvT_T0_DpT1_,@function
_ZN2at6native12_GLOBAL__N_125multi_tensor_apply_kernelINS1_28TensorListScalarListMetadataIN3c107complexIfEELi4EEENS1_28PointwiseOpScalarListFunctorIS6_Li4ELi3ELi3EEEJSt10multipliesIS6_EEEEvT_T0_DpT1_: ; @_ZN2at6native12_GLOBAL__N_125multi_tensor_apply_kernelINS1_28TensorListScalarListMetadataIN3c107complexIfEELi4EEENS1_28PointwiseOpScalarListFunctorIS6_Li4ELi3ELi3EEEJSt10multipliesIS6_EEEEvT_T0_DpT1_
; %bb.0:
	v_mov_b32_e32 v1, s6
	global_load_ubyte v1, v1, s[4:5] offset:1728
	s_add_u32 s0, s4, s6
	s_mul_hi_u32 s3, s6, 3
	s_mul_i32 s6, s6, 3
	s_addc_u32 s7, s5, 0
	s_add_u32 s2, s0, s6
	s_addc_u32 s3, s7, s3
	s_load_dword s14, s[2:3], 0x800
	s_mov_b32 s1, 0
	s_mov_b32 s19, s1
	s_waitcnt lgkmcnt(0)
	s_ashr_i32 s15, s14, 31
	s_lshl_b64 s[16:17], s[14:15], 19
	s_waitcnt vmcnt(0)
	v_readfirstlane_b32 s0, v1
	s_lshl_b32 s0, s0, 3
	s_load_dwordx2 s[20:21], s[4:5], s0 offset:0x480
	s_load_dwordx2 s[12:13], s[4:5], s0 offset:0x5a0
	;; [unrolled: 1-line block ×6, first 2 shown]
	s_waitcnt lgkmcnt(0)
	s_add_u32 s26, s10, s16
	s_addc_u32 s27, s11, s17
	s_add_u32 s28, s8, s16
	s_addc_u32 s29, s9, s17
	s_and_b32 s0, s28, 31
	s_add_u32 s30, s2, s16
	s_addc_u32 s31, s3, s17
	s_add_u32 s33, s6, s16
	s_addc_u32 s34, s7, s17
	s_or_b32 s18, s33, s30
	s_and_b32 s18, s18, 31
	s_cmp_eq_u32 s18, 0
	s_cselect_b64 s[22:23], -1, 0
	s_and_b32 s18, s26, 31
	s_cmp_eq_u64 s[0:1], 0
	s_cselect_b64 s[24:25], -1, 0
	s_lshl_b64 s[14:15], s[14:15], 16
	s_and_b64 s[22:23], s[22:23], s[24:25]
	s_sub_u32 s14, s20, s14
	s_subb_u32 s15, s21, s15
	s_and_b32 s0, s20, 3
	s_or_b64 s[0:1], s[18:19], s[0:1]
	s_cmp_eq_u64 s[0:1], 0
	s_cselect_b64 s[0:1], -1, 0
	s_and_b64 s[18:19], s[22:23], s[0:1]
	s_mov_b64 s[0:1], -1
	s_and_b64 vcc, exec, s[18:19]
	s_cbranch_vccnz .LBB96_29
; %bb.1:
	v_cmp_lt_i64_e64 s[0:1], s[14:15], 1
	s_and_b64 vcc, exec, s[0:1]
	s_cbranch_vccnz .LBB96_28
; %bb.2:
	s_load_dword s0, s[4:5], 0xd14
	v_mov_b32_e32 v2, 0x10000
	v_mov_b32_e32 v3, 0
	v_cmp_lt_u64_e32 vcc, s[14:15], v[2:3]
	v_lshlrev_b32_e32 v28, 3, v0
	s_waitcnt lgkmcnt(0)
	s_and_b32 s36, s0, 0xffff
	s_and_b64 s[0:1], vcc, exec
	v_mov_b32_e32 v25, s11
	v_add_co_u32_e32 v2, vcc, s10, v28
	v_addc_co_u32_e32 v3, vcc, 0, v25, vcc
	v_mov_b32_e32 v27, s9
	v_add_co_u32_e32 v4, vcc, s8, v28
	v_addc_co_u32_e32 v5, vcc, 0, v27, vcc
	v_mov_b32_e32 v30, s7
	v_add_co_u32_e32 v6, vcc, s6, v28
	v_mov_b32_e32 v1, 0
	v_addc_co_u32_e32 v7, vcc, 0, v30, vcc
	v_mov_b32_e32 v29, v1
	v_add_co_u32_e32 v6, vcc, 4, v6
	v_addc_co_u32_e32 v7, vcc, 0, v7, vcc
	v_mad_u64_u32 v[14:15], s[22:23], s36, 24, v[28:29]
	v_add_co_u32_e32 v8, vcc, s10, v14
	v_addc_co_u32_e32 v9, vcc, v25, v15, vcc
	v_add_co_u32_e32 v10, vcc, s8, v14
	v_addc_co_u32_e32 v11, vcc, v27, v15, vcc
	v_mov_b32_e32 v31, s3
	v_add_co_u32_e32 v12, vcc, s2, v14
	s_cselect_b32 s19, s15, 0
	s_cselect_b32 s18, s14, 0x10000
	s_lshl_b32 s37, s36, 1
	s_and_b32 s20, s13, 0x7fffffff
	v_addc_co_u32_e32 v13, vcc, v31, v15, vcc
	s_cmp_eq_u32 s20, 0
	v_mov_b32_e32 v16, s7
	v_add_co_u32_e32 v14, vcc, s6, v14
	s_cselect_b64 s[20:21], -1, 0
	v_addc_co_u32_e32 v15, vcc, v16, v15, vcc
	s_lshl_b32 s3, s36, 4
	v_add_co_u32_e32 v22, vcc, s3, v28
	v_addc_co_u32_e64 v23, s[22:23], 0, 0, vcc
	v_add_co_u32_e32 v16, vcc, s10, v22
	v_addc_co_u32_e32 v17, vcc, v25, v23, vcc
	v_add_co_u32_e32 v18, vcc, s8, v22
	v_addc_co_u32_e32 v19, vcc, v27, v23, vcc
	v_add_co_u32_e32 v20, vcc, s2, v22
	v_addc_co_u32_e32 v21, vcc, v31, v23, vcc
	v_add_co_u32_e32 v22, vcc, s6, v22
	v_addc_co_u32_e32 v23, vcc, v23, v30, vcc
	v_add_co_u32_e32 v22, vcc, 4, v22
	v_addc_co_u32_e32 v23, vcc, 0, v23, vcc
	v_add_lshl_u32 v29, v0, s36, 3
	v_add_co_u32_e32 v24, vcc, s10, v29
	v_addc_co_u32_e32 v25, vcc, 0, v25, vcc
	v_add_co_u32_e32 v26, vcc, s8, v29
	v_addc_co_u32_e32 v27, vcc, 0, v27, vcc
	;; [unrolled: 2-line block ×3, first 2 shown]
	v_add_co_u32_e32 v28, vcc, s2, v28
	v_add_co_u32_e64 v30, s[2:3], s2, v29
	s_mov_b32 s35, 0
	v_cmp_eq_f32_e64 s[0:1], s12, 1.0
	v_addc_co_u32_e32 v29, vcc, 0, v31, vcc
	v_addc_co_u32_e64 v31, vcc, 0, v31, s[2:3]
	s_and_b64 s[0:1], s[0:1], s[20:21]
	s_lshl_b32 s20, s36, 2
	s_mov_b32 s21, s35
	v_add_co_u32_e32 v32, vcc, 4, v32
	s_mov_b32 s38, s35
	s_mul_i32 s39, s36, 3
	s_mov_b32 s40, s35
	s_lshl_b32 s41, s36, 5
	s_mov_b32 s42, s35
	s_mov_b64 s[22:23], s[20:21]
	v_addc_co_u32_e32 v33, vcc, 0, v33, vcc
	v_pk_mov_b32 v[34:35], v[0:1], v[0:1] op_sel:[0,1]
	s_branch .LBB96_4
.LBB96_3:                               ;   in Loop: Header=BB96_4 Depth=1
	s_or_b64 exec, exec, s[2:3]
	v_mov_b32_e32 v1, s21
	v_add_co_u32_e64 v34, s[6:7], s20, v34
	v_addc_co_u32_e64 v35, s[6:7], v35, v1, s[6:7]
	v_mov_b32_e32 v1, s42
	v_add_co_u32_e64 v2, s[6:7], s41, v2
	v_addc_co_u32_e64 v3, s[6:7], v3, v1, s[6:7]
	v_add_co_u32_e64 v4, s[6:7], s41, v4
	v_addc_co_u32_e64 v5, s[6:7], v5, v1, s[6:7]
	;; [unrolled: 2-line block ×12, first 2 shown]
	v_add_co_u32_e64 v24, s[6:7], s41, v24
	s_waitcnt vmcnt(1)
	v_pk_mov_b32 v[36:37], s[14:15], s[14:15] op_sel:[0,1]
	v_addc_co_u32_e64 v25, s[6:7], v25, v1, s[6:7]
	v_cmp_lt_i64_e32 vcc, s[22:23], v[36:37]
	v_mov_b32_e32 v36, 0x10000
	v_add_co_u32_e64 v26, s[6:7], s41, v26
	v_mov_b32_e32 v37, 0
	v_addc_co_u32_e64 v27, s[6:7], v27, v1, s[6:7]
	v_cmp_lt_u64_e64 s[2:3], s[22:23], v[36:37]
	v_add_co_u32_e64 v30, s[6:7], s41, v30
	v_addc_co_u32_e64 v31, s[6:7], v31, v1, s[6:7]
	s_and_b64 s[2:3], vcc, s[2:3]
	v_add_co_u32_e64 v32, s[6:7], s41, v32
	s_add_u32 s22, s22, s20
	v_addc_co_u32_e64 v33, s[6:7], v33, v1, s[6:7]
	s_addc_u32 s23, s23, 0
	s_and_b64 vcc, exec, s[2:3]
	s_cbranch_vccz .LBB96_28
.LBB96_4:                               ; =>This Inner Loop Header: Depth=1
	v_cmp_gt_u64_e32 vcc, s[18:19], v[34:35]
	s_waitcnt vmcnt(0)
	v_mov_b32_e32 v39, 0
	v_mov_b32_e32 v38, 0
	;; [unrolled: 1-line block ×4, first 2 shown]
	s_and_saveexec_b64 s[6:7], vcc
	s_cbranch_execz .LBB96_6
; %bb.5:                                ;   in Loop: Header=BB96_4 Depth=1
	v_mov_b32_e32 v1, s17
	v_add_co_u32_e64 v36, s[2:3], s16, v2
	v_addc_co_u32_e64 v37, s[2:3], v3, v1, s[2:3]
	v_add_co_u32_e64 v38, s[2:3], s16, v4
	v_addc_co_u32_e64 v39, s[2:3], v5, v1, s[2:3]
	global_load_dwordx2 v[36:37], v[36:37], off
	s_nop 0
	global_load_dwordx2 v[38:39], v[38:39], off
.LBB96_6:                               ;   in Loop: Header=BB96_4 Depth=1
	s_or_b64 exec, exec, s[6:7]
	v_mov_b32_e32 v41, 0
	v_mov_b32_e32 v45, 0
	;; [unrolled: 1-line block ×3, first 2 shown]
	s_and_saveexec_b64 s[6:7], vcc
	s_cbranch_execz .LBB96_8
; %bb.7:                                ;   in Loop: Header=BB96_4 Depth=1
	v_mov_b32_e32 v1, s17
	v_add_co_u32_e64 v42, s[2:3], s16, v28
	v_addc_co_u32_e64 v43, s[2:3], v29, v1, s[2:3]
	global_load_dwordx2 v[44:45], v[42:43], off
.LBB96_8:                               ;   in Loop: Header=BB96_4 Depth=1
	s_or_b64 exec, exec, s[6:7]
	v_mov_b32_e32 v1, s35
	v_add_co_u32_e64 v42, s[2:3], s36, v34
	v_addc_co_u32_e64 v43, s[2:3], v1, v35, s[2:3]
	v_cmp_gt_u64_e64 s[2:3], s[18:19], v[42:43]
	v_mov_b32_e32 v40, 0
	v_mov_b32_e32 v43, 0
	;; [unrolled: 1-line block ×3, first 2 shown]
	s_and_saveexec_b64 s[8:9], s[2:3]
	s_cbranch_execz .LBB96_10
; %bb.9:                                ;   in Loop: Header=BB96_4 Depth=1
	v_mov_b32_e32 v1, s17
	v_add_co_u32_e64 v40, s[6:7], s16, v24
	v_addc_co_u32_e64 v41, s[6:7], v25, v1, s[6:7]
	global_load_dwordx2 v[42:43], v[40:41], off
	v_add_co_u32_e64 v40, s[6:7], s16, v26
	v_addc_co_u32_e64 v41, s[6:7], v27, v1, s[6:7]
	global_load_dwordx2 v[40:41], v[40:41], off
.LBB96_10:                              ;   in Loop: Header=BB96_4 Depth=1
	s_or_b64 exec, exec, s[8:9]
	v_mov_b32_e32 v47, 0
	v_mov_b32_e32 v51, 0
	v_mov_b32_e32 v50, 0
	s_and_saveexec_b64 s[8:9], s[2:3]
	s_cbranch_execz .LBB96_12
; %bb.11:                               ;   in Loop: Header=BB96_4 Depth=1
	v_mov_b32_e32 v1, s17
	v_add_co_u32_e64 v48, s[6:7], s16, v30
	v_addc_co_u32_e64 v49, s[6:7], v31, v1, s[6:7]
	global_load_dwordx2 v[50:51], v[48:49], off
.LBB96_12:                              ;   in Loop: Header=BB96_4 Depth=1
	s_or_b64 exec, exec, s[8:9]
	v_mov_b32_e32 v1, s38
	v_add_co_u32_e64 v48, s[6:7], s37, v34
	v_addc_co_u32_e64 v49, s[6:7], v1, v35, s[6:7]
	v_cmp_gt_u64_e64 s[6:7], s[18:19], v[48:49]
	v_mov_b32_e32 v46, 0
	v_mov_b32_e32 v49, 0
	;; [unrolled: 1-line block ×3, first 2 shown]
	s_and_saveexec_b64 s[10:11], s[6:7]
	s_cbranch_execz .LBB96_14
; %bb.13:                               ;   in Loop: Header=BB96_4 Depth=1
	v_mov_b32_e32 v1, s17
	v_add_co_u32_e64 v46, s[8:9], s16, v16
	v_addc_co_u32_e64 v47, s[8:9], v17, v1, s[8:9]
	global_load_dwordx2 v[48:49], v[46:47], off
	v_add_co_u32_e64 v46, s[8:9], s16, v18
	v_addc_co_u32_e64 v47, s[8:9], v19, v1, s[8:9]
	global_load_dwordx2 v[46:47], v[46:47], off
.LBB96_14:                              ;   in Loop: Header=BB96_4 Depth=1
	s_or_b64 exec, exec, s[10:11]
	v_mov_b32_e32 v53, 0
	v_mov_b32_e32 v57, 0
	;; [unrolled: 1-line block ×3, first 2 shown]
	s_and_saveexec_b64 s[10:11], s[6:7]
	s_cbranch_execz .LBB96_16
; %bb.15:                               ;   in Loop: Header=BB96_4 Depth=1
	v_mov_b32_e32 v1, s17
	v_add_co_u32_e64 v54, s[8:9], s16, v20
	v_addc_co_u32_e64 v55, s[8:9], v21, v1, s[8:9]
	global_load_dwordx2 v[56:57], v[54:55], off
.LBB96_16:                              ;   in Loop: Header=BB96_4 Depth=1
	s_or_b64 exec, exec, s[10:11]
	v_mov_b32_e32 v1, s40
	v_add_co_u32_e64 v54, s[8:9], s39, v34
	v_addc_co_u32_e64 v55, s[8:9], v1, v35, s[8:9]
	v_cmp_gt_u64_e64 s[8:9], s[18:19], v[54:55]
	v_mov_b32_e32 v52, 0
	v_mov_b32_e32 v54, 0
	;; [unrolled: 1-line block ×3, first 2 shown]
	s_and_saveexec_b64 s[24:25], s[8:9]
	s_cbranch_execz .LBB96_18
; %bb.17:                               ;   in Loop: Header=BB96_4 Depth=1
	v_mov_b32_e32 v1, s17
	v_add_co_u32_e64 v52, s[10:11], s16, v8
	v_addc_co_u32_e64 v53, s[10:11], v9, v1, s[10:11]
	global_load_dwordx2 v[54:55], v[52:53], off
	v_add_co_u32_e64 v52, s[10:11], s16, v10
	v_addc_co_u32_e64 v53, s[10:11], v11, v1, s[10:11]
	global_load_dwordx2 v[52:53], v[52:53], off
.LBB96_18:                              ;   in Loop: Header=BB96_4 Depth=1
	s_or_b64 exec, exec, s[24:25]
	v_mov_b32_e32 v58, 0
	v_mov_b32_e32 v59, 0
	s_and_saveexec_b64 s[24:25], s[8:9]
	s_cbranch_execnz .LBB96_23
; %bb.19:                               ;   in Loop: Header=BB96_4 Depth=1
	s_or_b64 exec, exec, s[24:25]
	s_and_saveexec_b64 s[10:11], vcc
	s_cbranch_execnz .LBB96_24
.LBB96_20:                              ;   in Loop: Header=BB96_4 Depth=1
	s_or_b64 exec, exec, s[10:11]
	s_and_saveexec_b64 s[10:11], s[2:3]
	s_cbranch_execnz .LBB96_25
.LBB96_21:                              ;   in Loop: Header=BB96_4 Depth=1
	s_or_b64 exec, exec, s[10:11]
	s_and_saveexec_b64 s[2:3], s[6:7]
	s_cbranch_execnz .LBB96_26
.LBB96_22:                              ;   in Loop: Header=BB96_4 Depth=1
	s_or_b64 exec, exec, s[2:3]
	s_and_saveexec_b64 s[2:3], s[8:9]
	s_cbranch_execz .LBB96_3
	s_branch .LBB96_27
.LBB96_23:                              ;   in Loop: Header=BB96_4 Depth=1
	v_mov_b32_e32 v1, s17
	v_add_co_u32_e64 v58, s[10:11], s16, v12
	v_addc_co_u32_e64 v59, s[10:11], v13, v1, s[10:11]
	global_load_dwordx2 v[58:59], v[58:59], off
	s_or_b64 exec, exec, s[24:25]
	s_and_saveexec_b64 s[10:11], vcc
	s_cbranch_execz .LBB96_20
.LBB96_24:                              ;   in Loop: Header=BB96_4 Depth=1
	s_waitcnt vmcnt(0)
	v_mul_f32_e32 v1, v39, v44
	v_mul_f32_e32 v39, v39, v45
	v_fmac_f32_e32 v1, v38, v45
	v_fma_f32 v38, v38, v44, -v39
	v_mul_f32_e32 v39, s13, v38
	v_fmac_f32_e32 v39, s12, v1
	v_cndmask_b32_e64 v39, v39, v1, s[0:1]
	v_mul_f32_e32 v1, s13, v1
	v_fma_f32 v1, v38, s12, -v1
	v_cndmask_b32_e64 v1, v1, v38, s[0:1]
	v_add_f32_e32 v36, v36, v1
	v_mov_b32_e32 v1, s17
	v_add_co_u32_e32 v38, vcc, s16, v6
	v_add_f32_e32 v37, v37, v39
	v_addc_co_u32_e32 v39, vcc, v7, v1, vcc
	global_store_dwordx2 v[38:39], v[36:37], off offset:-4
	s_or_b64 exec, exec, s[10:11]
	s_and_saveexec_b64 s[10:11], s[2:3]
	s_cbranch_execz .LBB96_21
.LBB96_25:                              ;   in Loop: Header=BB96_4 Depth=1
	s_waitcnt vmcnt(0)
	v_mul_f32_e32 v36, v41, v50
	v_mul_f32_e32 v1, v41, v51
	v_fmac_f32_e32 v36, v40, v51
	v_fma_f32 v1, v40, v50, -v1
	v_mul_f32_e32 v37, s13, v36
	v_fma_f32 v37, v1, s12, -v37
	v_mul_f32_e32 v38, s13, v1
	v_fmac_f32_e32 v38, s12, v36
	v_cndmask_b32_e64 v1, v37, v1, s[0:1]
	v_cndmask_b32_e64 v37, v38, v36, s[0:1]
	v_add_f32_e32 v36, v42, v1
	v_mov_b32_e32 v1, s17
	v_add_co_u32_e32 v38, vcc, s16, v32
	v_add_f32_e32 v37, v43, v37
	v_addc_co_u32_e32 v39, vcc, v33, v1, vcc
	global_store_dwordx2 v[38:39], v[36:37], off offset:-4
	s_or_b64 exec, exec, s[10:11]
	s_and_saveexec_b64 s[2:3], s[6:7]
	s_cbranch_execz .LBB96_22
.LBB96_26:                              ;   in Loop: Header=BB96_4 Depth=1
	s_waitcnt vmcnt(0)
	v_mul_f32_e32 v36, v47, v56
	v_mul_f32_e32 v1, v47, v57
	v_fmac_f32_e32 v36, v46, v57
	v_fma_f32 v1, v46, v56, -v1
	v_mul_f32_e32 v37, s13, v36
	v_fma_f32 v37, v1, s12, -v37
	v_mul_f32_e32 v38, s13, v1
	v_fmac_f32_e32 v38, s12, v36
	v_cndmask_b32_e64 v1, v37, v1, s[0:1]
	v_cndmask_b32_e64 v37, v38, v36, s[0:1]
	v_add_f32_e32 v36, v48, v1
	v_mov_b32_e32 v1, s17
	v_add_co_u32_e32 v38, vcc, s16, v22
	v_add_f32_e32 v37, v49, v37
	v_addc_co_u32_e32 v39, vcc, v23, v1, vcc
	global_store_dwordx2 v[38:39], v[36:37], off offset:-4
	s_or_b64 exec, exec, s[2:3]
	s_and_saveexec_b64 s[2:3], s[8:9]
	s_cbranch_execz .LBB96_3
.LBB96_27:                              ;   in Loop: Header=BB96_4 Depth=1
	s_waitcnt vmcnt(0)
	v_mov_b32_e32 v36, v53
	v_pk_mul_f32 v[36:37], v[36:37], v[58:59] op_sel_hi:[0,1]
	v_pk_fma_f32 v[38:39], v[52:53], v[58:59], v[36:37] op_sel:[0,0,1] op_sel_hi:[0,1,0] neg_lo:[0,0,1] neg_hi:[0,0,1]
	v_pk_fma_f32 v[36:37], v[52:53], v[58:59], v[36:37] op_sel:[0,0,1] op_sel_hi:[0,1,0]
	v_pk_mul_f32 v[40:41], v[36:37], s[12:13] op_sel:[1,0]
	v_pk_fma_f32 v[42:43], v[38:39], s[12:13], v[40:41] op_sel:[0,0,1] op_sel_hi:[1,1,0] neg_lo:[0,0,1] neg_hi:[0,0,1]
	v_pk_fma_f32 v[40:41], v[38:39], s[12:13], v[40:41] op_sel:[0,0,1] op_sel_hi:[0,1,0]
	v_cndmask_b32_e64 v37, v41, v37, s[0:1]
	v_cndmask_b32_e64 v36, v42, v38, s[0:1]
	v_mov_b32_e32 v1, s17
	v_add_co_u32_e32 v38, vcc, s16, v14
	v_pk_add_f32 v[36:37], v[54:55], v[36:37]
	v_addc_co_u32_e32 v39, vcc, v15, v1, vcc
	global_store_dwordx2 v[38:39], v[36:37], off
	s_branch .LBB96_3
.LBB96_28:
	s_mov_b64 s[0:1], 0
.LBB96_29:
	s_andn2_b64 vcc, exec, s[0:1]
	s_cbranch_vccnz .LBB96_33
; %bb.30:
	v_mov_b32_e32 v3, 0
	v_lshlrev_b32_e32 v2, 2, v0
	s_mov_b32 s0, 0
	v_cmp_gt_i64_e32 vcc, s[14:15], v[2:3]
	s_and_saveexec_b64 s[2:3], vcc
	s_cbranch_execz .LBB96_33
; %bb.31:
	s_load_dword s1, s[4:5], 0xd14
	s_and_b32 s4, s13, 0x7fffffff
	s_cmp_eq_u32 s4, 0
	v_cmp_eq_f32_e64 s[2:3], s12, 1.0
	s_cselect_b64 s[4:5], -1, 0
	s_waitcnt lgkmcnt(0)
	s_and_b32 s1, s1, 0xffff
	s_and_b64 vcc, s[2:3], s[4:5]
	v_add_lshl_u32 v2, v0, s1, 2
	s_lshl_b32 s10, s1, 2
	v_lshlrev_b32_e32 v0, 5, v0
	s_lshl_b32 s11, s1, 5
	s_mov_b64 s[6:7], 0
	s_mov_b64 s[8:9], 0xffff
	v_mov_b32_e32 v1, s0
.LBB96_32:                              ; =>This Inner Loop Header: Depth=1
	v_mov_b32_e32 v5, s29
	v_add_co_u32_e64 v28, s[0:1], s28, v0
	v_mov_b32_e32 v4, s27
	v_mov_b32_e32 v6, s31
	v_add_co_u32_e64 v30, s[2:3], s30, v0
	v_add_co_u32_e64 v32, s[4:5], s26, v0
	v_addc_co_u32_e64 v29, s[0:1], 0, v5, s[0:1]
	v_addc_co_u32_e64 v33, s[4:5], 0, v4, s[4:5]
	;; [unrolled: 1-line block ×3, first 2 shown]
	global_load_dwordx4 v[4:7], v[28:29], off
	global_load_dwordx4 v[8:11], v[30:31], off
	global_load_dwordx4 v[12:15], v[28:29], off offset:16
	global_load_dwordx4 v[16:19], v[30:31], off offset:16
	global_load_dwordx4 v[20:23], v[32:33], off
	global_load_dwordx4 v[24:27], v[32:33], off offset:16
	v_cmp_le_i64_e64 s[0:1], s[14:15], v[2:3]
	v_cmp_lt_u64_e64 s[2:3], s[8:9], v[2:3]
	s_or_b64 s[0:1], s[0:1], s[2:3]
	v_add_co_u32_e64 v2, s[4:5], s10, v2
	s_add_u32 s26, s26, s11
	v_addc_co_u32_e64 v3, s[4:5], v3, v1, s[4:5]
	s_addc_u32 s27, s27, 0
	v_add_co_u32_e64 v28, s[4:5], s33, v0
	s_add_u32 s33, s33, s11
	v_mov_b32_e32 v29, s34
	s_addc_u32 s34, s34, 0
	s_add_u32 s28, s28, s11
	s_addc_u32 s29, s29, 0
	s_add_u32 s30, s30, s11
	s_addc_u32 s31, s31, 0
	s_and_b64 s[0:1], exec, s[0:1]
	v_addc_co_u32_e64 v29, s[4:5], 0, v29, s[4:5]
	s_or_b64 s[6:7], s[0:1], s[6:7]
	s_waitcnt vmcnt(4)
	v_mul_f32_e32 v30, v5, v9
	v_mul_f32_e32 v9, v4, v9
	;; [unrolled: 1-line block ×4, first 2 shown]
	s_waitcnt vmcnt(2)
	v_mul_f32_e32 v32, v13, v17
	v_mul_f32_e32 v17, v12, v17
	;; [unrolled: 1-line block ×4, first 2 shown]
	v_fma_f32 v4, v4, v8, -v30
	v_fmac_f32_e32 v9, v5, v8
	v_fma_f32 v5, v6, v10, -v31
	v_fmac_f32_e32 v11, v7, v10
	;; [unrolled: 2-line block ×4, first 2 shown]
	v_mul_f32_e32 v8, s13, v9
	v_mul_f32_e32 v10, s13, v4
	;; [unrolled: 1-line block ×8, first 2 shown]
	v_fma_f32 v8, v4, s12, -v8
	v_fmac_f32_e32 v10, s12, v9
	v_fma_f32 v12, v5, s12, -v12
	v_fmac_f32_e32 v13, s12, v11
	;; [unrolled: 2-line block ×4, first 2 shown]
	v_cndmask_b32_e32 v4, v8, v4, vcc
	v_cndmask_b32_e32 v8, v10, v9, vcc
	;; [unrolled: 1-line block ×8, first 2 shown]
	s_waitcnt vmcnt(1)
	v_add_f32_e32 v4, v20, v4
	v_add_f32_e32 v5, v21, v8
	;; [unrolled: 1-line block ×4, first 2 shown]
	s_waitcnt vmcnt(0)
	v_add_f32_e32 v8, v24, v11
	v_add_f32_e32 v9, v25, v12
	;; [unrolled: 1-line block ×4, first 2 shown]
	global_store_dwordx4 v[28:29], v[4:7], off
	global_store_dwordx4 v[28:29], v[8:11], off offset:16
	s_andn2_b64 exec, exec, s[6:7]
	s_cbranch_execnz .LBB96_32
.LBB96_33:
	s_endpgm
	.section	.rodata,"a",@progbits
	.p2align	6, 0x0
	.amdhsa_kernel _ZN2at6native12_GLOBAL__N_125multi_tensor_apply_kernelINS1_28TensorListScalarListMetadataIN3c107complexIfEELi4EEENS1_28PointwiseOpScalarListFunctorIS6_Li4ELi3ELi3EEEJSt10multipliesIS6_EEEEvT_T0_DpT1_
		.amdhsa_group_segment_fixed_size 0
		.amdhsa_private_segment_fixed_size 0
		.amdhsa_kernarg_size 3592
		.amdhsa_user_sgpr_count 6
		.amdhsa_user_sgpr_private_segment_buffer 1
		.amdhsa_user_sgpr_dispatch_ptr 0
		.amdhsa_user_sgpr_queue_ptr 0
		.amdhsa_user_sgpr_kernarg_segment_ptr 1
		.amdhsa_user_sgpr_dispatch_id 0
		.amdhsa_user_sgpr_flat_scratch_init 0
		.amdhsa_user_sgpr_kernarg_preload_length 0
		.amdhsa_user_sgpr_kernarg_preload_offset 0
		.amdhsa_user_sgpr_private_segment_size 0
		.amdhsa_uses_dynamic_stack 0
		.amdhsa_system_sgpr_private_segment_wavefront_offset 0
		.amdhsa_system_sgpr_workgroup_id_x 1
		.amdhsa_system_sgpr_workgroup_id_y 0
		.amdhsa_system_sgpr_workgroup_id_z 0
		.amdhsa_system_sgpr_workgroup_info 0
		.amdhsa_system_vgpr_workitem_id 0
		.amdhsa_next_free_vgpr 60
		.amdhsa_next_free_sgpr 43
		.amdhsa_accum_offset 60
		.amdhsa_reserve_vcc 1
		.amdhsa_reserve_flat_scratch 0
		.amdhsa_float_round_mode_32 0
		.amdhsa_float_round_mode_16_64 0
		.amdhsa_float_denorm_mode_32 3
		.amdhsa_float_denorm_mode_16_64 3
		.amdhsa_dx10_clamp 1
		.amdhsa_ieee_mode 1
		.amdhsa_fp16_overflow 0
		.amdhsa_tg_split 0
		.amdhsa_exception_fp_ieee_invalid_op 0
		.amdhsa_exception_fp_denorm_src 0
		.amdhsa_exception_fp_ieee_div_zero 0
		.amdhsa_exception_fp_ieee_overflow 0
		.amdhsa_exception_fp_ieee_underflow 0
		.amdhsa_exception_fp_ieee_inexact 0
		.amdhsa_exception_int_div_zero 0
	.end_amdhsa_kernel
	.section	.text._ZN2at6native12_GLOBAL__N_125multi_tensor_apply_kernelINS1_28TensorListScalarListMetadataIN3c107complexIfEELi4EEENS1_28PointwiseOpScalarListFunctorIS6_Li4ELi3ELi3EEEJSt10multipliesIS6_EEEEvT_T0_DpT1_,"axG",@progbits,_ZN2at6native12_GLOBAL__N_125multi_tensor_apply_kernelINS1_28TensorListScalarListMetadataIN3c107complexIfEELi4EEENS1_28PointwiseOpScalarListFunctorIS6_Li4ELi3ELi3EEEJSt10multipliesIS6_EEEEvT_T0_DpT1_,comdat
.Lfunc_end96:
	.size	_ZN2at6native12_GLOBAL__N_125multi_tensor_apply_kernelINS1_28TensorListScalarListMetadataIN3c107complexIfEELi4EEENS1_28PointwiseOpScalarListFunctorIS6_Li4ELi3ELi3EEEJSt10multipliesIS6_EEEEvT_T0_DpT1_, .Lfunc_end96-_ZN2at6native12_GLOBAL__N_125multi_tensor_apply_kernelINS1_28TensorListScalarListMetadataIN3c107complexIfEELi4EEENS1_28PointwiseOpScalarListFunctorIS6_Li4ELi3ELi3EEEJSt10multipliesIS6_EEEEvT_T0_DpT1_
                                        ; -- End function
	.section	.AMDGPU.csdata,"",@progbits
; Kernel info:
; codeLenInByte = 2616
; NumSgprs: 47
; NumVgprs: 60
; NumAgprs: 0
; TotalNumVgprs: 60
; ScratchSize: 0
; MemoryBound: 0
; FloatMode: 240
; IeeeMode: 1
; LDSByteSize: 0 bytes/workgroup (compile time only)
; SGPRBlocks: 5
; VGPRBlocks: 7
; NumSGPRsForWavesPerEU: 47
; NumVGPRsForWavesPerEU: 60
; AccumOffset: 60
; Occupancy: 8
; WaveLimiterHint : 1
; COMPUTE_PGM_RSRC2:SCRATCH_EN: 0
; COMPUTE_PGM_RSRC2:USER_SGPR: 6
; COMPUTE_PGM_RSRC2:TRAP_HANDLER: 0
; COMPUTE_PGM_RSRC2:TGID_X_EN: 1
; COMPUTE_PGM_RSRC2:TGID_Y_EN: 0
; COMPUTE_PGM_RSRC2:TGID_Z_EN: 0
; COMPUTE_PGM_RSRC2:TIDIG_COMP_CNT: 0
; COMPUTE_PGM_RSRC3_GFX90A:ACCUM_OFFSET: 14
; COMPUTE_PGM_RSRC3_GFX90A:TG_SPLIT: 0
	.section	.text._ZN2at6native12_GLOBAL__N_125multi_tensor_apply_kernelINS1_28TensorListScalarListMetadataIfLi4EEENS1_28PointwiseOpScalarListFunctorIN3c104HalfELi4ELi3ELi3EEEJSt10multipliesIfEEEEvT_T0_DpT1_,"axG",@progbits,_ZN2at6native12_GLOBAL__N_125multi_tensor_apply_kernelINS1_28TensorListScalarListMetadataIfLi4EEENS1_28PointwiseOpScalarListFunctorIN3c104HalfELi4ELi3ELi3EEEJSt10multipliesIfEEEEvT_T0_DpT1_,comdat
	.globl	_ZN2at6native12_GLOBAL__N_125multi_tensor_apply_kernelINS1_28TensorListScalarListMetadataIfLi4EEENS1_28PointwiseOpScalarListFunctorIN3c104HalfELi4ELi3ELi3EEEJSt10multipliesIfEEEEvT_T0_DpT1_ ; -- Begin function _ZN2at6native12_GLOBAL__N_125multi_tensor_apply_kernelINS1_28TensorListScalarListMetadataIfLi4EEENS1_28PointwiseOpScalarListFunctorIN3c104HalfELi4ELi3ELi3EEEJSt10multipliesIfEEEEvT_T0_DpT1_
	.p2align	8
	.type	_ZN2at6native12_GLOBAL__N_125multi_tensor_apply_kernelINS1_28TensorListScalarListMetadataIfLi4EEENS1_28PointwiseOpScalarListFunctorIN3c104HalfELi4ELi3ELi3EEEJSt10multipliesIfEEEEvT_T0_DpT1_,@function
_ZN2at6native12_GLOBAL__N_125multi_tensor_apply_kernelINS1_28TensorListScalarListMetadataIfLi4EEENS1_28PointwiseOpScalarListFunctorIN3c104HalfELi4ELi3ELi3EEEJSt10multipliesIfEEEEvT_T0_DpT1_: ; @_ZN2at6native12_GLOBAL__N_125multi_tensor_apply_kernelINS1_28TensorListScalarListMetadataIfLi4EEENS1_28PointwiseOpScalarListFunctorIN3c104HalfELi4ELi3ELi3EEEJSt10multipliesIfEEEEvT_T0_DpT1_
; %bb.0:
	v_mov_b32_e32 v1, s6
	global_load_ubyte v1, v1, s[4:5] offset:1584
	s_add_u32 s0, s4, s6
	s_mul_i32 s1, s6, 3
	s_addc_u32 s2, s5, 0
	s_mul_hi_u32 s3, s6, 3
	s_add_u32 s0, s0, s1
	s_addc_u32 s1, s2, s3
	s_load_dword s0, s[0:1], 0x770
	s_mov_b32 s3, 0
	s_waitcnt vmcnt(0)
	v_readfirstlane_b32 s1, v1
	s_lshl_b32 s2, s1, 3
	s_waitcnt lgkmcnt(0)
	s_ashr_i32 s1, s0, 31
	s_load_dwordx2 s[16:17], s[4:5], s2 offset:0x480
	s_load_dwordx2 s[20:21], s[4:5], s2 offset:0x0
	;; [unrolled: 1-line block ×5, first 2 shown]
	s_add_u32 s2, s4, s2
	s_addc_u32 s12, s5, 0
	s_lshl_b64 s[14:15], s[0:1], 17
	s_waitcnt lgkmcnt(0)
	s_add_u32 s24, s20, s14
	v_lshlrev_b32_e32 v1, 2, v1
	s_addc_u32 s25, s21, s15
	s_and_b32 s22, s24, 7
	v_mov_b32_e32 v3, s12
	v_sub_co_u32_e32 v2, vcc, s2, v1
	s_add_u32 s27, s10, s14
	v_subbrev_co_u32_e32 v1, vcc, 0, v3, vcc
	s_addc_u32 s28, s11, s15
	s_and_b32 s2, s27, 7
	v_readfirstlane_b32 s12, v2
	v_readfirstlane_b32 s13, v1
	s_cmp_eq_u64 s[2:3], 0
	s_load_dword s26, s[12:13], 0x5a0
	s_cselect_b64 s[12:13], -1, 0
	s_add_u32 s29, s8, s14
	s_addc_u32 s30, s9, s15
	s_add_u32 s31, s6, s14
	s_addc_u32 s33, s7, s15
	s_or_b32 s2, s31, s29
	s_and_b32 s2, s2, 7
	s_cmp_eq_u32 s2, 0
	s_cselect_b64 s[18:19], -1, 0
	s_lshl_b64 s[0:1], s[0:1], 16
	s_and_b64 s[18:19], s[18:19], s[12:13]
	s_sub_u32 s12, s16, s0
	s_subb_u32 s13, s17, s1
	s_and_b32 s0, s16, 3
	s_or_b32 s2, s22, s0
	s_cmp_eq_u64 s[2:3], 0
	s_cselect_b64 s[0:1], -1, 0
	s_and_b64 s[2:3], s[18:19], s[0:1]
	s_mov_b64 s[0:1], -1
	s_and_b64 vcc, exec, s[2:3]
	s_cbranch_vccnz .LBB97_45
; %bb.1:
	v_cmp_lt_i64_e64 s[0:1], s[12:13], 1
	s_and_b64 vcc, exec, s[0:1]
	s_cbranch_vccnz .LBB97_44
; %bb.2:
	s_load_dword s0, s[4:5], 0xc84
	v_mov_b32_e32 v19, 0
	v_lshlrev_b32_e32 v18, 1, v0
	v_mov_b32_e32 v21, s21
	v_mov_b32_e32 v23, s11
	s_waitcnt lgkmcnt(0)
	s_and_b32 s22, s0, 0xffff
	v_mad_u64_u32 v[16:17], s[2:3], s22, 6, v[18:19]
	v_add_co_u32_e64 v10, s[2:3], s20, v16
	v_addc_co_u32_e64 v5, s[2:3], v21, v17, s[2:3]
	v_add_co_u32_e64 v12, s[2:3], s10, v16
	v_addc_co_u32_e64 v7, s[2:3], v23, v17, s[2:3]
	v_mov_b32_e32 v27, s9
	v_add_co_u32_e64 v14, s[2:3], s8, v16
	v_mov_b32_e32 v2, 0x10000
	v_addc_co_u32_e64 v9, s[2:3], v27, v17, s[2:3]
	v_mov_b32_e32 v3, 0
	v_mov_b32_e32 v31, s7
	v_add_co_u32_e64 v16, s[2:3], s6, v16
	v_cmp_lt_u64_e32 vcc, s[12:13], v[2:3]
	s_mul_i32 s37, s22, 3
	v_addc_co_u32_e64 v11, s[2:3], v31, v17, s[2:3]
	s_and_b64 s[0:1], vcc, exec
	v_add_co_u32_e32 v2, vcc, s20, v18
	v_add_co_u32_e64 v33, s[2:3], s37, v0
	s_cselect_b32 s17, s13, 0
	s_cselect_b32 s16, s12, 0x10000
	s_lshl_b32 s35, s22, 2
	v_addc_co_u32_e32 v1, vcc, 0, v21, vcc
	v_addc_co_u32_e64 v34, s[2:3], 0, 0, s[2:3]
	v_add_co_u32_e32 v4, vcc, s10, v18
	v_add_co_u32_e64 v19, s[2:3], s35, v18
	v_addc_co_u32_e32 v3, vcc, 0, v23, vcc
	v_addc_co_u32_e64 v25, s[2:3], 0, 0, s[2:3]
	v_add_co_u32_e32 v6, vcc, s8, v18
	v_add_co_u32_e64 v8, s[0:1], s6, v18
	v_add_co_u32_e64 v18, s[2:3], s20, v19
	v_addc_co_u32_e64 v13, s[2:3], v21, v25, s[2:3]
	v_add_co_u32_e64 v20, s[2:3], s10, v19
	v_addc_co_u32_e64 v15, s[2:3], v23, v25, s[2:3]
	;; [unrolled: 2-line block ×3, first 2 shown]
	v_add_co_u32_e64 v24, s[2:3], s6, v19
	s_lshl_b32 s23, s22, 1
	v_addc_co_u32_e64 v19, s[2:3], v31, v25, s[2:3]
	v_add_co_u32_e64 v35, s[2:3], s23, v0
	v_addc_co_u32_e64 v36, s[2:3], 0, 0, s[2:3]
	v_add_co_u32_e64 v37, s[2:3], s22, v0
	v_addc_co_u32_e64 v38, s[2:3], 0, 0, s[2:3]
	v_lshlrev_b32_e32 v29, 1, v37
	v_addc_co_u32_e32 v25, vcc, 0, v27, vcc
	v_add_co_u32_e64 v26, s[2:3], s20, v29
	v_add_co_u32_e32 v30, vcc, s8, v29
	v_addc_co_u32_e64 v21, s[2:3], 0, v21, s[2:3]
	v_addc_co_u32_e32 v27, vcc, 0, v27, vcc
	v_add_co_u32_e64 v28, s[2:3], s10, v29
	v_add_co_u32_e32 v32, vcc, s6, v29
	s_mov_b32 s34, 0
	v_cmp_neq_f32_e64 s[18:19], s26, 1.0
	s_lshl_b32 s36, s22, 3
	s_mov_b64 s[20:21], 0
	v_addc_co_u32_e64 v23, s[2:3], 0, v23, s[2:3]
	v_addc_co_u32_e64 v29, s[0:1], 0, v31, s[0:1]
	v_addc_co_u32_e32 v31, vcc, 0, v31, vcc
	s_branch .LBB97_4
.LBB97_3:                               ;   in Loop: Header=BB97_4 Depth=1
	s_or_b64 exec, exec, s[0:1]
	v_mov_b32_e32 v39, s34
	v_add_co_u32_e64 v2, s[2:3], s36, v2
	v_addc_co_u32_e64 v1, s[2:3], v1, v39, s[2:3]
	v_add_co_u32_e64 v4, s[2:3], s36, v4
	v_addc_co_u32_e64 v3, s[2:3], v3, v39, s[2:3]
	;; [unrolled: 2-line block ×12, first 2 shown]
	v_add_co_u32_e64 v26, s[2:3], s36, v26
	s_add_u32 s20, s20, s35
	v_addc_co_u32_e64 v21, s[2:3], v21, v39, s[2:3]
	s_addc_u32 s21, s21, 0
	v_pk_mov_b32 v[40:41], s[12:13], s[12:13] op_sel:[0,1]
	v_add_co_u32_e64 v28, s[2:3], s36, v28
	v_cmp_ge_i64_e32 vcc, s[20:21], v[40:41]
	v_mov_b32_e32 v40, 0xffff
	v_addc_co_u32_e64 v23, s[2:3], v23, v39, s[2:3]
	v_mov_b32_e32 v41, 0
	v_add_co_u32_e64 v30, s[2:3], s36, v30
	v_cmp_gt_u64_e64 s[0:1], s[20:21], v[40:41]
	v_addc_co_u32_e64 v27, s[2:3], v27, v39, s[2:3]
	v_add_co_u32_e64 v32, s[2:3], s36, v32
	s_or_b64 s[0:1], vcc, s[0:1]
	v_addc_co_u32_e64 v31, s[2:3], v31, v39, s[2:3]
	s_and_b64 vcc, exec, s[0:1]
	s_cbranch_vccnz .LBB97_44
.LBB97_4:                               ; =>This Inner Loop Header: Depth=1
	v_mov_b32_e32 v39, s21
	v_add_co_u32_e32 v40, vcc, s20, v0
	v_addc_co_u32_e32 v41, vcc, 0, v39, vcc
	v_cmp_gt_u64_e64 s[0:1], s[16:17], v[40:41]
	v_mov_b32_e32 v40, 0
	v_mov_b32_e32 v41, 0
	s_and_saveexec_b64 s[2:3], s[0:1]
	s_cbranch_execz .LBB97_6
; %bb.5:                                ;   in Loop: Header=BB97_4 Depth=1
	v_mov_b32_e32 v39, s15
	v_add_co_u32_e32 v42, vcc, s14, v2
	v_addc_co_u32_e32 v43, vcc, v1, v39, vcc
	v_add_co_u32_e32 v44, vcc, s14, v4
	v_addc_co_u32_e32 v45, vcc, v3, v39, vcc
	global_load_ushort v40, v[42:43], off
	global_load_ushort v41, v[44:45], off
.LBB97_6:                               ;   in Loop: Header=BB97_4 Depth=1
	s_or_b64 exec, exec, s[2:3]
	v_mov_b32_e32 v39, 0
	v_mov_b32_e32 v44, 0
	s_and_saveexec_b64 s[2:3], s[0:1]
	s_cbranch_execz .LBB97_8
; %bb.7:                                ;   in Loop: Header=BB97_4 Depth=1
	v_mov_b32_e32 v43, s15
	v_add_co_u32_e32 v42, vcc, s14, v6
	v_addc_co_u32_e32 v43, vcc, v25, v43, vcc
	global_load_ushort v44, v[42:43], off
.LBB97_8:                               ;   in Loop: Header=BB97_4 Depth=1
	s_or_b64 exec, exec, s[2:3]
	v_mov_b32_e32 v43, s21
	v_add_co_u32_e32 v42, vcc, s20, v37
	v_addc_co_u32_e32 v43, vcc, v38, v43, vcc
	v_cmp_gt_u64_e64 s[2:3], s[16:17], v[42:43]
	v_mov_b32_e32 v43, 0
	s_and_saveexec_b64 s[6:7], s[2:3]
	s_cbranch_execz .LBB97_10
; %bb.9:                                ;   in Loop: Header=BB97_4 Depth=1
	v_mov_b32_e32 v39, s15
	v_add_co_u32_e32 v46, vcc, s14, v26
	v_addc_co_u32_e32 v47, vcc, v21, v39, vcc
	v_add_co_u32_e32 v48, vcc, s14, v28
	v_addc_co_u32_e32 v49, vcc, v23, v39, vcc
	global_load_ushort v39, v[46:47], off
	global_load_ushort v43, v[48:49], off
.LBB97_10:                              ;   in Loop: Header=BB97_4 Depth=1
	s_or_b64 exec, exec, s[6:7]
	v_mov_b32_e32 v42, 0
	v_mov_b32_e32 v47, 0
	s_and_saveexec_b64 s[6:7], s[2:3]
	s_cbranch_execz .LBB97_12
; %bb.11:                               ;   in Loop: Header=BB97_4 Depth=1
	v_mov_b32_e32 v45, s15
	v_add_co_u32_e32 v46, vcc, s14, v30
	v_addc_co_u32_e32 v47, vcc, v27, v45, vcc
	global_load_ushort v47, v[46:47], off
.LBB97_12:                              ;   in Loop: Header=BB97_4 Depth=1
	s_or_b64 exec, exec, s[6:7]
	v_mov_b32_e32 v45, s21
	v_add_co_u32_e32 v48, vcc, s20, v35
	v_addc_co_u32_e32 v49, vcc, v36, v45, vcc
	v_cmp_gt_u64_e64 s[6:7], s[16:17], v[48:49]
	v_mov_b32_e32 v46, 0
	s_and_saveexec_b64 s[8:9], s[6:7]
	s_cbranch_execz .LBB97_14
; %bb.13:                               ;   in Loop: Header=BB97_4 Depth=1
	v_mov_b32_e32 v42, s15
	v_add_co_u32_e32 v48, vcc, s14, v18
	v_addc_co_u32_e32 v49, vcc, v13, v42, vcc
	v_add_co_u32_e32 v50, vcc, s14, v20
	v_addc_co_u32_e32 v51, vcc, v15, v42, vcc
	global_load_ushort v42, v[48:49], off
	global_load_ushort v46, v[50:51], off
.LBB97_14:                              ;   in Loop: Header=BB97_4 Depth=1
	s_or_b64 exec, exec, s[8:9]
	v_mov_b32_e32 v45, 0
	v_mov_b32_e32 v48, 0
	s_and_saveexec_b64 s[8:9], s[6:7]
	s_cbranch_execz .LBB97_16
; %bb.15:                               ;   in Loop: Header=BB97_4 Depth=1
	v_mov_b32_e32 v49, s15
	v_add_co_u32_e32 v48, vcc, s14, v22
	v_addc_co_u32_e32 v49, vcc, v17, v49, vcc
	global_load_ushort v48, v[48:49], off
.LBB97_16:                              ;   in Loop: Header=BB97_4 Depth=1
	s_or_b64 exec, exec, s[8:9]
	v_mov_b32_e32 v49, s21
	v_add_co_u32_e32 v50, vcc, s20, v33
	v_addc_co_u32_e32 v51, vcc, v34, v49, vcc
	v_cmp_gt_u64_e64 s[8:9], s[16:17], v[50:51]
	v_mov_b32_e32 v49, 0
	s_and_saveexec_b64 s[10:11], s[8:9]
	s_cbranch_execz .LBB97_18
; %bb.17:                               ;   in Loop: Header=BB97_4 Depth=1
	v_mov_b32_e32 v45, s15
	v_add_co_u32_e32 v50, vcc, s14, v10
	v_addc_co_u32_e32 v51, vcc, v5, v45, vcc
	v_add_co_u32_e32 v52, vcc, s14, v12
	v_addc_co_u32_e32 v53, vcc, v7, v45, vcc
	global_load_ushort v45, v[50:51], off
	global_load_ushort v49, v[52:53], off
.LBB97_18:                              ;   in Loop: Header=BB97_4 Depth=1
	s_or_b64 exec, exec, s[10:11]
	v_mov_b32_e32 v50, 0
	s_and_saveexec_b64 s[10:11], s[8:9]
	s_cbranch_execz .LBB97_20
; %bb.19:                               ;   in Loop: Header=BB97_4 Depth=1
	v_mov_b32_e32 v51, s15
	v_add_co_u32_e32 v50, vcc, s14, v14
	v_addc_co_u32_e32 v51, vcc, v9, v51, vcc
	global_load_ushort v50, v[50:51], off
.LBB97_20:                              ;   in Loop: Header=BB97_4 Depth=1
	s_or_b64 exec, exec, s[10:11]
	s_waitcnt vmcnt(1)
	v_cvt_f32_f16_e32 v51, v40
	s_waitcnt vmcnt(0)
	v_cvt_f32_f16_e32 v41, v41
	v_cvt_f32_f16_e32 v44, v44
	s_and_b64 vcc, exec, s[18:19]
	s_cbranch_vccz .LBB97_40
; %bb.21:                               ;   in Loop: Header=BB97_4 Depth=1
	v_mul_f32_e32 v40, v41, v44
	v_fma_f32 v40, s26, v40, v51
	s_cbranch_execnz .LBB97_23
.LBB97_22:                              ;   in Loop: Header=BB97_4 Depth=1
	v_fmac_f32_e32 v51, v41, v44
	v_mov_b32_e32 v40, v51
.LBB97_23:                              ;   in Loop: Header=BB97_4 Depth=1
	v_cvt_f32_f16_e32 v41, v39
	v_cvt_f32_f16_e32 v43, v43
	v_cvt_f32_f16_e32 v44, v47
	v_cndmask_b32_e64 v39, 0, 1, s[18:19]
	v_cmp_ne_u32_e64 s[10:11], 1, v39
	s_andn2_b64 vcc, exec, s[18:19]
	s_cbranch_vccnz .LBB97_41
; %bb.24:                               ;   in Loop: Header=BB97_4 Depth=1
	v_mul_f32_e32 v39, v43, v44
	v_fma_f32 v39, s26, v39, v41
	s_cbranch_execnz .LBB97_26
.LBB97_25:                              ;   in Loop: Header=BB97_4 Depth=1
	v_fmac_f32_e32 v41, v43, v44
	v_mov_b32_e32 v39, v41
.LBB97_26:                              ;   in Loop: Header=BB97_4 Depth=1
	v_cvt_f32_f16_e32 v42, v42
	v_cvt_f32_f16_e32 v43, v46
	;; [unrolled: 1-line block ×3, first 2 shown]
	s_and_b64 vcc, exec, s[10:11]
	s_cbranch_vccnz .LBB97_42
; %bb.27:                               ;   in Loop: Header=BB97_4 Depth=1
	v_mul_f32_e32 v41, v43, v44
	v_fma_f32 v41, s26, v41, v42
	s_cbranch_execnz .LBB97_29
.LBB97_28:                              ;   in Loop: Header=BB97_4 Depth=1
	v_fmac_f32_e32 v42, v43, v44
	v_mov_b32_e32 v41, v42
.LBB97_29:                              ;   in Loop: Header=BB97_4 Depth=1
	v_cvt_f32_f16_e32 v43, v45
	v_cvt_f32_f16_e32 v44, v49
	;; [unrolled: 1-line block ×3, first 2 shown]
	s_and_b64 vcc, exec, s[10:11]
	s_cbranch_vccnz .LBB97_43
; %bb.30:                               ;   in Loop: Header=BB97_4 Depth=1
	v_mul_f32_e32 v42, v44, v45
	v_fma_f32 v42, s26, v42, v43
	s_cbranch_execnz .LBB97_32
.LBB97_31:                              ;   in Loop: Header=BB97_4 Depth=1
	v_fmac_f32_e32 v43, v44, v45
	v_mov_b32_e32 v42, v43
.LBB97_32:                              ;   in Loop: Header=BB97_4 Depth=1
	s_and_saveexec_b64 s[10:11], s[0:1]
	s_xor_b64 s[0:1], exec, s[10:11]
	s_cbranch_execnz .LBB97_36
; %bb.33:                               ;   in Loop: Header=BB97_4 Depth=1
	s_or_b64 exec, exec, s[0:1]
	s_and_saveexec_b64 s[0:1], s[2:3]
	s_cbranch_execnz .LBB97_37
.LBB97_34:                              ;   in Loop: Header=BB97_4 Depth=1
	s_or_b64 exec, exec, s[0:1]
	s_and_saveexec_b64 s[0:1], s[6:7]
	s_cbranch_execnz .LBB97_38
.LBB97_35:                              ;   in Loop: Header=BB97_4 Depth=1
	s_or_b64 exec, exec, s[0:1]
	s_and_saveexec_b64 s[0:1], s[8:9]
	s_cbranch_execz .LBB97_3
	s_branch .LBB97_39
.LBB97_36:                              ;   in Loop: Header=BB97_4 Depth=1
	v_cvt_f16_f32_e32 v40, v40
	v_mov_b32_e32 v43, s15
	v_add_co_u32_e32 v44, vcc, s14, v8
	v_addc_co_u32_e32 v45, vcc, v29, v43, vcc
	global_store_short v[44:45], v40, off
	s_or_b64 exec, exec, s[0:1]
	s_and_saveexec_b64 s[0:1], s[2:3]
	s_cbranch_execz .LBB97_34
.LBB97_37:                              ;   in Loop: Header=BB97_4 Depth=1
	v_cvt_f16_f32_e32 v39, v39
	v_mov_b32_e32 v40, s15
	v_add_co_u32_e32 v44, vcc, s14, v32
	v_addc_co_u32_e32 v45, vcc, v31, v40, vcc
	global_store_short v[44:45], v39, off
	s_or_b64 exec, exec, s[0:1]
	s_and_saveexec_b64 s[0:1], s[6:7]
	s_cbranch_execz .LBB97_35
.LBB97_38:                              ;   in Loop: Header=BB97_4 Depth=1
	v_cvt_f16_f32_e32 v39, v41
	v_mov_b32_e32 v41, s15
	v_add_co_u32_e32 v40, vcc, s14, v24
	v_addc_co_u32_e32 v41, vcc, v19, v41, vcc
	global_store_short v[40:41], v39, off
	s_or_b64 exec, exec, s[0:1]
	s_and_saveexec_b64 s[0:1], s[8:9]
	s_cbranch_execz .LBB97_3
.LBB97_39:                              ;   in Loop: Header=BB97_4 Depth=1
	v_cvt_f16_f32_e32 v39, v42
	v_mov_b32_e32 v41, s15
	v_add_co_u32_e32 v40, vcc, s14, v16
	v_addc_co_u32_e32 v41, vcc, v11, v41, vcc
	global_store_short v[40:41], v39, off
	s_branch .LBB97_3
.LBB97_40:                              ;   in Loop: Header=BB97_4 Depth=1
                                        ; implicit-def: $vgpr40
	s_branch .LBB97_22
.LBB97_41:                              ;   in Loop: Header=BB97_4 Depth=1
                                        ; implicit-def: $vgpr39
	s_branch .LBB97_25
.LBB97_42:                              ;   in Loop: Header=BB97_4 Depth=1
                                        ; implicit-def: $vgpr41
	s_branch .LBB97_28
.LBB97_43:                              ;   in Loop: Header=BB97_4 Depth=1
                                        ; implicit-def: $vgpr42
	s_branch .LBB97_31
.LBB97_44:
	s_mov_b64 s[0:1], 0
.LBB97_45:
	s_andn2_b64 vcc, exec, s[0:1]
	s_cbranch_vccnz .LBB97_65
; %bb.46:
	v_mov_b32_e32 v3, 0
	v_lshlrev_b32_e32 v2, 2, v0
	s_mov_b32 s2, 0
	v_cmp_gt_i64_e32 vcc, s[12:13], v[2:3]
	s_and_saveexec_b64 s[0:1], vcc
	s_cbranch_execz .LBB97_65
; %bb.47:
	s_load_dword s0, s[4:5], 0xc84
	s_waitcnt lgkmcnt(0)
	v_cmp_neq_f32_e64 s[6:7], s26, 1.0
	v_lshlrev_b32_e32 v4, 3, v0
	s_mov_b64 s[4:5], 0
	s_mov_b64 s[8:9], 0xffff
	s_and_b32 s0, s0, 0xffff
	v_add_lshl_u32 v2, v0, s0, 2
	v_cndmask_b32_e64 v0, 0, 1, s[6:7]
	s_lshl_b32 s10, s0, 3
	s_lshl_b32 s11, s0, 2
	v_cmp_ne_u32_e64 s[0:1], 1, v0
	v_mov_b32_e32 v5, s2
	s_branch .LBB97_49
.LBB97_48:                              ;   in Loop: Header=BB97_49 Depth=1
	v_cvt_f16_f32_e32 v8, v0
	v_mov_b32_e32 v1, s33
	v_add_co_u32_e32 v0, vcc, s31, v4
	v_addc_co_u32_e32 v1, vcc, 0, v1, vcc
	v_cmp_le_i64_e32 vcc, s[12:13], v[2:3]
	v_cmp_lt_u64_e64 s[2:3], s[8:9], v[2:3]
	s_or_b64 s[2:3], vcc, s[2:3]
	s_add_u32 s24, s24, s10
	s_addc_u32 s25, s25, 0
	s_add_u32 s27, s27, s10
	s_addc_u32 s28, s28, 0
	s_add_u32 s29, s29, s10
	v_cvt_f16_f32_e32 v6, v6
	v_cvt_f16_f32_e32 v10, v10
	;; [unrolled: 1-line block ×3, first 2 shown]
	s_addc_u32 s30, s30, 0
	s_add_u32 s31, s31, s10
	s_addc_u32 s33, s33, 0
	s_and_b64 s[2:3], exec, s[2:3]
	v_add_co_u32_e32 v2, vcc, s11, v2
	v_pack_b32_f16 v7, v6, v7
	v_pack_b32_f16 v6, v10, v8
	s_or_b64 s[4:5], s[2:3], s[4:5]
	v_addc_co_u32_e32 v3, vcc, v3, v5, vcc
	global_store_dwordx2 v[0:1], v[6:7], off
	s_andn2_b64 exec, exec, s[4:5]
	s_cbranch_execz .LBB97_65
.LBB97_49:                              ; =>This Inner Loop Header: Depth=1
	v_mov_b32_e32 v1, s25
	v_add_co_u32_e32 v0, vcc, s24, v4
	v_addc_co_u32_e32 v1, vcc, 0, v1, vcc
	v_mov_b32_e32 v7, s28
	v_add_co_u32_e32 v6, vcc, s27, v4
	v_addc_co_u32_e32 v7, vcc, 0, v7, vcc
	;; [unrolled: 3-line block ×3, first 2 shown]
	global_load_dwordx2 v[0:1], v[0:1], off
	s_and_b64 vcc, exec, s[6:7]
	global_load_dwordx2 v[6:7], v[6:7], off
	s_waitcnt vmcnt(1)
	v_cvt_f32_f16_e32 v11, v0
	global_load_dwordx2 v[8:9], v[8:9], off
	s_waitcnt vmcnt(1)
	v_cvt_f32_f16_e32 v12, v6
	s_waitcnt vmcnt(0)
	v_cvt_f32_f16_e32 v13, v8
	s_cbranch_vccz .LBB97_60
; %bb.50:                               ;   in Loop: Header=BB97_49 Depth=1
	v_mul_f32_e32 v10, v12, v13
	v_fma_f32 v10, s26, v10, v11
	s_cbranch_execnz .LBB97_52
.LBB97_51:                              ;   in Loop: Header=BB97_49 Depth=1
	v_fmac_f32_e32 v11, v12, v13
	v_mov_b32_e32 v10, v11
.LBB97_52:                              ;   in Loop: Header=BB97_49 Depth=1
	v_cvt_f32_f16_sdwa v11, v0 dst_sel:DWORD dst_unused:UNUSED_PAD src0_sel:WORD_1
	v_cvt_f32_f16_sdwa v6, v6 dst_sel:DWORD dst_unused:UNUSED_PAD src0_sel:WORD_1
	;; [unrolled: 1-line block ×3, first 2 shown]
	s_and_b64 vcc, exec, s[0:1]
	s_cbranch_vccnz .LBB97_61
; %bb.53:                               ;   in Loop: Header=BB97_49 Depth=1
	v_mul_f32_e32 v0, v6, v8
	v_fma_f32 v0, s26, v0, v11
	s_cbranch_execnz .LBB97_55
.LBB97_54:                              ;   in Loop: Header=BB97_49 Depth=1
	v_fmac_f32_e32 v11, v6, v8
	v_mov_b32_e32 v0, v11
.LBB97_55:                              ;   in Loop: Header=BB97_49 Depth=1
	v_cvt_f32_f16_e32 v8, v1
	v_cvt_f32_f16_e32 v11, v7
	;; [unrolled: 1-line block ×3, first 2 shown]
	s_and_b64 vcc, exec, s[0:1]
	s_cbranch_vccnz .LBB97_62
; %bb.56:                               ;   in Loop: Header=BB97_49 Depth=1
	v_mul_f32_e32 v6, v11, v12
	v_fma_f32 v6, s26, v6, v8
	s_cbranch_execnz .LBB97_58
.LBB97_57:                              ;   in Loop: Header=BB97_49 Depth=1
	v_fmac_f32_e32 v8, v11, v12
	v_mov_b32_e32 v6, v8
.LBB97_58:                              ;   in Loop: Header=BB97_49 Depth=1
	v_cvt_f32_f16_sdwa v1, v1 dst_sel:DWORD dst_unused:UNUSED_PAD src0_sel:WORD_1
	v_cvt_f32_f16_sdwa v7, v7 dst_sel:DWORD dst_unused:UNUSED_PAD src0_sel:WORD_1
	;; [unrolled: 1-line block ×3, first 2 shown]
	s_and_b64 vcc, exec, s[0:1]
	s_cbranch_vccnz .LBB97_63
; %bb.59:                               ;   in Loop: Header=BB97_49 Depth=1
	v_mul_f32_e32 v9, v7, v8
	v_fma_f32 v9, s26, v9, v1
	s_cbranch_execnz .LBB97_48
	s_branch .LBB97_64
.LBB97_60:                              ;   in Loop: Header=BB97_49 Depth=1
                                        ; implicit-def: $vgpr10
	s_branch .LBB97_51
.LBB97_61:                              ;   in Loop: Header=BB97_49 Depth=1
                                        ; implicit-def: $vgpr0
	s_branch .LBB97_54
.LBB97_62:                              ;   in Loop: Header=BB97_49 Depth=1
                                        ; implicit-def: $vgpr6
	s_branch .LBB97_57
.LBB97_63:                              ;   in Loop: Header=BB97_49 Depth=1
                                        ; implicit-def: $vgpr9
.LBB97_64:                              ;   in Loop: Header=BB97_49 Depth=1
	v_fmac_f32_e32 v1, v7, v8
	v_mov_b32_e32 v9, v1
	s_branch .LBB97_48
.LBB97_65:
	s_endpgm
	.section	.rodata,"a",@progbits
	.p2align	6, 0x0
	.amdhsa_kernel _ZN2at6native12_GLOBAL__N_125multi_tensor_apply_kernelINS1_28TensorListScalarListMetadataIfLi4EEENS1_28PointwiseOpScalarListFunctorIN3c104HalfELi4ELi3ELi3EEEJSt10multipliesIfEEEEvT_T0_DpT1_
		.amdhsa_group_segment_fixed_size 0
		.amdhsa_private_segment_fixed_size 0
		.amdhsa_kernarg_size 3448
		.amdhsa_user_sgpr_count 6
		.amdhsa_user_sgpr_private_segment_buffer 1
		.amdhsa_user_sgpr_dispatch_ptr 0
		.amdhsa_user_sgpr_queue_ptr 0
		.amdhsa_user_sgpr_kernarg_segment_ptr 1
		.amdhsa_user_sgpr_dispatch_id 0
		.amdhsa_user_sgpr_flat_scratch_init 0
		.amdhsa_user_sgpr_kernarg_preload_length 0
		.amdhsa_user_sgpr_kernarg_preload_offset 0
		.amdhsa_user_sgpr_private_segment_size 0
		.amdhsa_uses_dynamic_stack 0
		.amdhsa_system_sgpr_private_segment_wavefront_offset 0
		.amdhsa_system_sgpr_workgroup_id_x 1
		.amdhsa_system_sgpr_workgroup_id_y 0
		.amdhsa_system_sgpr_workgroup_id_z 0
		.amdhsa_system_sgpr_workgroup_info 0
		.amdhsa_system_vgpr_workitem_id 0
		.amdhsa_next_free_vgpr 54
		.amdhsa_next_free_sgpr 38
		.amdhsa_accum_offset 56
		.amdhsa_reserve_vcc 1
		.amdhsa_reserve_flat_scratch 0
		.amdhsa_float_round_mode_32 0
		.amdhsa_float_round_mode_16_64 0
		.amdhsa_float_denorm_mode_32 3
		.amdhsa_float_denorm_mode_16_64 3
		.amdhsa_dx10_clamp 1
		.amdhsa_ieee_mode 1
		.amdhsa_fp16_overflow 0
		.amdhsa_tg_split 0
		.amdhsa_exception_fp_ieee_invalid_op 0
		.amdhsa_exception_fp_denorm_src 0
		.amdhsa_exception_fp_ieee_div_zero 0
		.amdhsa_exception_fp_ieee_overflow 0
		.amdhsa_exception_fp_ieee_underflow 0
		.amdhsa_exception_fp_ieee_inexact 0
		.amdhsa_exception_int_div_zero 0
	.end_amdhsa_kernel
	.section	.text._ZN2at6native12_GLOBAL__N_125multi_tensor_apply_kernelINS1_28TensorListScalarListMetadataIfLi4EEENS1_28PointwiseOpScalarListFunctorIN3c104HalfELi4ELi3ELi3EEEJSt10multipliesIfEEEEvT_T0_DpT1_,"axG",@progbits,_ZN2at6native12_GLOBAL__N_125multi_tensor_apply_kernelINS1_28TensorListScalarListMetadataIfLi4EEENS1_28PointwiseOpScalarListFunctorIN3c104HalfELi4ELi3ELi3EEEJSt10multipliesIfEEEEvT_T0_DpT1_,comdat
.Lfunc_end97:
	.size	_ZN2at6native12_GLOBAL__N_125multi_tensor_apply_kernelINS1_28TensorListScalarListMetadataIfLi4EEENS1_28PointwiseOpScalarListFunctorIN3c104HalfELi4ELi3ELi3EEEJSt10multipliesIfEEEEvT_T0_DpT1_, .Lfunc_end97-_ZN2at6native12_GLOBAL__N_125multi_tensor_apply_kernelINS1_28TensorListScalarListMetadataIfLi4EEENS1_28PointwiseOpScalarListFunctorIN3c104HalfELi4ELi3ELi3EEEJSt10multipliesIfEEEEvT_T0_DpT1_
                                        ; -- End function
	.section	.AMDGPU.csdata,"",@progbits
; Kernel info:
; codeLenInByte = 2396
; NumSgprs: 42
; NumVgprs: 54
; NumAgprs: 0
; TotalNumVgprs: 54
; ScratchSize: 0
; MemoryBound: 0
; FloatMode: 240
; IeeeMode: 1
; LDSByteSize: 0 bytes/workgroup (compile time only)
; SGPRBlocks: 5
; VGPRBlocks: 6
; NumSGPRsForWavesPerEU: 42
; NumVGPRsForWavesPerEU: 54
; AccumOffset: 56
; Occupancy: 8
; WaveLimiterHint : 0
; COMPUTE_PGM_RSRC2:SCRATCH_EN: 0
; COMPUTE_PGM_RSRC2:USER_SGPR: 6
; COMPUTE_PGM_RSRC2:TRAP_HANDLER: 0
; COMPUTE_PGM_RSRC2:TGID_X_EN: 1
; COMPUTE_PGM_RSRC2:TGID_Y_EN: 0
; COMPUTE_PGM_RSRC2:TGID_Z_EN: 0
; COMPUTE_PGM_RSRC2:TIDIG_COMP_CNT: 0
; COMPUTE_PGM_RSRC3_GFX90A:ACCUM_OFFSET: 13
; COMPUTE_PGM_RSRC3_GFX90A:TG_SPLIT: 0
	.section	.text._ZN2at6native12_GLOBAL__N_125multi_tensor_apply_kernelINS1_28TensorListScalarListMetadataIfLi4EEENS1_28PointwiseOpScalarListFunctorIN3c108BFloat16ELi4ELi3ELi3EEEJSt10multipliesIfEEEEvT_T0_DpT1_,"axG",@progbits,_ZN2at6native12_GLOBAL__N_125multi_tensor_apply_kernelINS1_28TensorListScalarListMetadataIfLi4EEENS1_28PointwiseOpScalarListFunctorIN3c108BFloat16ELi4ELi3ELi3EEEJSt10multipliesIfEEEEvT_T0_DpT1_,comdat
	.globl	_ZN2at6native12_GLOBAL__N_125multi_tensor_apply_kernelINS1_28TensorListScalarListMetadataIfLi4EEENS1_28PointwiseOpScalarListFunctorIN3c108BFloat16ELi4ELi3ELi3EEEJSt10multipliesIfEEEEvT_T0_DpT1_ ; -- Begin function _ZN2at6native12_GLOBAL__N_125multi_tensor_apply_kernelINS1_28TensorListScalarListMetadataIfLi4EEENS1_28PointwiseOpScalarListFunctorIN3c108BFloat16ELi4ELi3ELi3EEEJSt10multipliesIfEEEEvT_T0_DpT1_
	.p2align	8
	.type	_ZN2at6native12_GLOBAL__N_125multi_tensor_apply_kernelINS1_28TensorListScalarListMetadataIfLi4EEENS1_28PointwiseOpScalarListFunctorIN3c108BFloat16ELi4ELi3ELi3EEEJSt10multipliesIfEEEEvT_T0_DpT1_,@function
_ZN2at6native12_GLOBAL__N_125multi_tensor_apply_kernelINS1_28TensorListScalarListMetadataIfLi4EEENS1_28PointwiseOpScalarListFunctorIN3c108BFloat16ELi4ELi3ELi3EEEJSt10multipliesIfEEEEvT_T0_DpT1_: ; @_ZN2at6native12_GLOBAL__N_125multi_tensor_apply_kernelINS1_28TensorListScalarListMetadataIfLi4EEENS1_28PointwiseOpScalarListFunctorIN3c108BFloat16ELi4ELi3ELi3EEEJSt10multipliesIfEEEEvT_T0_DpT1_
; %bb.0:
	v_mov_b32_e32 v1, s6
	global_load_ubyte v1, v1, s[4:5] offset:1584
	s_add_u32 s0, s4, s6
	s_mul_i32 s1, s6, 3
	s_addc_u32 s2, s5, 0
	s_mul_hi_u32 s3, s6, 3
	s_add_u32 s0, s0, s1
	s_addc_u32 s1, s2, s3
	s_load_dword s0, s[0:1], 0x770
	s_mov_b32 s3, 0
	s_waitcnt vmcnt(0)
	v_readfirstlane_b32 s1, v1
	s_lshl_b32 s2, s1, 3
	s_load_dwordx2 s[6:7], s[4:5], s2 offset:0x480
	s_waitcnt lgkmcnt(0)
	s_ashr_i32 s1, s0, 31
	s_load_dwordx2 s[12:13], s[4:5], s2 offset:0x0
	s_load_dwordx2 s[14:15], s[4:5], s2 offset:0x120
	s_load_dwordx2 s[16:17], s[4:5], s2 offset:0x240
	s_load_dwordx2 s[18:19], s[4:5], s2 offset:0x360
	s_add_u32 s2, s4, s2
	v_lshlrev_b32_e32 v1, 2, v1
	s_addc_u32 s8, s5, 0
	s_lshl_b64 s[22:23], s[0:1], 17
	v_mov_b32_e32 v3, s8
	v_sub_co_u32_e32 v2, vcc, s2, v1
	s_waitcnt lgkmcnt(0)
	s_add_u32 s2, s14, s22
	v_subbrev_co_u32_e32 v1, vcc, 0, v3, vcc
	s_and_b32 s24, s12, 7
	s_and_b32 s2, s2, 7
	v_readfirstlane_b32 s8, v2
	v_readfirstlane_b32 s9, v1
	s_cmp_eq_u64 s[2:3], 0
	s_load_dword s33, s[8:9], 0x5a0
	s_cselect_b64 s[8:9], -1, 0
	s_add_u32 s2, s16, s22
	s_or_b32 s2, s18, s2
	s_and_b32 s2, s2, 7
	s_cmp_eq_u32 s2, 0
	s_cselect_b64 s[10:11], -1, 0
	s_lshl_b64 s[0:1], s[0:1], 16
	s_and_b64 s[8:9], s[10:11], s[8:9]
	s_sub_u32 s20, s6, s0
	s_subb_u32 s21, s7, s1
	s_and_b32 s0, s6, 3
	s_or_b32 s2, s24, s0
	s_cmp_eq_u64 s[2:3], 0
	s_cselect_b64 s[0:1], -1, 0
	s_and_b64 s[2:3], s[8:9], s[0:1]
	s_mov_b64 s[0:1], -1
	s_and_b64 vcc, exec, s[2:3]
	s_cbranch_vccnz .LBB98_45
; %bb.1:
	v_cmp_lt_i64_e64 s[0:1], s[20:21], 1
	s_and_b64 vcc, exec, s[0:1]
	s_cbranch_vccnz .LBB98_44
; %bb.2:
	s_load_dword s0, s[4:5], 0xc84
	v_mov_b32_e32 v19, 0
	v_lshlrev_b32_e32 v18, 1, v0
	v_mov_b32_e32 v21, s13
	v_mov_b32_e32 v23, s15
	s_waitcnt lgkmcnt(0)
	s_and_b32 s6, s0, 0xffff
	v_mad_u64_u32 v[16:17], s[2:3], s6, 6, v[18:19]
	v_add_co_u32_e64 v10, s[2:3], s12, v16
	v_addc_co_u32_e64 v5, s[2:3], v21, v17, s[2:3]
	v_add_co_u32_e64 v12, s[2:3], s14, v16
	v_addc_co_u32_e64 v7, s[2:3], v23, v17, s[2:3]
	v_mov_b32_e32 v27, s17
	v_add_co_u32_e64 v14, s[2:3], s16, v16
	v_mov_b32_e32 v2, 0x10000
	v_addc_co_u32_e64 v9, s[2:3], v27, v17, s[2:3]
	v_mov_b32_e32 v3, 0
	v_mov_b32_e32 v31, s19
	v_add_co_u32_e64 v16, s[2:3], s18, v16
	v_cmp_lt_u64_e32 vcc, s[20:21], v[2:3]
	s_mul_i32 s8, s6, 3
	v_addc_co_u32_e64 v11, s[2:3], v31, v17, s[2:3]
	s_and_b64 s[0:1], vcc, exec
	v_add_co_u32_e32 v2, vcc, s12, v18
	v_add_co_u32_e64 v33, s[2:3], s8, v0
	s_cselect_b32 s25, s21, 0
	s_cselect_b32 s24, s20, 0x10000
	s_lshl_b32 s35, s6, 2
	v_addc_co_u32_e32 v1, vcc, 0, v21, vcc
	v_addc_co_u32_e64 v34, s[2:3], 0, 0, s[2:3]
	v_add_co_u32_e32 v4, vcc, s14, v18
	v_add_co_u32_e64 v19, s[2:3], s35, v18
	v_addc_co_u32_e32 v3, vcc, 0, v23, vcc
	v_addc_co_u32_e64 v25, s[2:3], 0, 0, s[2:3]
	v_add_co_u32_e32 v6, vcc, s16, v18
	v_add_co_u32_e64 v8, s[0:1], s18, v18
	v_add_co_u32_e64 v18, s[2:3], s12, v19
	v_addc_co_u32_e64 v13, s[2:3], v21, v25, s[2:3]
	v_add_co_u32_e64 v20, s[2:3], s14, v19
	v_addc_co_u32_e64 v15, s[2:3], v23, v25, s[2:3]
	;; [unrolled: 2-line block ×3, first 2 shown]
	v_add_co_u32_e64 v24, s[2:3], s18, v19
	s_lshl_b32 s7, s6, 1
	v_addc_co_u32_e64 v19, s[2:3], v31, v25, s[2:3]
	v_add_co_u32_e64 v35, s[2:3], s7, v0
	v_addc_co_u32_e64 v36, s[2:3], 0, 0, s[2:3]
	v_add_co_u32_e64 v37, s[2:3], s6, v0
	v_addc_co_u32_e64 v38, s[2:3], 0, 0, s[2:3]
	v_lshlrev_b32_e32 v29, 1, v37
	v_addc_co_u32_e32 v25, vcc, 0, v27, vcc
	v_add_co_u32_e64 v26, s[2:3], s12, v29
	v_add_co_u32_e32 v30, vcc, s16, v29
	v_addc_co_u32_e64 v21, s[2:3], 0, v21, s[2:3]
	v_addc_co_u32_e32 v27, vcc, 0, v27, vcc
	v_add_co_u32_e64 v28, s[2:3], s14, v29
	v_add_co_u32_e32 v32, vcc, s18, v29
	s_mov_b32 s34, 0
	v_cmp_neq_f32_e64 s[26:27], s33, 1.0
	s_lshl_b32 s36, s6, 3
	s_mov_b64 s[28:29], 0
	s_movk_i32 s37, 0x7fff
	v_addc_co_u32_e64 v23, s[2:3], 0, v23, s[2:3]
	v_addc_co_u32_e64 v29, s[0:1], 0, v31, s[0:1]
	v_addc_co_u32_e32 v31, vcc, 0, v31, vcc
	v_mov_b32_e32 v39, 0x7fc0
	s_branch .LBB98_4
.LBB98_3:                               ;   in Loop: Header=BB98_4 Depth=1
	s_or_b64 exec, exec, s[0:1]
	s_add_u32 s28, s28, s35
	s_addc_u32 s29, s29, 0
	v_pk_mov_b32 v[40:41], s[20:21], s[20:21] op_sel:[0,1]
	v_cmp_ge_i64_e32 vcc, s[28:29], v[40:41]
	v_mov_b32_e32 v40, 0xffff
	v_mov_b32_e32 v41, 0
	v_cmp_gt_u64_e64 s[0:1], s[28:29], v[40:41]
	v_mov_b32_e32 v40, s34
	v_add_co_u32_e64 v2, s[2:3], s36, v2
	v_addc_co_u32_e64 v1, s[2:3], v1, v40, s[2:3]
	v_add_co_u32_e64 v4, s[2:3], s36, v4
	v_addc_co_u32_e64 v3, s[2:3], v3, v40, s[2:3]
	;; [unrolled: 2-line block ×15, first 2 shown]
	v_add_co_u32_e64 v32, s[2:3], s36, v32
	s_or_b64 s[0:1], vcc, s[0:1]
	v_addc_co_u32_e64 v31, s[2:3], v31, v40, s[2:3]
	s_and_b64 vcc, exec, s[0:1]
	s_cbranch_vccnz .LBB98_44
.LBB98_4:                               ; =>This Inner Loop Header: Depth=1
	v_mov_b32_e32 v41, s29
	v_add_co_u32_e32 v40, vcc, s28, v0
	v_addc_co_u32_e32 v41, vcc, 0, v41, vcc
	v_cmp_gt_u64_e64 s[0:1], s[24:25], v[40:41]
	v_mov_b32_e32 v41, 0
	v_mov_b32_e32 v42, 0
	s_and_saveexec_b64 s[2:3], s[0:1]
	s_cbranch_execz .LBB98_6
; %bb.5:                                ;   in Loop: Header=BB98_4 Depth=1
	v_mov_b32_e32 v40, s23
	v_add_co_u32_e32 v44, vcc, s22, v2
	v_addc_co_u32_e32 v45, vcc, v1, v40, vcc
	v_add_co_u32_e32 v46, vcc, s22, v4
	v_addc_co_u32_e32 v47, vcc, v3, v40, vcc
	global_load_ushort v41, v[44:45], off
	global_load_ushort v42, v[46:47], off
.LBB98_6:                               ;   in Loop: Header=BB98_4 Depth=1
	s_or_b64 exec, exec, s[2:3]
	v_mov_b32_e32 v40, 0
	v_mov_b32_e32 v45, 0
	s_and_saveexec_b64 s[2:3], s[0:1]
	s_cbranch_execz .LBB98_8
; %bb.7:                                ;   in Loop: Header=BB98_4 Depth=1
	v_mov_b32_e32 v43, s23
	v_add_co_u32_e32 v44, vcc, s22, v6
	v_addc_co_u32_e32 v45, vcc, v25, v43, vcc
	global_load_ushort v45, v[44:45], off
.LBB98_8:                               ;   in Loop: Header=BB98_4 Depth=1
	s_or_b64 exec, exec, s[2:3]
	v_mov_b32_e32 v43, s29
	v_add_co_u32_e32 v46, vcc, s28, v37
	v_addc_co_u32_e32 v47, vcc, v38, v43, vcc
	v_cmp_gt_u64_e64 s[2:3], s[24:25], v[46:47]
	v_mov_b32_e32 v44, 0
	s_and_saveexec_b64 s[6:7], s[2:3]
	s_cbranch_execz .LBB98_10
; %bb.9:                                ;   in Loop: Header=BB98_4 Depth=1
	v_mov_b32_e32 v40, s23
	v_add_co_u32_e32 v46, vcc, s22, v28
	v_addc_co_u32_e32 v47, vcc, v23, v40, vcc
	v_add_co_u32_e32 v48, vcc, s22, v26
	v_addc_co_u32_e32 v49, vcc, v21, v40, vcc
	global_load_ushort v40, v[48:49], off
	global_load_ushort v44, v[46:47], off
.LBB98_10:                              ;   in Loop: Header=BB98_4 Depth=1
	s_or_b64 exec, exec, s[6:7]
	v_mov_b32_e32 v43, 0
	v_mov_b32_e32 v47, 0
	s_and_saveexec_b64 s[6:7], s[2:3]
	s_cbranch_execz .LBB98_12
; %bb.11:                               ;   in Loop: Header=BB98_4 Depth=1
	v_mov_b32_e32 v47, s23
	v_add_co_u32_e32 v46, vcc, s22, v30
	v_addc_co_u32_e32 v47, vcc, v27, v47, vcc
	global_load_ushort v47, v[46:47], off
.LBB98_12:                              ;   in Loop: Header=BB98_4 Depth=1
	s_or_b64 exec, exec, s[6:7]
	v_mov_b32_e32 v46, s29
	v_add_co_u32_e32 v48, vcc, s28, v35
	v_addc_co_u32_e32 v49, vcc, v36, v46, vcc
	v_cmp_gt_u64_e64 s[6:7], s[24:25], v[48:49]
	v_mov_b32_e32 v48, 0
	s_and_saveexec_b64 s[8:9], s[6:7]
	s_cbranch_execz .LBB98_14
; %bb.13:                               ;   in Loop: Header=BB98_4 Depth=1
	v_mov_b32_e32 v43, s23
	v_add_co_u32_e32 v50, vcc, s22, v20
	v_addc_co_u32_e32 v51, vcc, v15, v43, vcc
	v_add_co_u32_e32 v52, vcc, s22, v18
	v_addc_co_u32_e32 v53, vcc, v13, v43, vcc
	global_load_ushort v43, v[52:53], off
	global_load_ushort v48, v[50:51], off
.LBB98_14:                              ;   in Loop: Header=BB98_4 Depth=1
	s_or_b64 exec, exec, s[8:9]
	v_mov_b32_e32 v46, 0
	v_mov_b32_e32 v49, 0
	s_and_saveexec_b64 s[8:9], s[6:7]
	s_cbranch_execz .LBB98_16
; %bb.15:                               ;   in Loop: Header=BB98_4 Depth=1
	v_mov_b32_e32 v49, s23
	v_add_co_u32_e32 v50, vcc, s22, v22
	v_addc_co_u32_e32 v51, vcc, v17, v49, vcc
	global_load_ushort v49, v[50:51], off
.LBB98_16:                              ;   in Loop: Header=BB98_4 Depth=1
	s_or_b64 exec, exec, s[8:9]
	v_mov_b32_e32 v51, s29
	v_add_co_u32_e32 v50, vcc, s28, v33
	v_addc_co_u32_e32 v51, vcc, v34, v51, vcc
	v_cmp_gt_u64_e64 s[8:9], s[24:25], v[50:51]
	v_mov_b32_e32 v50, 0
	s_and_saveexec_b64 s[10:11], s[8:9]
	s_cbranch_execz .LBB98_18
; %bb.17:                               ;   in Loop: Header=BB98_4 Depth=1
	v_mov_b32_e32 v46, s23
	v_add_co_u32_e32 v52, vcc, s22, v12
	v_addc_co_u32_e32 v53, vcc, v7, v46, vcc
	v_add_co_u32_e32 v54, vcc, s22, v10
	v_addc_co_u32_e32 v55, vcc, v5, v46, vcc
	global_load_ushort v46, v[54:55], off
	global_load_ushort v50, v[52:53], off
.LBB98_18:                              ;   in Loop: Header=BB98_4 Depth=1
	s_or_b64 exec, exec, s[10:11]
	v_mov_b32_e32 v51, 0
	s_and_saveexec_b64 s[10:11], s[8:9]
	s_cbranch_execz .LBB98_20
; %bb.19:                               ;   in Loop: Header=BB98_4 Depth=1
	v_mov_b32_e32 v51, s23
	v_add_co_u32_e32 v52, vcc, s22, v14
	v_addc_co_u32_e32 v53, vcc, v9, v51, vcc
	global_load_ushort v51, v[52:53], off
.LBB98_20:                              ;   in Loop: Header=BB98_4 Depth=1
	s_or_b64 exec, exec, s[10:11]
	s_waitcnt vmcnt(1)
	v_lshlrev_b32_e32 v52, 16, v41
	s_waitcnt vmcnt(0)
	v_lshlrev_b32_e32 v42, 16, v42
	v_lshlrev_b32_e32 v45, 16, v45
	s_and_b64 vcc, exec, s[26:27]
	s_cbranch_vccz .LBB98_40
; %bb.21:                               ;   in Loop: Header=BB98_4 Depth=1
	v_mul_f32_e32 v41, v42, v45
	v_fma_f32 v41, s33, v41, v52
	s_cbranch_execnz .LBB98_23
.LBB98_22:                              ;   in Loop: Header=BB98_4 Depth=1
	v_fmac_f32_e32 v52, v42, v45
	v_mov_b32_e32 v41, v52
.LBB98_23:                              ;   in Loop: Header=BB98_4 Depth=1
	v_lshlrev_b32_e32 v42, 16, v40
	v_cndmask_b32_e64 v40, 0, 1, s[26:27]
	v_lshlrev_b32_e32 v44, 16, v44
	v_cmp_ne_u32_e64 s[10:11], 1, v40
	s_andn2_b64 vcc, exec, s[26:27]
	v_lshlrev_b32_e32 v45, 16, v47
	s_cbranch_vccnz .LBB98_41
; %bb.24:                               ;   in Loop: Header=BB98_4 Depth=1
	v_mul_f32_e32 v40, v44, v45
	v_fma_f32 v40, s33, v40, v42
	s_cbranch_execnz .LBB98_26
.LBB98_25:                              ;   in Loop: Header=BB98_4 Depth=1
	v_fmac_f32_e32 v42, v44, v45
	v_mov_b32_e32 v40, v42
.LBB98_26:                              ;   in Loop: Header=BB98_4 Depth=1
	v_lshlrev_b32_e32 v43, 16, v43
	v_lshlrev_b32_e32 v44, 16, v48
	s_and_b64 vcc, exec, s[10:11]
	v_lshlrev_b32_e32 v45, 16, v49
	s_cbranch_vccnz .LBB98_42
; %bb.27:                               ;   in Loop: Header=BB98_4 Depth=1
	v_mul_f32_e32 v42, v44, v45
	v_fma_f32 v42, s33, v42, v43
	s_cbranch_execnz .LBB98_29
.LBB98_28:                              ;   in Loop: Header=BB98_4 Depth=1
	v_fmac_f32_e32 v43, v44, v45
	v_mov_b32_e32 v42, v43
.LBB98_29:                              ;   in Loop: Header=BB98_4 Depth=1
	v_lshlrev_b32_e32 v44, 16, v46
	v_lshlrev_b32_e32 v45, 16, v50
	s_and_b64 vcc, exec, s[10:11]
	v_lshlrev_b32_e32 v46, 16, v51
	s_cbranch_vccnz .LBB98_43
; %bb.30:                               ;   in Loop: Header=BB98_4 Depth=1
	v_mul_f32_e32 v43, v45, v46
	v_fma_f32 v43, s33, v43, v44
	s_cbranch_execnz .LBB98_32
.LBB98_31:                              ;   in Loop: Header=BB98_4 Depth=1
	v_fmac_f32_e32 v44, v45, v46
	v_mov_b32_e32 v43, v44
.LBB98_32:                              ;   in Loop: Header=BB98_4 Depth=1
	s_and_saveexec_b64 s[10:11], s[0:1]
	s_xor_b64 s[0:1], exec, s[10:11]
	s_cbranch_execnz .LBB98_36
; %bb.33:                               ;   in Loop: Header=BB98_4 Depth=1
	s_or_b64 exec, exec, s[0:1]
	s_and_saveexec_b64 s[0:1], s[2:3]
	s_cbranch_execnz .LBB98_37
.LBB98_34:                              ;   in Loop: Header=BB98_4 Depth=1
	s_or_b64 exec, exec, s[0:1]
	s_and_saveexec_b64 s[0:1], s[6:7]
	s_cbranch_execnz .LBB98_38
.LBB98_35:                              ;   in Loop: Header=BB98_4 Depth=1
	s_or_b64 exec, exec, s[0:1]
	s_and_saveexec_b64 s[0:1], s[8:9]
	s_cbranch_execz .LBB98_3
	s_branch .LBB98_39
.LBB98_36:                              ;   in Loop: Header=BB98_4 Depth=1
	v_bfe_u32 v44, v41, 16, 1
	v_add3_u32 v44, v41, v44, s37
	v_lshrrev_b32_e32 v44, 16, v44
	v_cmp_o_f32_e32 vcc, v41, v41
	v_cndmask_b32_e32 v41, v39, v44, vcc
	v_mov_b32_e32 v45, s23
	v_add_co_u32_e32 v44, vcc, s22, v8
	v_addc_co_u32_e32 v45, vcc, v29, v45, vcc
	global_store_short v[44:45], v41, off
	s_or_b64 exec, exec, s[0:1]
	s_and_saveexec_b64 s[0:1], s[2:3]
	s_cbranch_execz .LBB98_34
.LBB98_37:                              ;   in Loop: Header=BB98_4 Depth=1
	v_bfe_u32 v41, v40, 16, 1
	v_mov_b32_e32 v45, s23
	v_add_co_u32_e32 v44, vcc, s22, v32
	v_add3_u32 v41, v40, v41, s37
	v_addc_co_u32_e32 v45, vcc, v31, v45, vcc
	v_lshrrev_b32_e32 v41, 16, v41
	v_cmp_o_f32_e32 vcc, v40, v40
	v_cndmask_b32_e32 v40, v39, v41, vcc
	global_store_short v[44:45], v40, off
	s_or_b64 exec, exec, s[0:1]
	s_and_saveexec_b64 s[0:1], s[6:7]
	s_cbranch_execz .LBB98_35
.LBB98_38:                              ;   in Loop: Header=BB98_4 Depth=1
	v_bfe_u32 v40, v42, 16, 1
	v_add3_u32 v40, v42, v40, s37
	v_lshrrev_b32_e32 v44, 16, v40
	v_mov_b32_e32 v41, s23
	v_add_co_u32_e32 v40, vcc, s22, v24
	v_addc_co_u32_e32 v41, vcc, v19, v41, vcc
	v_cmp_o_f32_e32 vcc, v42, v42
	v_cndmask_b32_e32 v42, v39, v44, vcc
	global_store_short v[40:41], v42, off
	s_or_b64 exec, exec, s[0:1]
	s_and_saveexec_b64 s[0:1], s[8:9]
	s_cbranch_execz .LBB98_3
.LBB98_39:                              ;   in Loop: Header=BB98_4 Depth=1
	v_bfe_u32 v40, v43, 16, 1
	v_add3_u32 v40, v43, v40, s37
	v_lshrrev_b32_e32 v42, 16, v40
	v_mov_b32_e32 v41, s23
	v_add_co_u32_e32 v40, vcc, s22, v16
	v_addc_co_u32_e32 v41, vcc, v11, v41, vcc
	v_cmp_o_f32_e32 vcc, v43, v43
	v_cndmask_b32_e32 v42, v39, v42, vcc
	global_store_short v[40:41], v42, off
	s_branch .LBB98_3
.LBB98_40:                              ;   in Loop: Header=BB98_4 Depth=1
                                        ; implicit-def: $vgpr41
	s_branch .LBB98_22
.LBB98_41:                              ;   in Loop: Header=BB98_4 Depth=1
                                        ; implicit-def: $vgpr40
	s_branch .LBB98_25
.LBB98_42:                              ;   in Loop: Header=BB98_4 Depth=1
                                        ; implicit-def: $vgpr42
	s_branch .LBB98_28
.LBB98_43:                              ;   in Loop: Header=BB98_4 Depth=1
                                        ; implicit-def: $vgpr43
	s_branch .LBB98_31
.LBB98_44:
	s_mov_b64 s[0:1], 0
.LBB98_45:
	s_andn2_b64 vcc, exec, s[0:1]
	s_cbranch_vccnz .LBB98_65
; %bb.46:
	v_mov_b32_e32 v3, 0
	v_lshlrev_b32_e32 v2, 2, v0
	s_mov_b32 s2, 0
	v_cmp_gt_i64_e32 vcc, s[20:21], v[2:3]
	s_and_saveexec_b64 s[0:1], vcc
	s_cbranch_execz .LBB98_65
; %bb.47:
	s_load_dword s0, s[4:5], 0xc84
	v_lshlrev_b32_e32 v1, 3, v0
	s_waitcnt lgkmcnt(0)
	v_cmp_neq_f32_e64 s[6:7], s33, 1.0
	v_mov_b32_e32 v2, s23
	v_add_co_u32_e32 v4, vcc, s22, v1
	s_and_b32 s0, s0, 0xffff
	v_cndmask_b32_e64 v6, 0, 1, s[6:7]
	v_addc_co_u32_e32 v1, vcc, 0, v2, vcc
	s_lshl_b32 s10, s0, 3
	v_add_lshl_u32 v2, v0, s0, 2
	s_lshl_b32 s11, s0, 2
	s_mov_b64 s[4:5], 0
	v_mov_b32_e32 v0, s13
	v_mov_b32_e32 v5, s15
	;; [unrolled: 1-line block ×3, first 2 shown]
	v_cmp_ne_u32_e64 s[0:1], 1, v6
	s_movk_i32 s13, 0x7fff
	v_mov_b32_e32 v13, 0x7fc0
	v_mov_b32_e32 v14, 0x7fc00000
	s_mov_b64 s[8:9], 0xffff
	v_mov_b32_e32 v15, s19
	v_mov_b32_e32 v16, s2
	;; [unrolled: 1-line block ×3, first 2 shown]
	s_branch .LBB98_49
.LBB98_48:                              ;   in Loop: Header=BB98_49 Depth=1
	v_bfe_u32 v8, v18, 16, 1
	v_add3_u32 v8, v18, v8, s13
	v_bfe_u32 v9, v19, 16, 1
	v_lshrrev_b32_e32 v8, 16, v8
	v_cmp_o_f32_e32 vcc, v18, v18
	v_add3_u32 v9, v19, v9, s13
	v_cndmask_b32_e32 v8, v13, v8, vcc
	v_and_b32_e32 v9, 0xffff0000, v9
	v_cmp_o_f32_e32 vcc, v19, v19
	v_cndmask_b32_e32 v9, v14, v9, vcc
	v_or_b32_e32 v8, v9, v8
	v_bfe_u32 v9, v6, 16, 1
	v_add3_u32 v9, v6, v9, s13
	v_lshrrev_b32_e32 v9, 16, v9
	v_cmp_o_f32_e32 vcc, v6, v6
	v_cndmask_b32_e32 v6, v13, v9, vcc
	v_bfe_u32 v9, v7, 16, 1
	v_add3_u32 v9, v7, v9, s13
	v_and_b32_e32 v9, 0xffff0000, v9
	v_cmp_o_f32_e32 vcc, v7, v7
	v_cndmask_b32_e32 v7, v14, v9, vcc
	v_or3_b32 v7, 0, v6, v7
	v_or3_b32 v6, v8, 0, 0
	v_add_co_u32_e32 v8, vcc, s18, v4
	v_addc_co_u32_e32 v9, vcc, v15, v1, vcc
	v_cmp_le_i64_e32 vcc, s[20:21], v[2:3]
	v_cmp_lt_u64_e64 s[2:3], s[8:9], v[2:3]
	s_or_b64 s[2:3], vcc, s[2:3]
	v_add_co_u32_e32 v4, vcc, s10, v4
	v_addc_co_u32_e32 v1, vcc, v1, v16, vcc
	s_and_b64 s[2:3], exec, s[2:3]
	v_add_co_u32_e32 v2, vcc, s11, v2
	s_or_b64 s[4:5], s[2:3], s[4:5]
	v_addc_co_u32_e32 v3, vcc, v3, v17, vcc
	global_store_dwordx2 v[8:9], v[6:7], off
	s_andn2_b64 exec, exec, s[4:5]
	s_cbranch_execz .LBB98_65
.LBB98_49:                              ; =>This Inner Loop Header: Depth=1
	v_add_co_u32_e32 v6, vcc, s12, v4
	v_addc_co_u32_e32 v7, vcc, v0, v1, vcc
	v_add_co_u32_e32 v8, vcc, s14, v4
	v_addc_co_u32_e32 v9, vcc, v5, v1, vcc
	;; [unrolled: 2-line block ×3, first 2 shown]
	global_load_dwordx2 v[6:7], v[6:7], off
	s_and_b64 vcc, exec, s[6:7]
	global_load_dwordx2 v[8:9], v[8:9], off
	s_waitcnt vmcnt(1)
	v_lshlrev_b32_e32 v19, 16, v6
	global_load_dwordx2 v[10:11], v[10:11], off
	s_waitcnt vmcnt(1)
	v_lshlrev_b32_e32 v20, 16, v8
	s_waitcnt vmcnt(0)
	v_lshlrev_b32_e32 v21, 16, v10
	s_cbranch_vccz .LBB98_60
; %bb.50:                               ;   in Loop: Header=BB98_49 Depth=1
	v_mul_f32_e32 v18, v20, v21
	v_fma_f32 v18, s33, v18, v19
	s_cbranch_execnz .LBB98_52
.LBB98_51:                              ;   in Loop: Header=BB98_49 Depth=1
	v_fmac_f32_e32 v19, v20, v21
	v_mov_b32_e32 v18, v19
.LBB98_52:                              ;   in Loop: Header=BB98_49 Depth=1
	v_and_b32_e32 v20, 0xffff0000, v6
	v_and_b32_e32 v21, 0xffff0000, v8
	s_and_b64 vcc, exec, s[0:1]
	v_and_b32_e32 v22, 0xffff0000, v10
	s_cbranch_vccnz .LBB98_61
; %bb.53:                               ;   in Loop: Header=BB98_49 Depth=1
	v_mul_f32_e32 v19, v21, v22
	v_fma_f32 v19, s33, v19, v20
	s_cbranch_execnz .LBB98_55
.LBB98_54:                              ;   in Loop: Header=BB98_49 Depth=1
	v_fmac_f32_e32 v20, v21, v22
	v_mov_b32_e32 v19, v20
.LBB98_55:                              ;   in Loop: Header=BB98_49 Depth=1
	v_alignbit_b32 v6, v7, v6, 16
	v_and_b32_e32 v20, 0xffff0000, v6
	v_alignbit_b32 v6, v9, v8, 16
	v_and_b32_e32 v8, 0xffff0000, v6
	v_alignbit_b32 v6, v11, v10, 16
	s_and_b64 vcc, exec, s[0:1]
	v_and_b32_e32 v10, 0xffff0000, v6
	s_cbranch_vccnz .LBB98_62
; %bb.56:                               ;   in Loop: Header=BB98_49 Depth=1
	v_mul_f32_e32 v6, v8, v10
	v_fma_f32 v6, s33, v6, v20
	s_cbranch_execnz .LBB98_58
.LBB98_57:                              ;   in Loop: Header=BB98_49 Depth=1
	v_fmac_f32_e32 v20, v8, v10
	v_mov_b32_e32 v6, v20
.LBB98_58:                              ;   in Loop: Header=BB98_49 Depth=1
	v_and_b32_e32 v8, 0xffff0000, v7
	v_and_b32_e32 v9, 0xffff0000, v9
	s_and_b64 vcc, exec, s[0:1]
	v_and_b32_e32 v10, 0xffff0000, v11
	s_cbranch_vccnz .LBB98_63
; %bb.59:                               ;   in Loop: Header=BB98_49 Depth=1
	v_mul_f32_e32 v7, v9, v10
	v_fma_f32 v7, s33, v7, v8
	s_cbranch_execnz .LBB98_48
	s_branch .LBB98_64
.LBB98_60:                              ;   in Loop: Header=BB98_49 Depth=1
                                        ; implicit-def: $vgpr18
	s_branch .LBB98_51
.LBB98_61:                              ;   in Loop: Header=BB98_49 Depth=1
                                        ; implicit-def: $vgpr19
	s_branch .LBB98_54
.LBB98_62:                              ;   in Loop: Header=BB98_49 Depth=1
                                        ; implicit-def: $vgpr6
	s_branch .LBB98_57
.LBB98_63:                              ;   in Loop: Header=BB98_49 Depth=1
                                        ; implicit-def: $vgpr7
.LBB98_64:                              ;   in Loop: Header=BB98_49 Depth=1
	v_fmac_f32_e32 v8, v9, v10
	v_mov_b32_e32 v7, v8
	s_branch .LBB98_48
.LBB98_65:
	s_endpgm
	.section	.rodata,"a",@progbits
	.p2align	6, 0x0
	.amdhsa_kernel _ZN2at6native12_GLOBAL__N_125multi_tensor_apply_kernelINS1_28TensorListScalarListMetadataIfLi4EEENS1_28PointwiseOpScalarListFunctorIN3c108BFloat16ELi4ELi3ELi3EEEJSt10multipliesIfEEEEvT_T0_DpT1_
		.amdhsa_group_segment_fixed_size 0
		.amdhsa_private_segment_fixed_size 0
		.amdhsa_kernarg_size 3448
		.amdhsa_user_sgpr_count 6
		.amdhsa_user_sgpr_private_segment_buffer 1
		.amdhsa_user_sgpr_dispatch_ptr 0
		.amdhsa_user_sgpr_queue_ptr 0
		.amdhsa_user_sgpr_kernarg_segment_ptr 1
		.amdhsa_user_sgpr_dispatch_id 0
		.amdhsa_user_sgpr_flat_scratch_init 0
		.amdhsa_user_sgpr_kernarg_preload_length 0
		.amdhsa_user_sgpr_kernarg_preload_offset 0
		.amdhsa_user_sgpr_private_segment_size 0
		.amdhsa_uses_dynamic_stack 0
		.amdhsa_system_sgpr_private_segment_wavefront_offset 0
		.amdhsa_system_sgpr_workgroup_id_x 1
		.amdhsa_system_sgpr_workgroup_id_y 0
		.amdhsa_system_sgpr_workgroup_id_z 0
		.amdhsa_system_sgpr_workgroup_info 0
		.amdhsa_system_vgpr_workitem_id 0
		.amdhsa_next_free_vgpr 56
		.amdhsa_next_free_sgpr 38
		.amdhsa_accum_offset 56
		.amdhsa_reserve_vcc 1
		.amdhsa_reserve_flat_scratch 0
		.amdhsa_float_round_mode_32 0
		.amdhsa_float_round_mode_16_64 0
		.amdhsa_float_denorm_mode_32 3
		.amdhsa_float_denorm_mode_16_64 3
		.amdhsa_dx10_clamp 1
		.amdhsa_ieee_mode 1
		.amdhsa_fp16_overflow 0
		.amdhsa_tg_split 0
		.amdhsa_exception_fp_ieee_invalid_op 0
		.amdhsa_exception_fp_denorm_src 0
		.amdhsa_exception_fp_ieee_div_zero 0
		.amdhsa_exception_fp_ieee_overflow 0
		.amdhsa_exception_fp_ieee_underflow 0
		.amdhsa_exception_fp_ieee_inexact 0
		.amdhsa_exception_int_div_zero 0
	.end_amdhsa_kernel
	.section	.text._ZN2at6native12_GLOBAL__N_125multi_tensor_apply_kernelINS1_28TensorListScalarListMetadataIfLi4EEENS1_28PointwiseOpScalarListFunctorIN3c108BFloat16ELi4ELi3ELi3EEEJSt10multipliesIfEEEEvT_T0_DpT1_,"axG",@progbits,_ZN2at6native12_GLOBAL__N_125multi_tensor_apply_kernelINS1_28TensorListScalarListMetadataIfLi4EEENS1_28PointwiseOpScalarListFunctorIN3c108BFloat16ELi4ELi3ELi3EEEJSt10multipliesIfEEEEvT_T0_DpT1_,comdat
.Lfunc_end98:
	.size	_ZN2at6native12_GLOBAL__N_125multi_tensor_apply_kernelINS1_28TensorListScalarListMetadataIfLi4EEENS1_28PointwiseOpScalarListFunctorIN3c108BFloat16ELi4ELi3ELi3EEEJSt10multipliesIfEEEEvT_T0_DpT1_, .Lfunc_end98-_ZN2at6native12_GLOBAL__N_125multi_tensor_apply_kernelINS1_28TensorListScalarListMetadataIfLi4EEENS1_28PointwiseOpScalarListFunctorIN3c108BFloat16ELi4ELi3ELi3EEEJSt10multipliesIfEEEEvT_T0_DpT1_
                                        ; -- End function
	.section	.AMDGPU.csdata,"",@progbits
; Kernel info:
; codeLenInByte = 2636
; NumSgprs: 42
; NumVgprs: 56
; NumAgprs: 0
; TotalNumVgprs: 56
; ScratchSize: 0
; MemoryBound: 0
; FloatMode: 240
; IeeeMode: 1
; LDSByteSize: 0 bytes/workgroup (compile time only)
; SGPRBlocks: 5
; VGPRBlocks: 6
; NumSGPRsForWavesPerEU: 42
; NumVGPRsForWavesPerEU: 56
; AccumOffset: 56
; Occupancy: 8
; WaveLimiterHint : 0
; COMPUTE_PGM_RSRC2:SCRATCH_EN: 0
; COMPUTE_PGM_RSRC2:USER_SGPR: 6
; COMPUTE_PGM_RSRC2:TRAP_HANDLER: 0
; COMPUTE_PGM_RSRC2:TGID_X_EN: 1
; COMPUTE_PGM_RSRC2:TGID_Y_EN: 0
; COMPUTE_PGM_RSRC2:TGID_Z_EN: 0
; COMPUTE_PGM_RSRC2:TIDIG_COMP_CNT: 0
; COMPUTE_PGM_RSRC3_GFX90A:ACCUM_OFFSET: 13
; COMPUTE_PGM_RSRC3_GFX90A:TG_SPLIT: 0
	.section	.text._ZN2at6native12_GLOBAL__N_125multi_tensor_apply_kernelINS1_28TensorListScalarListMetadataIhLi3EEENS1_28PointwiseOpScalarListFunctorIhLi3ELi3ELi0EEEJSt10multipliesIhEEEEvT_T0_DpT1_,"axG",@progbits,_ZN2at6native12_GLOBAL__N_125multi_tensor_apply_kernelINS1_28TensorListScalarListMetadataIhLi3EEENS1_28PointwiseOpScalarListFunctorIhLi3ELi3ELi0EEEJSt10multipliesIhEEEEvT_T0_DpT1_,comdat
	.globl	_ZN2at6native12_GLOBAL__N_125multi_tensor_apply_kernelINS1_28TensorListScalarListMetadataIhLi3EEENS1_28PointwiseOpScalarListFunctorIhLi3ELi3ELi0EEEJSt10multipliesIhEEEEvT_T0_DpT1_ ; -- Begin function _ZN2at6native12_GLOBAL__N_125multi_tensor_apply_kernelINS1_28TensorListScalarListMetadataIhLi3EEENS1_28PointwiseOpScalarListFunctorIhLi3ELi3ELi0EEEJSt10multipliesIhEEEEvT_T0_DpT1_
	.p2align	8
	.type	_ZN2at6native12_GLOBAL__N_125multi_tensor_apply_kernelINS1_28TensorListScalarListMetadataIhLi3EEENS1_28PointwiseOpScalarListFunctorIhLi3ELi3ELi0EEEJSt10multipliesIhEEEEvT_T0_DpT1_,@function
_ZN2at6native12_GLOBAL__N_125multi_tensor_apply_kernelINS1_28TensorListScalarListMetadataIhLi3EEENS1_28PointwiseOpScalarListFunctorIhLi3ELi3ELi0EEEJSt10multipliesIhEEEEvT_T0_DpT1_: ; @_ZN2at6native12_GLOBAL__N_125multi_tensor_apply_kernelINS1_28TensorListScalarListMetadataIhLi3EEENS1_28PointwiseOpScalarListFunctorIhLi3ELi3ELi0EEEJSt10multipliesIhEEEEvT_T0_DpT1_
; %bb.0:
	v_mov_b32_e32 v1, s6
	global_load_ubyte v1, v1, s[4:5] offset:1584
	s_add_u32 s0, s4, s6
	s_addc_u32 s1, s5, 0
	s_mul_hi_u32 s2, s6, 3
	s_mul_i32 s6, s6, 3
	s_add_u32 s0, s0, s6
	s_addc_u32 s1, s1, s2
	s_load_dword s2, s[0:1], 0x770
	v_mov_b32_e32 v3, s5
	s_mov_b32 s15, 0
	s_waitcnt lgkmcnt(0)
	s_ashr_i32 s3, s2, 31
	s_lshl_b64 s[8:9], s[2:3], 16
	s_waitcnt vmcnt(0)
	v_add_co_u32_e32 v2, vcc, s4, v1
	v_addc_co_u32_e32 v3, vcc, 0, v3, vcc
	global_load_ubyte v2, v[2:3], off offset:1536
	v_readfirstlane_b32 s0, v1
	s_lshl_b32 s10, s0, 3
	s_load_dwordx2 s[0:1], s[4:5], s10 offset:0x0
	s_load_dwordx2 s[2:3], s[4:5], s10 offset:0x180
	;; [unrolled: 1-line block ×4, first 2 shown]
	s_waitcnt lgkmcnt(0)
	s_add_u32 s10, s0, s8
	s_addc_u32 s11, s1, s9
	s_add_u32 s20, s2, s8
	s_addc_u32 s23, s3, s9
	s_add_u32 s21, s6, s8
	s_addc_u32 s22, s7, s9
	s_or_b32 s12, s21, s20
	s_and_b32 s12, s12, 3
	s_cmp_eq_u32 s12, 0
	s_cselect_b64 s[18:19], -1, 0
	s_sub_u32 s12, s16, s8
	s_subb_u32 s13, s17, s9
	s_or_b64 s[16:17], s[16:17], s[10:11]
	s_and_b32 s14, s16, 3
	s_cmp_eq_u64 s[14:15], 0
	s_cselect_b64 s[14:15], -1, 0
	s_and_b64 s[16:17], s[18:19], s[14:15]
	s_mov_b64 s[14:15], -1
	s_and_b64 vcc, exec, s[16:17]
	s_cbranch_vccnz .LBB99_29
; %bb.1:
	v_cmp_lt_i64_e64 s[14:15], s[12:13], 1
	s_and_b64 vcc, exec, s[14:15]
	s_cbranch_vccnz .LBB99_28
; %bb.2:
	s_load_dword s14, s[4:5], 0xc84
	v_mov_b32_e32 v4, 0x10000
	v_mov_b32_e32 v5, 0
	v_cmp_lt_u64_e32 vcc, s[12:13], v[4:5]
	v_mov_b32_e32 v1, s9
	s_waitcnt lgkmcnt(0)
	s_and_b32 s18, s14, 0xffff
	s_and_b64 s[14:15], vcc, exec
	v_add_co_u32_e32 v24, vcc, s8, v0
	v_addc_co_u32_e32 v25, vcc, 0, v1, vcc
	v_mov_b32_e32 v26, s1
	v_add_co_u32_e32 v1, vcc, s0, v24
	v_addc_co_u32_e32 v3, vcc, v26, v25, vcc
	v_mov_b32_e32 v27, s3
	v_add_co_u32_e32 v4, vcc, s2, v24
	s_cselect_b32 s15, s13, 0
	s_cselect_b32 s14, s12, 0x10000
	s_lshl_b32 s19, s18, 1
	s_mul_i32 s16, s18, 3
	s_lshl_b32 s24, s18, 2
	v_addc_co_u32_e32 v5, vcc, v27, v25, vcc
	v_mov_b32_e32 v29, s7
	v_add_co_u32_e32 v6, vcc, s6, v24
	s_add_u32 s1, s8, s16
	v_addc_co_u32_e32 v7, vcc, v29, v25, vcc
	s_addc_u32 s3, s9, 0
	v_mov_b32_e32 v8, s3
	v_add_co_u32_e32 v12, vcc, s1, v0
	v_addc_co_u32_e32 v13, vcc, 0, v8, vcc
	v_add_co_u32_e32 v8, vcc, s0, v12
	v_addc_co_u32_e32 v9, vcc, v26, v13, vcc
	;; [unrolled: 2-line block ×4, first 2 shown]
	s_add_u32 s1, s8, s19
	v_add_co_u32_e32 v14, vcc, s16, v0
	s_addc_u32 s3, s9, 0
	v_addc_co_u32_e64 v15, s[16:17], 0, 0, vcc
	v_mov_b32_e32 v16, s3
	v_add_co_u32_e32 v20, vcc, s1, v0
	v_addc_co_u32_e32 v21, vcc, 0, v16, vcc
	v_add_co_u32_e32 v16, vcc, s0, v20
	v_addc_co_u32_e32 v17, vcc, v26, v21, vcc
	;; [unrolled: 2-line block ×4, first 2 shown]
	v_add_co_u32_e32 v22, vcc, s19, v0
	v_addc_co_u32_e64 v23, s[8:9], 0, 0, vcc
	v_add_co_u32_e32 v28, vcc, s18, v24
	v_addc_co_u32_e32 v30, vcc, 0, v25, vcc
	v_add_co_u32_e32 v24, vcc, s0, v28
	v_addc_co_u32_e32 v25, vcc, v26, v30, vcc
	v_add_co_u32_e32 v26, vcc, s2, v28
	v_addc_co_u32_e32 v27, vcc, v27, v30, vcc
	v_add_co_u32_e32 v28, vcc, s6, v28
	v_addc_co_u32_e32 v29, vcc, v29, v30, vcc
	v_add_co_u32_e32 v30, vcc, s18, v0
	v_addc_co_u32_e64 v31, s[0:1], 0, 0, vcc
	s_mov_b64 s[16:17], 0
	s_branch .LBB99_4
.LBB99_3:                               ;   in Loop: Header=BB99_4 Depth=1
	s_or_b64 exec, exec, s[0:1]
	s_add_u32 s16, s16, s24
	s_addc_u32 s17, s17, 0
	s_waitcnt vmcnt(0)
	v_pk_mov_b32 v[32:33], s[12:13], s[12:13] op_sel:[0,1]
	v_cmp_lt_i64_e32 vcc, s[16:17], v[32:33]
	v_mov_b32_e32 v32, 0x10000
	v_mov_b32_e32 v33, 0
	v_cmp_lt_u64_e64 s[0:1], s[16:17], v[32:33]
	s_and_b64 s[0:1], vcc, s[0:1]
	s_and_b64 vcc, exec, s[0:1]
	s_cbranch_vccz .LBB99_28
.LBB99_4:                               ; =>This Inner Loop Header: Depth=1
	v_mov_b32_e32 v33, s17
	v_add_co_u32_e32 v32, vcc, s16, v0
	v_addc_co_u32_e32 v33, vcc, 0, v33, vcc
	v_cmp_gt_u64_e32 vcc, s[14:15], v[32:33]
	v_mov_b32_e32 v32, 0
	v_mov_b32_e32 v33, 0
	s_and_saveexec_b64 s[2:3], vcc
	s_cbranch_execz .LBB99_6
; %bb.5:                                ;   in Loop: Header=BB99_4 Depth=1
	v_mov_b32_e32 v32, s17
	v_add_co_u32_e64 v34, s[0:1], s16, v1
	v_addc_co_u32_e64 v35, s[0:1], v3, v32, s[0:1]
	v_add_co_u32_e64 v36, s[0:1], s16, v4
	v_addc_co_u32_e64 v37, s[0:1], v5, v32, s[0:1]
	global_load_ubyte v32, v[34:35], off
	global_load_ubyte v33, v[36:37], off
.LBB99_6:                               ;   in Loop: Header=BB99_4 Depth=1
	s_or_b64 exec, exec, s[2:3]
	v_mov_b32_e32 v34, 0
	v_mov_b32_e32 v35, 0
	s_and_saveexec_b64 s[2:3], vcc
	s_cbranch_execz .LBB99_8
; %bb.7:                                ;   in Loop: Header=BB99_4 Depth=1
	v_mov_b32_e32 v35, s17
	v_add_co_u32_e64 v36, s[0:1], s16, v6
	v_addc_co_u32_e64 v37, s[0:1], v7, v35, s[0:1]
	global_load_ubyte v35, v[36:37], off
.LBB99_8:                               ;   in Loop: Header=BB99_4 Depth=1
	s_or_b64 exec, exec, s[2:3]
	v_mov_b32_e32 v37, s17
	v_add_co_u32_e64 v36, s[0:1], s16, v30
	v_addc_co_u32_e64 v37, s[0:1], v31, v37, s[0:1]
	v_cmp_gt_u64_e64 s[0:1], s[14:15], v[36:37]
	v_mov_b32_e32 v36, 0
	s_and_saveexec_b64 s[6:7], s[0:1]
	s_cbranch_execz .LBB99_10
; %bb.9:                                ;   in Loop: Header=BB99_4 Depth=1
	v_mov_b32_e32 v34, s17
	v_add_co_u32_e64 v38, s[2:3], s16, v26
	v_addc_co_u32_e64 v39, s[2:3], v27, v34, s[2:3]
	v_add_co_u32_e64 v40, s[2:3], s16, v24
	v_addc_co_u32_e64 v41, s[2:3], v25, v34, s[2:3]
	global_load_ubyte v34, v[40:41], off
	global_load_ubyte v36, v[38:39], off
.LBB99_10:                              ;   in Loop: Header=BB99_4 Depth=1
	s_or_b64 exec, exec, s[6:7]
	v_mov_b32_e32 v37, 0
	v_mov_b32_e32 v38, 0
	s_and_saveexec_b64 s[6:7], s[0:1]
	s_cbranch_execz .LBB99_12
; %bb.11:                               ;   in Loop: Header=BB99_4 Depth=1
	v_mov_b32_e32 v39, s17
	v_add_co_u32_e64 v38, s[2:3], s16, v28
	v_addc_co_u32_e64 v39, s[2:3], v29, v39, s[2:3]
	global_load_ubyte v38, v[38:39], off
.LBB99_12:                              ;   in Loop: Header=BB99_4 Depth=1
	s_or_b64 exec, exec, s[6:7]
	v_mov_b32_e32 v39, s17
	v_add_co_u32_e64 v40, s[2:3], s16, v22
	v_addc_co_u32_e64 v41, s[2:3], v23, v39, s[2:3]
	v_cmp_gt_u64_e64 s[2:3], s[14:15], v[40:41]
	v_mov_b32_e32 v39, 0
	s_and_saveexec_b64 s[8:9], s[2:3]
	s_cbranch_execz .LBB99_14
; %bb.13:                               ;   in Loop: Header=BB99_4 Depth=1
	v_mov_b32_e32 v37, s17
	v_add_co_u32_e64 v40, s[6:7], s16, v18
	v_addc_co_u32_e64 v41, s[6:7], v19, v37, s[6:7]
	v_add_co_u32_e64 v42, s[6:7], s16, v16
	v_addc_co_u32_e64 v43, s[6:7], v17, v37, s[6:7]
	global_load_ubyte v37, v[42:43], off
	global_load_ubyte v39, v[40:41], off
.LBB99_14:                              ;   in Loop: Header=BB99_4 Depth=1
	s_or_b64 exec, exec, s[8:9]
	v_mov_b32_e32 v40, 0
	v_mov_b32_e32 v41, 0
	s_and_saveexec_b64 s[8:9], s[2:3]
	s_cbranch_execz .LBB99_16
; %bb.15:                               ;   in Loop: Header=BB99_4 Depth=1
	v_mov_b32_e32 v41, s17
	v_add_co_u32_e64 v42, s[6:7], s16, v20
	v_addc_co_u32_e64 v43, s[6:7], v21, v41, s[6:7]
	global_load_ubyte v41, v[42:43], off
.LBB99_16:                              ;   in Loop: Header=BB99_4 Depth=1
	s_or_b64 exec, exec, s[8:9]
	v_mov_b32_e32 v43, s17
	v_add_co_u32_e64 v42, s[6:7], s16, v14
	v_addc_co_u32_e64 v43, s[6:7], v15, v43, s[6:7]
	v_cmp_gt_u64_e64 s[6:7], s[14:15], v[42:43]
	v_mov_b32_e32 v42, 0
	s_and_saveexec_b64 s[18:19], s[6:7]
	s_cbranch_execnz .LBB99_22
; %bb.17:                               ;   in Loop: Header=BB99_4 Depth=1
	s_or_b64 exec, exec, s[18:19]
	v_mov_b32_e32 v43, 0
	s_and_saveexec_b64 s[18:19], s[6:7]
	s_cbranch_execnz .LBB99_23
.LBB99_18:                              ;   in Loop: Header=BB99_4 Depth=1
	s_or_b64 exec, exec, s[18:19]
	s_and_saveexec_b64 s[8:9], vcc
	s_cbranch_execnz .LBB99_24
.LBB99_19:                              ;   in Loop: Header=BB99_4 Depth=1
	s_or_b64 exec, exec, s[8:9]
	s_and_saveexec_b64 s[8:9], s[0:1]
	s_cbranch_execnz .LBB99_25
.LBB99_20:                              ;   in Loop: Header=BB99_4 Depth=1
	s_or_b64 exec, exec, s[8:9]
	s_and_saveexec_b64 s[0:1], s[2:3]
	s_cbranch_execnz .LBB99_26
.LBB99_21:                              ;   in Loop: Header=BB99_4 Depth=1
	s_or_b64 exec, exec, s[0:1]
	s_and_saveexec_b64 s[0:1], s[6:7]
	s_cbranch_execz .LBB99_3
	s_branch .LBB99_27
.LBB99_22:                              ;   in Loop: Header=BB99_4 Depth=1
	v_mov_b32_e32 v40, s17
	v_add_co_u32_e64 v44, s[8:9], s16, v10
	v_addc_co_u32_e64 v45, s[8:9], v11, v40, s[8:9]
	v_add_co_u32_e64 v46, s[8:9], s16, v8
	v_addc_co_u32_e64 v47, s[8:9], v9, v40, s[8:9]
	global_load_ubyte v40, v[46:47], off
	global_load_ubyte v42, v[44:45], off
	s_or_b64 exec, exec, s[18:19]
	v_mov_b32_e32 v43, 0
	s_and_saveexec_b64 s[18:19], s[6:7]
	s_cbranch_execz .LBB99_18
.LBB99_23:                              ;   in Loop: Header=BB99_4 Depth=1
	v_mov_b32_e32 v43, s17
	v_add_co_u32_e64 v44, s[8:9], s16, v12
	v_addc_co_u32_e64 v45, s[8:9], v13, v43, s[8:9]
	global_load_ubyte v43, v[44:45], off
	s_or_b64 exec, exec, s[18:19]
	s_and_saveexec_b64 s[8:9], vcc
	s_cbranch_execz .LBB99_19
.LBB99_24:                              ;   in Loop: Header=BB99_4 Depth=1
	s_waitcnt vmcnt(0)
	v_mul_lo_u16_e32 v33, v33, v2
	v_mad_legacy_u16 v35, v33, v35, v32
	v_mov_b32_e32 v33, s17
	v_add_co_u32_e32 v32, vcc, s16, v1
	v_addc_co_u32_e32 v33, vcc, v3, v33, vcc
	global_store_byte v[32:33], v35, off
	s_or_b64 exec, exec, s[8:9]
	s_and_saveexec_b64 s[8:9], s[0:1]
	s_cbranch_execz .LBB99_20
.LBB99_25:                              ;   in Loop: Header=BB99_4 Depth=1
	s_waitcnt vmcnt(0)
	v_mul_lo_u16_e32 v32, v36, v2
	v_mad_legacy_u16 v34, v32, v38, v34
	v_mov_b32_e32 v33, s17
	v_add_co_u32_e32 v32, vcc, s16, v24
	v_addc_co_u32_e32 v33, vcc, v25, v33, vcc
	global_store_byte v[32:33], v34, off
	s_or_b64 exec, exec, s[8:9]
	s_and_saveexec_b64 s[0:1], s[2:3]
	s_cbranch_execz .LBB99_21
.LBB99_26:                              ;   in Loop: Header=BB99_4 Depth=1
	s_waitcnt vmcnt(0)
	v_mul_lo_u16_e32 v32, v39, v2
	v_mad_legacy_u16 v34, v32, v41, v37
	v_mov_b32_e32 v33, s17
	v_add_co_u32_e32 v32, vcc, s16, v16
	v_addc_co_u32_e32 v33, vcc, v17, v33, vcc
	global_store_byte v[32:33], v34, off
	s_or_b64 exec, exec, s[0:1]
	s_and_saveexec_b64 s[0:1], s[6:7]
	s_cbranch_execz .LBB99_3
.LBB99_27:                              ;   in Loop: Header=BB99_4 Depth=1
	s_waitcnt vmcnt(0)
	v_mul_lo_u16_e32 v32, v42, v2
	v_mad_legacy_u16 v34, v32, v43, v40
	v_mov_b32_e32 v33, s17
	v_add_co_u32_e32 v32, vcc, s16, v8
	v_addc_co_u32_e32 v33, vcc, v9, v33, vcc
	global_store_byte v[32:33], v34, off
	s_branch .LBB99_3
.LBB99_28:
	s_mov_b64 s[14:15], 0
.LBB99_29:
	s_andn2_b64 vcc, exec, s[14:15]
	s_cbranch_vccnz .LBB99_33
; %bb.30:
	v_lshlrev_b32_e32 v0, 2, v0
	v_mov_b32_e32 v1, 0
	v_cmp_gt_i64_e32 vcc, s[12:13], v[0:1]
	s_and_saveexec_b64 s[0:1], vcc
	s_cbranch_execz .LBB99_33
; %bb.31:
	s_load_dword s0, s[4:5], 0xc84
	s_mov_b32 s1, 0
	s_mov_b64 s[2:3], 0
	v_mov_b32_e32 v3, s11
	v_mov_b32_e32 v4, s23
	s_waitcnt lgkmcnt(0)
	s_and_b32 s0, s0, 0xffff
	s_lshl_b32 s6, s0, 2
	v_mov_b32_e32 v5, s22
	s_mov_b32 s7, 0x6050400
	v_mov_b32_e32 v6, s1
	s_mov_b64 s[4:5], 0xffff
.LBB99_32:                              ; =>This Inner Loop Header: Depth=1
	v_add_co_u32_e32 v8, vcc, s10, v0
	v_addc_co_u32_e32 v9, vcc, v3, v1, vcc
	v_add_co_u32_e32 v10, vcc, s20, v0
	v_addc_co_u32_e32 v11, vcc, v4, v1, vcc
	;; [unrolled: 2-line block ×3, first 2 shown]
	global_load_dword v7, v[10:11], off
	global_load_dword v14, v[8:9], off
	;; [unrolled: 1-line block ×3, first 2 shown]
	v_add_co_u32_e32 v0, vcc, s6, v0
	v_addc_co_u32_e32 v1, vcc, v6, v1, vcc
	v_cmp_le_i64_e32 vcc, s[12:13], v[0:1]
	v_cmp_lt_u64_e64 s[0:1], s[4:5], v[0:1]
	s_or_b64 s[0:1], vcc, s[0:1]
	s_and_b64 s[0:1], exec, s[0:1]
	s_or_b64 s[2:3], s[0:1], s[2:3]
	s_waitcnt vmcnt(2)
	v_lshrrev_b32_e32 v12, 8, v7
	v_mul_lo_u16_e32 v10, v2, v7
	s_waitcnt vmcnt(1)
	v_lshrrev_b32_e32 v11, 8, v14
	s_waitcnt vmcnt(0)
	v_lshrrev_b32_e32 v13, 8, v15
	v_lshrrev_b32_e32 v16, 16, v14
	;; [unrolled: 1-line block ×3, first 2 shown]
	v_mul_lo_u16_sdwa v18, v2, v7 dst_sel:DWORD dst_unused:UNUSED_PAD src0_sel:DWORD src1_sel:WORD_1
	v_mul_lo_u16_e32 v12, v2, v12
	v_lshrrev_b32_e32 v19, 24, v14
	v_lshrrev_b32_e32 v20, 24, v15
	v_mul_lo_u16_sdwa v7, v2, v7 dst_sel:DWORD dst_unused:UNUSED_PAD src0_sel:DWORD src1_sel:BYTE_3
	v_mad_legacy_u16 v10, v10, v15, v14
	v_mad_legacy_u16 v14, v18, v17, v16
	;; [unrolled: 1-line block ×4, first 2 shown]
	v_and_b32_e32 v12, 0xff, v14
	v_and_b32_e32 v11, 0xff, v11
	v_lshlrev_b32_e32 v7, 24, v7
	v_lshlrev_b32_e32 v12, 16, v12
	v_perm_b32 v10, v11, v10, s7
	v_or3_b32 v7, v10, v12, v7
	global_store_dword v[8:9], v7, off
	s_andn2_b64 exec, exec, s[2:3]
	s_cbranch_execnz .LBB99_32
.LBB99_33:
	s_endpgm
	.section	.rodata,"a",@progbits
	.p2align	6, 0x0
	.amdhsa_kernel _ZN2at6native12_GLOBAL__N_125multi_tensor_apply_kernelINS1_28TensorListScalarListMetadataIhLi3EEENS1_28PointwiseOpScalarListFunctorIhLi3ELi3ELi0EEEJSt10multipliesIhEEEEvT_T0_DpT1_
		.amdhsa_group_segment_fixed_size 0
		.amdhsa_private_segment_fixed_size 0
		.amdhsa_kernarg_size 3448
		.amdhsa_user_sgpr_count 6
		.amdhsa_user_sgpr_private_segment_buffer 1
		.amdhsa_user_sgpr_dispatch_ptr 0
		.amdhsa_user_sgpr_queue_ptr 0
		.amdhsa_user_sgpr_kernarg_segment_ptr 1
		.amdhsa_user_sgpr_dispatch_id 0
		.amdhsa_user_sgpr_flat_scratch_init 0
		.amdhsa_user_sgpr_kernarg_preload_length 0
		.amdhsa_user_sgpr_kernarg_preload_offset 0
		.amdhsa_user_sgpr_private_segment_size 0
		.amdhsa_uses_dynamic_stack 0
		.amdhsa_system_sgpr_private_segment_wavefront_offset 0
		.amdhsa_system_sgpr_workgroup_id_x 1
		.amdhsa_system_sgpr_workgroup_id_y 0
		.amdhsa_system_sgpr_workgroup_id_z 0
		.amdhsa_system_sgpr_workgroup_info 0
		.amdhsa_system_vgpr_workitem_id 0
		.amdhsa_next_free_vgpr 48
		.amdhsa_next_free_sgpr 25
		.amdhsa_accum_offset 48
		.amdhsa_reserve_vcc 1
		.amdhsa_reserve_flat_scratch 0
		.amdhsa_float_round_mode_32 0
		.amdhsa_float_round_mode_16_64 0
		.amdhsa_float_denorm_mode_32 3
		.amdhsa_float_denorm_mode_16_64 3
		.amdhsa_dx10_clamp 1
		.amdhsa_ieee_mode 1
		.amdhsa_fp16_overflow 0
		.amdhsa_tg_split 0
		.amdhsa_exception_fp_ieee_invalid_op 0
		.amdhsa_exception_fp_denorm_src 0
		.amdhsa_exception_fp_ieee_div_zero 0
		.amdhsa_exception_fp_ieee_overflow 0
		.amdhsa_exception_fp_ieee_underflow 0
		.amdhsa_exception_fp_ieee_inexact 0
		.amdhsa_exception_int_div_zero 0
	.end_amdhsa_kernel
	.section	.text._ZN2at6native12_GLOBAL__N_125multi_tensor_apply_kernelINS1_28TensorListScalarListMetadataIhLi3EEENS1_28PointwiseOpScalarListFunctorIhLi3ELi3ELi0EEEJSt10multipliesIhEEEEvT_T0_DpT1_,"axG",@progbits,_ZN2at6native12_GLOBAL__N_125multi_tensor_apply_kernelINS1_28TensorListScalarListMetadataIhLi3EEENS1_28PointwiseOpScalarListFunctorIhLi3ELi3ELi0EEEJSt10multipliesIhEEEEvT_T0_DpT1_,comdat
.Lfunc_end99:
	.size	_ZN2at6native12_GLOBAL__N_125multi_tensor_apply_kernelINS1_28TensorListScalarListMetadataIhLi3EEENS1_28PointwiseOpScalarListFunctorIhLi3ELi3ELi0EEEJSt10multipliesIhEEEEvT_T0_DpT1_, .Lfunc_end99-_ZN2at6native12_GLOBAL__N_125multi_tensor_apply_kernelINS1_28TensorListScalarListMetadataIhLi3EEENS1_28PointwiseOpScalarListFunctorIhLi3ELi3ELi0EEEJSt10multipliesIhEEEEvT_T0_DpT1_
                                        ; -- End function
	.section	.AMDGPU.csdata,"",@progbits
; Kernel info:
; codeLenInByte = 1716
; NumSgprs: 29
; NumVgprs: 48
; NumAgprs: 0
; TotalNumVgprs: 48
; ScratchSize: 0
; MemoryBound: 0
; FloatMode: 240
; IeeeMode: 1
; LDSByteSize: 0 bytes/workgroup (compile time only)
; SGPRBlocks: 3
; VGPRBlocks: 5
; NumSGPRsForWavesPerEU: 29
; NumVGPRsForWavesPerEU: 48
; AccumOffset: 48
; Occupancy: 8
; WaveLimiterHint : 0
; COMPUTE_PGM_RSRC2:SCRATCH_EN: 0
; COMPUTE_PGM_RSRC2:USER_SGPR: 6
; COMPUTE_PGM_RSRC2:TRAP_HANDLER: 0
; COMPUTE_PGM_RSRC2:TGID_X_EN: 1
; COMPUTE_PGM_RSRC2:TGID_Y_EN: 0
; COMPUTE_PGM_RSRC2:TGID_Z_EN: 0
; COMPUTE_PGM_RSRC2:TIDIG_COMP_CNT: 0
; COMPUTE_PGM_RSRC3_GFX90A:ACCUM_OFFSET: 11
; COMPUTE_PGM_RSRC3_GFX90A:TG_SPLIT: 0
	.section	.text._ZN2at6native12_GLOBAL__N_125multi_tensor_apply_kernelINS1_28TensorListScalarListMetadataIaLi3EEENS1_28PointwiseOpScalarListFunctorIaLi3ELi3ELi0EEEJSt10multipliesIaEEEEvT_T0_DpT1_,"axG",@progbits,_ZN2at6native12_GLOBAL__N_125multi_tensor_apply_kernelINS1_28TensorListScalarListMetadataIaLi3EEENS1_28PointwiseOpScalarListFunctorIaLi3ELi3ELi0EEEJSt10multipliesIaEEEEvT_T0_DpT1_,comdat
	.globl	_ZN2at6native12_GLOBAL__N_125multi_tensor_apply_kernelINS1_28TensorListScalarListMetadataIaLi3EEENS1_28PointwiseOpScalarListFunctorIaLi3ELi3ELi0EEEJSt10multipliesIaEEEEvT_T0_DpT1_ ; -- Begin function _ZN2at6native12_GLOBAL__N_125multi_tensor_apply_kernelINS1_28TensorListScalarListMetadataIaLi3EEENS1_28PointwiseOpScalarListFunctorIaLi3ELi3ELi0EEEJSt10multipliesIaEEEEvT_T0_DpT1_
	.p2align	8
	.type	_ZN2at6native12_GLOBAL__N_125multi_tensor_apply_kernelINS1_28TensorListScalarListMetadataIaLi3EEENS1_28PointwiseOpScalarListFunctorIaLi3ELi3ELi0EEEJSt10multipliesIaEEEEvT_T0_DpT1_,@function
_ZN2at6native12_GLOBAL__N_125multi_tensor_apply_kernelINS1_28TensorListScalarListMetadataIaLi3EEENS1_28PointwiseOpScalarListFunctorIaLi3ELi3ELi0EEEJSt10multipliesIaEEEEvT_T0_DpT1_: ; @_ZN2at6native12_GLOBAL__N_125multi_tensor_apply_kernelINS1_28TensorListScalarListMetadataIaLi3EEENS1_28PointwiseOpScalarListFunctorIaLi3ELi3ELi0EEEJSt10multipliesIaEEEEvT_T0_DpT1_
; %bb.0:
	v_mov_b32_e32 v1, s6
	global_load_ubyte v1, v1, s[4:5] offset:1584
	s_add_u32 s0, s4, s6
	s_addc_u32 s1, s5, 0
	s_mul_hi_u32 s2, s6, 3
	s_mul_i32 s6, s6, 3
	s_add_u32 s0, s0, s6
	s_addc_u32 s1, s1, s2
	s_load_dword s2, s[0:1], 0x770
	v_mov_b32_e32 v3, s5
	s_mov_b32 s15, 0
	s_waitcnt lgkmcnt(0)
	s_ashr_i32 s3, s2, 31
	s_lshl_b64 s[8:9], s[2:3], 16
	s_waitcnt vmcnt(0)
	v_add_co_u32_e32 v2, vcc, s4, v1
	v_addc_co_u32_e32 v3, vcc, 0, v3, vcc
	global_load_ubyte v2, v[2:3], off offset:1536
	v_readfirstlane_b32 s0, v1
	s_lshl_b32 s10, s0, 3
	s_load_dwordx2 s[0:1], s[4:5], s10 offset:0x0
	s_load_dwordx2 s[2:3], s[4:5], s10 offset:0x180
	;; [unrolled: 1-line block ×4, first 2 shown]
	s_waitcnt lgkmcnt(0)
	s_add_u32 s10, s0, s8
	s_addc_u32 s11, s1, s9
	s_add_u32 s20, s2, s8
	s_addc_u32 s23, s3, s9
	;; [unrolled: 2-line block ×3, first 2 shown]
	s_or_b32 s12, s21, s20
	s_and_b32 s12, s12, 3
	s_cmp_eq_u32 s12, 0
	s_cselect_b64 s[18:19], -1, 0
	s_sub_u32 s12, s16, s8
	s_subb_u32 s13, s17, s9
	s_or_b64 s[16:17], s[16:17], s[10:11]
	s_and_b32 s14, s16, 3
	s_cmp_eq_u64 s[14:15], 0
	s_cselect_b64 s[14:15], -1, 0
	s_and_b64 s[16:17], s[18:19], s[14:15]
	s_mov_b64 s[14:15], -1
	s_and_b64 vcc, exec, s[16:17]
	s_cbranch_vccnz .LBB100_29
; %bb.1:
	v_cmp_lt_i64_e64 s[14:15], s[12:13], 1
	s_and_b64 vcc, exec, s[14:15]
	s_cbranch_vccnz .LBB100_28
; %bb.2:
	s_load_dword s14, s[4:5], 0xc84
	v_mov_b32_e32 v4, 0x10000
	v_mov_b32_e32 v5, 0
	v_cmp_lt_u64_e32 vcc, s[12:13], v[4:5]
	v_mov_b32_e32 v1, s9
	s_waitcnt lgkmcnt(0)
	s_and_b32 s18, s14, 0xffff
	s_and_b64 s[14:15], vcc, exec
	v_add_co_u32_e32 v24, vcc, s8, v0
	v_addc_co_u32_e32 v25, vcc, 0, v1, vcc
	v_mov_b32_e32 v26, s1
	v_add_co_u32_e32 v1, vcc, s0, v24
	v_addc_co_u32_e32 v3, vcc, v26, v25, vcc
	v_mov_b32_e32 v27, s3
	v_add_co_u32_e32 v4, vcc, s2, v24
	s_cselect_b32 s15, s13, 0
	s_cselect_b32 s14, s12, 0x10000
	s_lshl_b32 s19, s18, 1
	s_mul_i32 s16, s18, 3
	s_lshl_b32 s24, s18, 2
	v_addc_co_u32_e32 v5, vcc, v27, v25, vcc
	v_mov_b32_e32 v29, s7
	v_add_co_u32_e32 v6, vcc, s6, v24
	s_add_u32 s1, s8, s16
	v_addc_co_u32_e32 v7, vcc, v29, v25, vcc
	s_addc_u32 s3, s9, 0
	v_mov_b32_e32 v8, s3
	v_add_co_u32_e32 v12, vcc, s1, v0
	v_addc_co_u32_e32 v13, vcc, 0, v8, vcc
	v_add_co_u32_e32 v8, vcc, s0, v12
	v_addc_co_u32_e32 v9, vcc, v26, v13, vcc
	;; [unrolled: 2-line block ×4, first 2 shown]
	s_add_u32 s1, s8, s19
	v_add_co_u32_e32 v14, vcc, s16, v0
	s_addc_u32 s3, s9, 0
	v_addc_co_u32_e64 v15, s[16:17], 0, 0, vcc
	v_mov_b32_e32 v16, s3
	v_add_co_u32_e32 v20, vcc, s1, v0
	v_addc_co_u32_e32 v21, vcc, 0, v16, vcc
	v_add_co_u32_e32 v16, vcc, s0, v20
	v_addc_co_u32_e32 v17, vcc, v26, v21, vcc
	v_add_co_u32_e32 v18, vcc, s2, v20
	v_addc_co_u32_e32 v19, vcc, v27, v21, vcc
	v_add_co_u32_e32 v20, vcc, s6, v20
	v_addc_co_u32_e32 v21, vcc, v29, v21, vcc
	v_add_co_u32_e32 v22, vcc, s19, v0
	v_addc_co_u32_e64 v23, s[8:9], 0, 0, vcc
	v_add_co_u32_e32 v28, vcc, s18, v24
	v_addc_co_u32_e32 v30, vcc, 0, v25, vcc
	v_add_co_u32_e32 v24, vcc, s0, v28
	v_addc_co_u32_e32 v25, vcc, v26, v30, vcc
	;; [unrolled: 2-line block ×4, first 2 shown]
	v_add_co_u32_e32 v30, vcc, s18, v0
	v_addc_co_u32_e64 v31, s[0:1], 0, 0, vcc
	s_mov_b64 s[16:17], 0
	s_branch .LBB100_4
.LBB100_3:                              ;   in Loop: Header=BB100_4 Depth=1
	s_or_b64 exec, exec, s[0:1]
	s_add_u32 s16, s16, s24
	s_addc_u32 s17, s17, 0
	s_waitcnt vmcnt(0)
	v_pk_mov_b32 v[32:33], s[12:13], s[12:13] op_sel:[0,1]
	v_cmp_lt_i64_e32 vcc, s[16:17], v[32:33]
	v_mov_b32_e32 v32, 0x10000
	v_mov_b32_e32 v33, 0
	v_cmp_lt_u64_e64 s[0:1], s[16:17], v[32:33]
	s_and_b64 s[0:1], vcc, s[0:1]
	s_and_b64 vcc, exec, s[0:1]
	s_cbranch_vccz .LBB100_28
.LBB100_4:                              ; =>This Inner Loop Header: Depth=1
	v_mov_b32_e32 v33, s17
	v_add_co_u32_e32 v32, vcc, s16, v0
	v_addc_co_u32_e32 v33, vcc, 0, v33, vcc
	v_cmp_gt_u64_e32 vcc, s[14:15], v[32:33]
	v_mov_b32_e32 v32, 0
	v_mov_b32_e32 v33, 0
	s_and_saveexec_b64 s[2:3], vcc
	s_cbranch_execz .LBB100_6
; %bb.5:                                ;   in Loop: Header=BB100_4 Depth=1
	v_mov_b32_e32 v32, s17
	v_add_co_u32_e64 v34, s[0:1], s16, v1
	v_addc_co_u32_e64 v35, s[0:1], v3, v32, s[0:1]
	v_add_co_u32_e64 v36, s[0:1], s16, v4
	v_addc_co_u32_e64 v37, s[0:1], v5, v32, s[0:1]
	global_load_ubyte v32, v[34:35], off
	global_load_ubyte v33, v[36:37], off
.LBB100_6:                              ;   in Loop: Header=BB100_4 Depth=1
	s_or_b64 exec, exec, s[2:3]
	v_mov_b32_e32 v34, 0
	v_mov_b32_e32 v35, 0
	s_and_saveexec_b64 s[2:3], vcc
	s_cbranch_execz .LBB100_8
; %bb.7:                                ;   in Loop: Header=BB100_4 Depth=1
	v_mov_b32_e32 v35, s17
	v_add_co_u32_e64 v36, s[0:1], s16, v6
	v_addc_co_u32_e64 v37, s[0:1], v7, v35, s[0:1]
	global_load_ubyte v35, v[36:37], off
.LBB100_8:                              ;   in Loop: Header=BB100_4 Depth=1
	s_or_b64 exec, exec, s[2:3]
	v_mov_b32_e32 v37, s17
	v_add_co_u32_e64 v36, s[0:1], s16, v30
	v_addc_co_u32_e64 v37, s[0:1], v31, v37, s[0:1]
	v_cmp_gt_u64_e64 s[0:1], s[14:15], v[36:37]
	v_mov_b32_e32 v36, 0
	s_and_saveexec_b64 s[6:7], s[0:1]
	s_cbranch_execz .LBB100_10
; %bb.9:                                ;   in Loop: Header=BB100_4 Depth=1
	v_mov_b32_e32 v34, s17
	v_add_co_u32_e64 v38, s[2:3], s16, v26
	v_addc_co_u32_e64 v39, s[2:3], v27, v34, s[2:3]
	v_add_co_u32_e64 v40, s[2:3], s16, v24
	v_addc_co_u32_e64 v41, s[2:3], v25, v34, s[2:3]
	global_load_ubyte v34, v[40:41], off
	global_load_ubyte v36, v[38:39], off
.LBB100_10:                             ;   in Loop: Header=BB100_4 Depth=1
	s_or_b64 exec, exec, s[6:7]
	v_mov_b32_e32 v37, 0
	v_mov_b32_e32 v38, 0
	s_and_saveexec_b64 s[6:7], s[0:1]
	s_cbranch_execz .LBB100_12
; %bb.11:                               ;   in Loop: Header=BB100_4 Depth=1
	v_mov_b32_e32 v39, s17
	v_add_co_u32_e64 v38, s[2:3], s16, v28
	v_addc_co_u32_e64 v39, s[2:3], v29, v39, s[2:3]
	global_load_ubyte v38, v[38:39], off
.LBB100_12:                             ;   in Loop: Header=BB100_4 Depth=1
	s_or_b64 exec, exec, s[6:7]
	v_mov_b32_e32 v39, s17
	v_add_co_u32_e64 v40, s[2:3], s16, v22
	v_addc_co_u32_e64 v41, s[2:3], v23, v39, s[2:3]
	v_cmp_gt_u64_e64 s[2:3], s[14:15], v[40:41]
	v_mov_b32_e32 v39, 0
	s_and_saveexec_b64 s[8:9], s[2:3]
	s_cbranch_execz .LBB100_14
; %bb.13:                               ;   in Loop: Header=BB100_4 Depth=1
	v_mov_b32_e32 v37, s17
	v_add_co_u32_e64 v40, s[6:7], s16, v18
	v_addc_co_u32_e64 v41, s[6:7], v19, v37, s[6:7]
	v_add_co_u32_e64 v42, s[6:7], s16, v16
	v_addc_co_u32_e64 v43, s[6:7], v17, v37, s[6:7]
	global_load_ubyte v37, v[42:43], off
	global_load_ubyte v39, v[40:41], off
.LBB100_14:                             ;   in Loop: Header=BB100_4 Depth=1
	s_or_b64 exec, exec, s[8:9]
	v_mov_b32_e32 v40, 0
	v_mov_b32_e32 v41, 0
	s_and_saveexec_b64 s[8:9], s[2:3]
	s_cbranch_execz .LBB100_16
; %bb.15:                               ;   in Loop: Header=BB100_4 Depth=1
	v_mov_b32_e32 v41, s17
	v_add_co_u32_e64 v42, s[6:7], s16, v20
	v_addc_co_u32_e64 v43, s[6:7], v21, v41, s[6:7]
	global_load_ubyte v41, v[42:43], off
.LBB100_16:                             ;   in Loop: Header=BB100_4 Depth=1
	s_or_b64 exec, exec, s[8:9]
	v_mov_b32_e32 v43, s17
	v_add_co_u32_e64 v42, s[6:7], s16, v14
	v_addc_co_u32_e64 v43, s[6:7], v15, v43, s[6:7]
	v_cmp_gt_u64_e64 s[6:7], s[14:15], v[42:43]
	v_mov_b32_e32 v42, 0
	s_and_saveexec_b64 s[18:19], s[6:7]
	s_cbranch_execnz .LBB100_22
; %bb.17:                               ;   in Loop: Header=BB100_4 Depth=1
	s_or_b64 exec, exec, s[18:19]
	v_mov_b32_e32 v43, 0
	s_and_saveexec_b64 s[18:19], s[6:7]
	s_cbranch_execnz .LBB100_23
.LBB100_18:                             ;   in Loop: Header=BB100_4 Depth=1
	s_or_b64 exec, exec, s[18:19]
	s_and_saveexec_b64 s[8:9], vcc
	s_cbranch_execnz .LBB100_24
.LBB100_19:                             ;   in Loop: Header=BB100_4 Depth=1
	s_or_b64 exec, exec, s[8:9]
	s_and_saveexec_b64 s[8:9], s[0:1]
	s_cbranch_execnz .LBB100_25
.LBB100_20:                             ;   in Loop: Header=BB100_4 Depth=1
	s_or_b64 exec, exec, s[8:9]
	s_and_saveexec_b64 s[0:1], s[2:3]
	s_cbranch_execnz .LBB100_26
.LBB100_21:                             ;   in Loop: Header=BB100_4 Depth=1
	s_or_b64 exec, exec, s[0:1]
	s_and_saveexec_b64 s[0:1], s[6:7]
	s_cbranch_execz .LBB100_3
	s_branch .LBB100_27
.LBB100_22:                             ;   in Loop: Header=BB100_4 Depth=1
	v_mov_b32_e32 v40, s17
	v_add_co_u32_e64 v44, s[8:9], s16, v10
	v_addc_co_u32_e64 v45, s[8:9], v11, v40, s[8:9]
	v_add_co_u32_e64 v46, s[8:9], s16, v8
	v_addc_co_u32_e64 v47, s[8:9], v9, v40, s[8:9]
	global_load_ubyte v40, v[46:47], off
	global_load_ubyte v42, v[44:45], off
	s_or_b64 exec, exec, s[18:19]
	v_mov_b32_e32 v43, 0
	s_and_saveexec_b64 s[18:19], s[6:7]
	s_cbranch_execz .LBB100_18
.LBB100_23:                             ;   in Loop: Header=BB100_4 Depth=1
	v_mov_b32_e32 v43, s17
	v_add_co_u32_e64 v44, s[8:9], s16, v12
	v_addc_co_u32_e64 v45, s[8:9], v13, v43, s[8:9]
	global_load_ubyte v43, v[44:45], off
	s_or_b64 exec, exec, s[18:19]
	s_and_saveexec_b64 s[8:9], vcc
	s_cbranch_execz .LBB100_19
.LBB100_24:                             ;   in Loop: Header=BB100_4 Depth=1
	s_waitcnt vmcnt(0)
	v_mul_lo_u16_e32 v33, v33, v2
	v_mad_legacy_u16 v35, v33, v35, v32
	v_mov_b32_e32 v33, s17
	v_add_co_u32_e32 v32, vcc, s16, v1
	v_addc_co_u32_e32 v33, vcc, v3, v33, vcc
	global_store_byte v[32:33], v35, off
	s_or_b64 exec, exec, s[8:9]
	s_and_saveexec_b64 s[8:9], s[0:1]
	s_cbranch_execz .LBB100_20
.LBB100_25:                             ;   in Loop: Header=BB100_4 Depth=1
	s_waitcnt vmcnt(0)
	v_mul_lo_u16_e32 v32, v36, v2
	v_mad_legacy_u16 v34, v32, v38, v34
	v_mov_b32_e32 v33, s17
	v_add_co_u32_e32 v32, vcc, s16, v24
	v_addc_co_u32_e32 v33, vcc, v25, v33, vcc
	global_store_byte v[32:33], v34, off
	s_or_b64 exec, exec, s[8:9]
	s_and_saveexec_b64 s[0:1], s[2:3]
	s_cbranch_execz .LBB100_21
.LBB100_26:                             ;   in Loop: Header=BB100_4 Depth=1
	s_waitcnt vmcnt(0)
	v_mul_lo_u16_e32 v32, v39, v2
	v_mad_legacy_u16 v34, v32, v41, v37
	v_mov_b32_e32 v33, s17
	v_add_co_u32_e32 v32, vcc, s16, v16
	v_addc_co_u32_e32 v33, vcc, v17, v33, vcc
	global_store_byte v[32:33], v34, off
	s_or_b64 exec, exec, s[0:1]
	s_and_saveexec_b64 s[0:1], s[6:7]
	s_cbranch_execz .LBB100_3
.LBB100_27:                             ;   in Loop: Header=BB100_4 Depth=1
	s_waitcnt vmcnt(0)
	v_mul_lo_u16_e32 v32, v42, v2
	v_mad_legacy_u16 v34, v32, v43, v40
	v_mov_b32_e32 v33, s17
	v_add_co_u32_e32 v32, vcc, s16, v8
	v_addc_co_u32_e32 v33, vcc, v9, v33, vcc
	global_store_byte v[32:33], v34, off
	s_branch .LBB100_3
.LBB100_28:
	s_mov_b64 s[14:15], 0
.LBB100_29:
	s_andn2_b64 vcc, exec, s[14:15]
	s_cbranch_vccnz .LBB100_33
; %bb.30:
	v_lshlrev_b32_e32 v0, 2, v0
	v_mov_b32_e32 v1, 0
	v_cmp_gt_i64_e32 vcc, s[12:13], v[0:1]
	s_and_saveexec_b64 s[0:1], vcc
	s_cbranch_execz .LBB100_33
; %bb.31:
	s_load_dword s0, s[4:5], 0xc84
	s_mov_b32 s1, 0
	s_mov_b64 s[2:3], 0
	v_mov_b32_e32 v3, s11
	v_mov_b32_e32 v4, s23
	s_waitcnt lgkmcnt(0)
	s_and_b32 s0, s0, 0xffff
	s_lshl_b32 s6, s0, 2
	v_mov_b32_e32 v5, s22
	s_mov_b32 s7, 0x6050400
	v_mov_b32_e32 v6, s1
	s_mov_b64 s[4:5], 0xffff
.LBB100_32:                             ; =>This Inner Loop Header: Depth=1
	v_add_co_u32_e32 v8, vcc, s10, v0
	v_addc_co_u32_e32 v9, vcc, v3, v1, vcc
	v_add_co_u32_e32 v10, vcc, s20, v0
	v_addc_co_u32_e32 v11, vcc, v4, v1, vcc
	;; [unrolled: 2-line block ×3, first 2 shown]
	global_load_dword v7, v[10:11], off
	global_load_dword v14, v[8:9], off
	;; [unrolled: 1-line block ×3, first 2 shown]
	v_add_co_u32_e32 v0, vcc, s6, v0
	v_addc_co_u32_e32 v1, vcc, v6, v1, vcc
	v_cmp_le_i64_e32 vcc, s[12:13], v[0:1]
	v_cmp_lt_u64_e64 s[0:1], s[4:5], v[0:1]
	s_or_b64 s[0:1], vcc, s[0:1]
	s_and_b64 s[0:1], exec, s[0:1]
	s_or_b64 s[2:3], s[0:1], s[2:3]
	s_waitcnt vmcnt(2)
	v_lshrrev_b32_e32 v12, 8, v7
	v_mul_lo_u16_e32 v10, v2, v7
	s_waitcnt vmcnt(1)
	v_lshrrev_b32_e32 v11, 8, v14
	s_waitcnt vmcnt(0)
	v_lshrrev_b32_e32 v13, 8, v15
	v_lshrrev_b32_e32 v16, 16, v14
	;; [unrolled: 1-line block ×3, first 2 shown]
	v_mul_lo_u16_sdwa v18, v2, v7 dst_sel:DWORD dst_unused:UNUSED_PAD src0_sel:DWORD src1_sel:WORD_1
	v_mul_lo_u16_e32 v12, v2, v12
	v_lshrrev_b32_e32 v19, 24, v14
	v_lshrrev_b32_e32 v20, 24, v15
	v_mul_lo_u16_sdwa v7, v2, v7 dst_sel:DWORD dst_unused:UNUSED_PAD src0_sel:DWORD src1_sel:BYTE_3
	v_mad_legacy_u16 v10, v10, v15, v14
	v_mad_legacy_u16 v14, v18, v17, v16
	;; [unrolled: 1-line block ×4, first 2 shown]
	v_and_b32_e32 v12, 0xff, v14
	v_and_b32_e32 v11, 0xff, v11
	v_lshlrev_b32_e32 v7, 24, v7
	v_lshlrev_b32_e32 v12, 16, v12
	v_perm_b32 v10, v11, v10, s7
	v_or3_b32 v7, v10, v12, v7
	global_store_dword v[8:9], v7, off
	s_andn2_b64 exec, exec, s[2:3]
	s_cbranch_execnz .LBB100_32
.LBB100_33:
	s_endpgm
	.section	.rodata,"a",@progbits
	.p2align	6, 0x0
	.amdhsa_kernel _ZN2at6native12_GLOBAL__N_125multi_tensor_apply_kernelINS1_28TensorListScalarListMetadataIaLi3EEENS1_28PointwiseOpScalarListFunctorIaLi3ELi3ELi0EEEJSt10multipliesIaEEEEvT_T0_DpT1_
		.amdhsa_group_segment_fixed_size 0
		.amdhsa_private_segment_fixed_size 0
		.amdhsa_kernarg_size 3448
		.amdhsa_user_sgpr_count 6
		.amdhsa_user_sgpr_private_segment_buffer 1
		.amdhsa_user_sgpr_dispatch_ptr 0
		.amdhsa_user_sgpr_queue_ptr 0
		.amdhsa_user_sgpr_kernarg_segment_ptr 1
		.amdhsa_user_sgpr_dispatch_id 0
		.amdhsa_user_sgpr_flat_scratch_init 0
		.amdhsa_user_sgpr_kernarg_preload_length 0
		.amdhsa_user_sgpr_kernarg_preload_offset 0
		.amdhsa_user_sgpr_private_segment_size 0
		.amdhsa_uses_dynamic_stack 0
		.amdhsa_system_sgpr_private_segment_wavefront_offset 0
		.amdhsa_system_sgpr_workgroup_id_x 1
		.amdhsa_system_sgpr_workgroup_id_y 0
		.amdhsa_system_sgpr_workgroup_id_z 0
		.amdhsa_system_sgpr_workgroup_info 0
		.amdhsa_system_vgpr_workitem_id 0
		.amdhsa_next_free_vgpr 48
		.amdhsa_next_free_sgpr 25
		.amdhsa_accum_offset 48
		.amdhsa_reserve_vcc 1
		.amdhsa_reserve_flat_scratch 0
		.amdhsa_float_round_mode_32 0
		.amdhsa_float_round_mode_16_64 0
		.amdhsa_float_denorm_mode_32 3
		.amdhsa_float_denorm_mode_16_64 3
		.amdhsa_dx10_clamp 1
		.amdhsa_ieee_mode 1
		.amdhsa_fp16_overflow 0
		.amdhsa_tg_split 0
		.amdhsa_exception_fp_ieee_invalid_op 0
		.amdhsa_exception_fp_denorm_src 0
		.amdhsa_exception_fp_ieee_div_zero 0
		.amdhsa_exception_fp_ieee_overflow 0
		.amdhsa_exception_fp_ieee_underflow 0
		.amdhsa_exception_fp_ieee_inexact 0
		.amdhsa_exception_int_div_zero 0
	.end_amdhsa_kernel
	.section	.text._ZN2at6native12_GLOBAL__N_125multi_tensor_apply_kernelINS1_28TensorListScalarListMetadataIaLi3EEENS1_28PointwiseOpScalarListFunctorIaLi3ELi3ELi0EEEJSt10multipliesIaEEEEvT_T0_DpT1_,"axG",@progbits,_ZN2at6native12_GLOBAL__N_125multi_tensor_apply_kernelINS1_28TensorListScalarListMetadataIaLi3EEENS1_28PointwiseOpScalarListFunctorIaLi3ELi3ELi0EEEJSt10multipliesIaEEEEvT_T0_DpT1_,comdat
.Lfunc_end100:
	.size	_ZN2at6native12_GLOBAL__N_125multi_tensor_apply_kernelINS1_28TensorListScalarListMetadataIaLi3EEENS1_28PointwiseOpScalarListFunctorIaLi3ELi3ELi0EEEJSt10multipliesIaEEEEvT_T0_DpT1_, .Lfunc_end100-_ZN2at6native12_GLOBAL__N_125multi_tensor_apply_kernelINS1_28TensorListScalarListMetadataIaLi3EEENS1_28PointwiseOpScalarListFunctorIaLi3ELi3ELi0EEEJSt10multipliesIaEEEEvT_T0_DpT1_
                                        ; -- End function
	.section	.AMDGPU.csdata,"",@progbits
; Kernel info:
; codeLenInByte = 1716
; NumSgprs: 29
; NumVgprs: 48
; NumAgprs: 0
; TotalNumVgprs: 48
; ScratchSize: 0
; MemoryBound: 0
; FloatMode: 240
; IeeeMode: 1
; LDSByteSize: 0 bytes/workgroup (compile time only)
; SGPRBlocks: 3
; VGPRBlocks: 5
; NumSGPRsForWavesPerEU: 29
; NumVGPRsForWavesPerEU: 48
; AccumOffset: 48
; Occupancy: 8
; WaveLimiterHint : 0
; COMPUTE_PGM_RSRC2:SCRATCH_EN: 0
; COMPUTE_PGM_RSRC2:USER_SGPR: 6
; COMPUTE_PGM_RSRC2:TRAP_HANDLER: 0
; COMPUTE_PGM_RSRC2:TGID_X_EN: 1
; COMPUTE_PGM_RSRC2:TGID_Y_EN: 0
; COMPUTE_PGM_RSRC2:TGID_Z_EN: 0
; COMPUTE_PGM_RSRC2:TIDIG_COMP_CNT: 0
; COMPUTE_PGM_RSRC3_GFX90A:ACCUM_OFFSET: 11
; COMPUTE_PGM_RSRC3_GFX90A:TG_SPLIT: 0
	.section	.text._ZN2at6native12_GLOBAL__N_125multi_tensor_apply_kernelINS1_28TensorListScalarListMetadataIiLi3EEENS1_28PointwiseOpScalarListFunctorIiLi3ELi3ELi0EEEJSt10multipliesIiEEEEvT_T0_DpT1_,"axG",@progbits,_ZN2at6native12_GLOBAL__N_125multi_tensor_apply_kernelINS1_28TensorListScalarListMetadataIiLi3EEENS1_28PointwiseOpScalarListFunctorIiLi3ELi3ELi0EEEJSt10multipliesIiEEEEvT_T0_DpT1_,comdat
	.globl	_ZN2at6native12_GLOBAL__N_125multi_tensor_apply_kernelINS1_28TensorListScalarListMetadataIiLi3EEENS1_28PointwiseOpScalarListFunctorIiLi3ELi3ELi0EEEJSt10multipliesIiEEEEvT_T0_DpT1_ ; -- Begin function _ZN2at6native12_GLOBAL__N_125multi_tensor_apply_kernelINS1_28TensorListScalarListMetadataIiLi3EEENS1_28PointwiseOpScalarListFunctorIiLi3ELi3ELi0EEEJSt10multipliesIiEEEEvT_T0_DpT1_
	.p2align	8
	.type	_ZN2at6native12_GLOBAL__N_125multi_tensor_apply_kernelINS1_28TensorListScalarListMetadataIiLi3EEENS1_28PointwiseOpScalarListFunctorIiLi3ELi3ELi0EEEJSt10multipliesIiEEEEvT_T0_DpT1_,@function
_ZN2at6native12_GLOBAL__N_125multi_tensor_apply_kernelINS1_28TensorListScalarListMetadataIiLi3EEENS1_28PointwiseOpScalarListFunctorIiLi3ELi3ELi0EEEJSt10multipliesIiEEEEvT_T0_DpT1_: ; @_ZN2at6native12_GLOBAL__N_125multi_tensor_apply_kernelINS1_28TensorListScalarListMetadataIiLi3EEENS1_28PointwiseOpScalarListFunctorIiLi3ELi3ELi0EEEJSt10multipliesIiEEEEvT_T0_DpT1_
; %bb.0:
	v_mov_b32_e32 v1, s6
	global_load_ubyte v1, v1, s[4:5] offset:1728
	s_add_u32 s0, s4, s6
	s_mul_i32 s1, s6, 3
	s_addc_u32 s2, s5, 0
	s_mul_hi_u32 s3, s6, 3
	s_add_u32 s0, s0, s1
	s_addc_u32 s1, s2, s3
	s_load_dword s0, s[0:1], 0x800
	s_mov_b32 s3, 0
	s_waitcnt lgkmcnt(0)
	s_ashr_i32 s1, s0, 31
	s_waitcnt vmcnt(0)
	v_readfirstlane_b32 s2, v1
	s_lshl_b32 s2, s2, 3
	s_add_u32 s8, s4, s2
	s_load_dwordx2 s[16:17], s[4:5], s2 offset:0x0
	s_load_dwordx2 s[14:15], s[4:5], s2 offset:0x180
	;; [unrolled: 1-line block ×4, first 2 shown]
	v_lshlrev_b32_e32 v1, 2, v1
	s_addc_u32 s2, s5, 0
	v_mov_b32_e32 v3, s2
	v_sub_co_u32_e32 v2, vcc, s8, v1
	s_lshl_b64 s[18:19], s[0:1], 18
	v_subbrev_co_u32_e32 v1, vcc, 0, v3, vcc
	v_readfirstlane_b32 s8, v2
	v_readfirstlane_b32 s9, v1
	s_waitcnt lgkmcnt(0)
	s_add_u32 s12, s14, s18
	s_load_dword s26, s[8:9], 0x600
	s_or_b32 s8, s10, s12
	s_and_b32 s2, s16, 15
	s_and_b32 s8, s8, 15
	s_cmp_eq_u32 s8, 0
	s_cselect_b64 s[8:9], -1, 0
	s_lshl_b64 s[0:1], s[0:1], 16
	s_sub_u32 s12, s6, s0
	s_subb_u32 s13, s7, s1
	s_and_b32 s0, s6, 3
	s_or_b32 s2, s2, s0
	s_cmp_eq_u64 s[2:3], 0
	s_cselect_b64 s[0:1], -1, 0
	s_and_b64 s[2:3], s[8:9], s[0:1]
	s_mov_b64 s[0:1], -1
	s_and_b64 vcc, exec, s[2:3]
	s_cbranch_vccnz .LBB101_29
; %bb.1:
	v_cmp_lt_i64_e64 s[0:1], s[12:13], 1
	s_and_b64 vcc, exec, s[0:1]
	s_cbranch_vccnz .LBB101_28
; %bb.2:
	s_load_dword s0, s[4:5], 0xd14
	v_mov_b32_e32 v2, 0x10000
	v_mov_b32_e32 v3, 0
	v_cmp_lt_u64_e32 vcc, s[12:13], v[2:3]
	v_lshlrev_b32_e32 v14, 2, v0
	s_waitcnt lgkmcnt(0)
	s_and_b32 s2, s0, 0xffff
	s_and_b64 s[0:1], vcc, exec
	v_mov_b32_e32 v19, s17
	v_add_co_u32_e32 v2, vcc, s16, v14
	v_addc_co_u32_e32 v1, vcc, 0, v19, vcc
	v_mov_b32_e32 v21, s15
	v_add_co_u32_e32 v4, vcc, s14, v14
	v_addc_co_u32_e32 v3, vcc, 0, v21, vcc
	v_mov_b32_e32 v15, 0
	v_mov_b32_e32 v23, s11
	v_add_co_u32_e32 v6, vcc, s10, v14
	v_addc_co_u32_e32 v5, vcc, 0, v23, vcc
	v_mad_u64_u32 v[12:13], s[0:1], s2, 12, v[14:15]
	v_add_co_u32_e32 v8, vcc, s16, v12
	v_addc_co_u32_e32 v7, vcc, v19, v13, vcc
	v_add_co_u32_e32 v10, vcc, s14, v12
	v_addc_co_u32_e32 v9, vcc, v21, v13, vcc
	v_add_co_u32_e32 v12, vcc, s10, v12
	s_mul_i32 s6, s2, 3
	v_addc_co_u32_e32 v11, vcc, v23, v13, vcc
	v_add_co_u32_e32 v25, vcc, s6, v0
	v_addc_co_u32_e64 v27, s[0:1], 0, 0, vcc
	s_cselect_b32 s21, s13, 0
	s_cselect_b32 s20, s12, 0x10000
	s_lshl_b32 s0, s2, 3
	v_add_co_u32_e32 v17, vcc, s0, v14
	v_addc_co_u32_e64 v20, s[0:1], 0, 0, vcc
	v_add_co_u32_e32 v14, vcc, s16, v17
	v_addc_co_u32_e32 v13, vcc, v19, v20, vcc
	v_add_co_u32_e32 v16, vcc, s14, v17
	v_addc_co_u32_e32 v15, vcc, v21, v20, vcc
	v_add_co_u32_e32 v18, vcc, s10, v17
	s_lshl_b32 s3, s2, 1
	v_addc_co_u32_e32 v17, vcc, v23, v20, vcc
	v_add_co_u32_e32 v29, vcc, s3, v0
	v_addc_co_u32_e64 v31, s[0:1], 0, 0, vcc
	v_add_co_u32_e32 v33, vcc, s2, v0
	v_lshlrev_b32_e32 v24, 2, v33
	v_addc_co_u32_e64 v34, s[0:1], 0, 0, vcc
	v_add_co_u32_e32 v20, vcc, s16, v24
	v_addc_co_u32_e32 v19, vcc, 0, v19, vcc
	v_add_co_u32_e32 v22, vcc, s14, v24
	v_addc_co_u32_e32 v21, vcc, 0, v21, vcc
	v_add_co_u32_e32 v24, vcc, s10, v24
	s_mov_b32 s27, 0
	s_lshl_b32 s28, s2, 2
	s_lshl_b32 s29, s2, 4
	v_addc_co_u32_e32 v23, vcc, 0, v23, vcc
	s_mov_b64 s[22:23], 0
	s_branch .LBB101_4
.LBB101_3:                              ;   in Loop: Header=BB101_4 Depth=1
	s_or_b64 exec, exec, s[0:1]
	s_add_u32 s22, s22, s28
	s_addc_u32 s23, s23, 0
	s_waitcnt vmcnt(0)
	v_pk_mov_b32 v[36:37], s[12:13], s[12:13] op_sel:[0,1]
	v_cmp_lt_i64_e32 vcc, s[22:23], v[36:37]
	v_mov_b32_e32 v36, 0x10000
	v_mov_b32_e32 v37, 0
	v_cmp_lt_u64_e64 s[0:1], s[22:23], v[36:37]
	s_and_b64 s[0:1], vcc, s[0:1]
	v_mov_b32_e32 v26, s27
	v_add_co_u32_e32 v2, vcc, s29, v2
	v_addc_co_u32_e32 v1, vcc, v1, v26, vcc
	v_add_co_u32_e32 v4, vcc, s29, v4
	v_addc_co_u32_e32 v3, vcc, v3, v26, vcc
	;; [unrolled: 2-line block ×12, first 2 shown]
	s_and_b64 vcc, exec, s[0:1]
	s_cbranch_vccz .LBB101_28
.LBB101_4:                              ; =>This Inner Loop Header: Depth=1
	v_mov_b32_e32 v26, s23
	v_add_co_u32_e32 v36, vcc, s22, v0
	v_addc_co_u32_e32 v37, vcc, 0, v26, vcc
	v_cmp_gt_u64_e32 vcc, s[20:21], v[36:37]
	v_mov_b32_e32 v26, 0
	v_mov_b32_e32 v35, 0
	s_and_saveexec_b64 s[2:3], vcc
	s_cbranch_execz .LBB101_6
; %bb.5:                                ;   in Loop: Header=BB101_4 Depth=1
	v_mov_b32_e32 v26, s19
	v_add_co_u32_e64 v36, s[0:1], s18, v2
	v_addc_co_u32_e64 v37, s[0:1], v1, v26, s[0:1]
	v_add_co_u32_e64 v38, s[0:1], s18, v4
	v_addc_co_u32_e64 v39, s[0:1], v3, v26, s[0:1]
	global_load_dword v26, v[36:37], off
	global_load_dword v35, v[38:39], off
.LBB101_6:                              ;   in Loop: Header=BB101_4 Depth=1
	s_or_b64 exec, exec, s[2:3]
	v_mov_b32_e32 v28, 0
	v_mov_b32_e32 v36, 0
	s_and_saveexec_b64 s[2:3], vcc
	s_cbranch_execz .LBB101_8
; %bb.7:                                ;   in Loop: Header=BB101_4 Depth=1
	v_mov_b32_e32 v30, s19
	v_add_co_u32_e64 v36, s[0:1], s18, v6
	v_addc_co_u32_e64 v37, s[0:1], v5, v30, s[0:1]
	global_load_dword v36, v[36:37], off
.LBB101_8:                              ;   in Loop: Header=BB101_4 Depth=1
	s_or_b64 exec, exec, s[2:3]
	v_mov_b32_e32 v30, s23
	v_add_co_u32_e64 v38, s[0:1], s22, v33
	v_addc_co_u32_e64 v39, s[0:1], v34, v30, s[0:1]
	v_cmp_gt_u64_e64 s[0:1], s[20:21], v[38:39]
	v_mov_b32_e32 v37, 0
	s_and_saveexec_b64 s[6:7], s[0:1]
	s_cbranch_execz .LBB101_10
; %bb.9:                                ;   in Loop: Header=BB101_4 Depth=1
	v_mov_b32_e32 v28, s19
	v_add_co_u32_e64 v38, s[2:3], s18, v20
	v_addc_co_u32_e64 v39, s[2:3], v19, v28, s[2:3]
	v_add_co_u32_e64 v40, s[2:3], s18, v22
	v_addc_co_u32_e64 v41, s[2:3], v21, v28, s[2:3]
	global_load_dword v28, v[38:39], off
	global_load_dword v37, v[40:41], off
.LBB101_10:                             ;   in Loop: Header=BB101_4 Depth=1
	s_or_b64 exec, exec, s[6:7]
	v_mov_b32_e32 v30, 0
	v_mov_b32_e32 v38, 0
	s_and_saveexec_b64 s[6:7], s[0:1]
	s_cbranch_execz .LBB101_12
; %bb.11:                               ;   in Loop: Header=BB101_4 Depth=1
	v_mov_b32_e32 v32, s19
	v_add_co_u32_e64 v38, s[2:3], s18, v24
	v_addc_co_u32_e64 v39, s[2:3], v23, v32, s[2:3]
	global_load_dword v38, v[38:39], off
.LBB101_12:                             ;   in Loop: Header=BB101_4 Depth=1
	s_or_b64 exec, exec, s[6:7]
	v_mov_b32_e32 v32, s23
	v_add_co_u32_e64 v40, s[2:3], s22, v29
	v_addc_co_u32_e64 v41, s[2:3], v31, v32, s[2:3]
	v_cmp_gt_u64_e64 s[2:3], s[20:21], v[40:41]
	v_mov_b32_e32 v39, 0
	s_and_saveexec_b64 s[8:9], s[2:3]
	s_cbranch_execz .LBB101_14
; %bb.13:                               ;   in Loop: Header=BB101_4 Depth=1
	v_mov_b32_e32 v30, s19
	v_add_co_u32_e64 v40, s[6:7], s18, v14
	v_addc_co_u32_e64 v41, s[6:7], v13, v30, s[6:7]
	v_add_co_u32_e64 v42, s[6:7], s18, v16
	v_addc_co_u32_e64 v43, s[6:7], v15, v30, s[6:7]
	global_load_dword v30, v[40:41], off
	global_load_dword v39, v[42:43], off
.LBB101_14:                             ;   in Loop: Header=BB101_4 Depth=1
	s_or_b64 exec, exec, s[8:9]
	v_mov_b32_e32 v32, 0
	v_mov_b32_e32 v40, 0
	s_and_saveexec_b64 s[8:9], s[2:3]
	s_cbranch_execz .LBB101_16
; %bb.15:                               ;   in Loop: Header=BB101_4 Depth=1
	v_mov_b32_e32 v41, s19
	v_add_co_u32_e64 v40, s[6:7], s18, v18
	v_addc_co_u32_e64 v41, s[6:7], v17, v41, s[6:7]
	global_load_dword v40, v[40:41], off
.LBB101_16:                             ;   in Loop: Header=BB101_4 Depth=1
	s_or_b64 exec, exec, s[8:9]
	v_mov_b32_e32 v41, s23
	v_add_co_u32_e64 v42, s[6:7], s22, v25
	v_addc_co_u32_e64 v43, s[6:7], v27, v41, s[6:7]
	v_cmp_gt_u64_e64 s[6:7], s[20:21], v[42:43]
	v_mov_b32_e32 v41, 0
	s_and_saveexec_b64 s[24:25], s[6:7]
	s_cbranch_execnz .LBB101_22
; %bb.17:                               ;   in Loop: Header=BB101_4 Depth=1
	s_or_b64 exec, exec, s[24:25]
	v_mov_b32_e32 v42, 0
	s_and_saveexec_b64 s[24:25], s[6:7]
	s_cbranch_execnz .LBB101_23
.LBB101_18:                             ;   in Loop: Header=BB101_4 Depth=1
	s_or_b64 exec, exec, s[24:25]
	s_and_saveexec_b64 s[8:9], vcc
	s_cbranch_execnz .LBB101_24
.LBB101_19:                             ;   in Loop: Header=BB101_4 Depth=1
	s_or_b64 exec, exec, s[8:9]
	s_and_saveexec_b64 s[8:9], s[0:1]
	s_cbranch_execnz .LBB101_25
.LBB101_20:                             ;   in Loop: Header=BB101_4 Depth=1
	s_or_b64 exec, exec, s[8:9]
	s_and_saveexec_b64 s[0:1], s[2:3]
	s_cbranch_execnz .LBB101_26
.LBB101_21:                             ;   in Loop: Header=BB101_4 Depth=1
	s_or_b64 exec, exec, s[0:1]
	s_and_saveexec_b64 s[0:1], s[6:7]
	s_cbranch_execz .LBB101_3
	s_branch .LBB101_27
.LBB101_22:                             ;   in Loop: Header=BB101_4 Depth=1
	v_mov_b32_e32 v32, s19
	v_add_co_u32_e64 v42, s[8:9], s18, v8
	v_addc_co_u32_e64 v43, s[8:9], v7, v32, s[8:9]
	v_add_co_u32_e64 v44, s[8:9], s18, v10
	v_addc_co_u32_e64 v45, s[8:9], v9, v32, s[8:9]
	global_load_dword v32, v[42:43], off
	global_load_dword v41, v[44:45], off
	s_or_b64 exec, exec, s[24:25]
	v_mov_b32_e32 v42, 0
	s_and_saveexec_b64 s[24:25], s[6:7]
	s_cbranch_execz .LBB101_18
.LBB101_23:                             ;   in Loop: Header=BB101_4 Depth=1
	v_mov_b32_e32 v43, s19
	v_add_co_u32_e64 v42, s[8:9], s18, v12
	v_addc_co_u32_e64 v43, s[8:9], v11, v43, s[8:9]
	global_load_dword v42, v[42:43], off
	s_or_b64 exec, exec, s[24:25]
	s_and_saveexec_b64 s[8:9], vcc
	s_cbranch_execz .LBB101_19
.LBB101_24:                             ;   in Loop: Header=BB101_4 Depth=1
	v_mov_b32_e32 v43, s19
	v_add_co_u32_e32 v44, vcc, s18, v2
	s_waitcnt vmcnt(0)
	v_mul_lo_u32 v35, v35, s26
	v_addc_co_u32_e32 v45, vcc, v1, v43, vcc
	v_mad_u64_u32 v[46:47], s[24:25], v35, v36, v[26:27]
	global_store_dword v[44:45], v46, off
	s_or_b64 exec, exec, s[8:9]
	s_and_saveexec_b64 s[8:9], s[0:1]
	s_cbranch_execz .LBB101_20
.LBB101_25:                             ;   in Loop: Header=BB101_4 Depth=1
	s_waitcnt vmcnt(0)
	v_mul_lo_u32 v26, v37, s26
	v_mad_u64_u32 v[36:37], s[0:1], v26, v38, v[28:29]
	v_mov_b32_e32 v26, s19
	v_add_co_u32_e32 v44, vcc, s18, v20
	v_addc_co_u32_e32 v45, vcc, v19, v26, vcc
	global_store_dword v[44:45], v36, off
	s_or_b64 exec, exec, s[8:9]
	s_and_saveexec_b64 s[0:1], s[2:3]
	s_cbranch_execz .LBB101_21
.LBB101_26:                             ;   in Loop: Header=BB101_4 Depth=1
	s_waitcnt vmcnt(0)
	v_mul_lo_u32 v26, v39, s26
	v_mad_u64_u32 v[36:37], s[2:3], v26, v40, v[30:31]
	v_mov_b32_e32 v26, s19
	v_add_co_u32_e32 v38, vcc, s18, v14
	v_addc_co_u32_e32 v39, vcc, v13, v26, vcc
	global_store_dword v[38:39], v36, off
	s_or_b64 exec, exec, s[0:1]
	s_and_saveexec_b64 s[0:1], s[6:7]
	s_cbranch_execz .LBB101_3
.LBB101_27:                             ;   in Loop: Header=BB101_4 Depth=1
	s_waitcnt vmcnt(0)
	v_mul_lo_u32 v26, v41, s26
	v_mad_u64_u32 v[36:37], s[2:3], v26, v42, v[32:33]
	v_mov_b32_e32 v26, s19
	v_add_co_u32_e32 v38, vcc, s18, v8
	v_addc_co_u32_e32 v39, vcc, v7, v26, vcc
	global_store_dword v[38:39], v36, off
	s_branch .LBB101_3
.LBB101_28:
	s_mov_b64 s[0:1], 0
.LBB101_29:
	s_andn2_b64 vcc, exec, s[0:1]
	s_cbranch_vccnz .LBB101_33
; %bb.30:
	v_mov_b32_e32 v3, 0
	v_lshlrev_b32_e32 v2, 2, v0
	s_mov_b32 s0, 0
	v_cmp_gt_i64_e32 vcc, s[12:13], v[2:3]
	s_and_saveexec_b64 s[2:3], vcc
	s_cbranch_execz .LBB101_33
; %bb.31:
	s_load_dword s1, s[4:5], 0xd14
	v_lshlrev_b32_e32 v1, 4, v0
	v_mov_b32_e32 v4, s19
	s_waitcnt lgkmcnt(0)
	s_mov_b32 s8, s26
	s_mov_b64 s[4:5], 0
	s_and_b32 s1, s1, 0xffff
	s_lshl_b32 s9, s1, 2
	s_add_u32 s16, s16, 8
	s_addc_u32 s2, s17, 0
	s_lshl_b32 s17, s1, 4
	s_add_u32 s14, s14, 8
	v_add_lshl_u32 v2, v0, s1, 2
	v_add_co_u32_e32 v0, vcc, s18, v1
	s_addc_u32 s3, s15, 0
	v_addc_co_u32_e32 v1, vcc, 0, v4, vcc
	v_mov_b32_e32 v4, s2
	v_mov_b32_e32 v5, s3
	;; [unrolled: 1-line block ×3, first 2 shown]
	s_mov_b64 s[6:7], 0xffff
	v_mov_b32_e32 v7, s0
	v_mov_b32_e32 v8, s0
.LBB101_32:                             ; =>This Inner Loop Header: Depth=1
	v_add_co_u32_e32 v22, vcc, s16, v0
	v_addc_co_u32_e32 v23, vcc, v4, v1, vcc
	v_add_co_u32_e32 v24, vcc, s14, v0
	v_addc_co_u32_e32 v25, vcc, v5, v1, vcc
	;; [unrolled: 2-line block ×3, first 2 shown]
	global_load_dwordx4 v[10:13], v[24:25], off offset:-8
	global_load_dwordx4 v[14:17], v[22:23], off offset:-8
	global_load_dwordx4 v[18:21], v[26:27], off
	v_cmp_le_i64_e32 vcc, s[12:13], v[2:3]
	v_cmp_lt_u64_e64 s[0:1], s[6:7], v[2:3]
	v_add_co_u32_e64 v2, s[2:3], s9, v2
	s_or_b64 s[0:1], vcc, s[0:1]
	v_addc_co_u32_e64 v3, s[2:3], v3, v7, s[2:3]
	s_and_b64 s[0:1], exec, s[0:1]
	v_add_co_u32_e64 v0, s[2:3], s17, v0
	s_or_b64 s[4:5], s[0:1], s[4:5]
	v_addc_co_u32_e64 v1, s[2:3], v1, v8, s[2:3]
	s_waitcnt vmcnt(2)
	v_mul_lo_u32 v9, v10, s26
	v_mul_lo_u32 v11, v11, s8
	s_waitcnt vmcnt(1)
	v_mov_b32_e32 v10, v15
	v_mul_lo_u32 v26, v12, s26
	v_mul_lo_u32 v13, v13, s8
	v_mov_b32_e32 v12, v17
	s_waitcnt vmcnt(0)
	v_mad_u64_u32 v[24:25], s[0:1], v11, v19, v[10:11]
	v_mad_u64_u32 v[10:11], s[0:1], v9, v18, v[14:15]
	;; [unrolled: 1-line block ×4, first 2 shown]
	v_mov_b32_e32 v11, v24
	v_mov_b32_e32 v13, v14
	global_store_dwordx4 v[22:23], v[10:13], off offset:-8
	s_andn2_b64 exec, exec, s[4:5]
	s_cbranch_execnz .LBB101_32
.LBB101_33:
	s_endpgm
	.section	.rodata,"a",@progbits
	.p2align	6, 0x0
	.amdhsa_kernel _ZN2at6native12_GLOBAL__N_125multi_tensor_apply_kernelINS1_28TensorListScalarListMetadataIiLi3EEENS1_28PointwiseOpScalarListFunctorIiLi3ELi3ELi0EEEJSt10multipliesIiEEEEvT_T0_DpT1_
		.amdhsa_group_segment_fixed_size 0
		.amdhsa_private_segment_fixed_size 0
		.amdhsa_kernarg_size 3592
		.amdhsa_user_sgpr_count 6
		.amdhsa_user_sgpr_private_segment_buffer 1
		.amdhsa_user_sgpr_dispatch_ptr 0
		.amdhsa_user_sgpr_queue_ptr 0
		.amdhsa_user_sgpr_kernarg_segment_ptr 1
		.amdhsa_user_sgpr_dispatch_id 0
		.amdhsa_user_sgpr_flat_scratch_init 0
		.amdhsa_user_sgpr_kernarg_preload_length 0
		.amdhsa_user_sgpr_kernarg_preload_offset 0
		.amdhsa_user_sgpr_private_segment_size 0
		.amdhsa_uses_dynamic_stack 0
		.amdhsa_system_sgpr_private_segment_wavefront_offset 0
		.amdhsa_system_sgpr_workgroup_id_x 1
		.amdhsa_system_sgpr_workgroup_id_y 0
		.amdhsa_system_sgpr_workgroup_id_z 0
		.amdhsa_system_sgpr_workgroup_info 0
		.amdhsa_system_vgpr_workitem_id 0
		.amdhsa_next_free_vgpr 48
		.amdhsa_next_free_sgpr 30
		.amdhsa_accum_offset 48
		.amdhsa_reserve_vcc 1
		.amdhsa_reserve_flat_scratch 0
		.amdhsa_float_round_mode_32 0
		.amdhsa_float_round_mode_16_64 0
		.amdhsa_float_denorm_mode_32 3
		.amdhsa_float_denorm_mode_16_64 3
		.amdhsa_dx10_clamp 1
		.amdhsa_ieee_mode 1
		.amdhsa_fp16_overflow 0
		.amdhsa_tg_split 0
		.amdhsa_exception_fp_ieee_invalid_op 0
		.amdhsa_exception_fp_denorm_src 0
		.amdhsa_exception_fp_ieee_div_zero 0
		.amdhsa_exception_fp_ieee_overflow 0
		.amdhsa_exception_fp_ieee_underflow 0
		.amdhsa_exception_fp_ieee_inexact 0
		.amdhsa_exception_int_div_zero 0
	.end_amdhsa_kernel
	.section	.text._ZN2at6native12_GLOBAL__N_125multi_tensor_apply_kernelINS1_28TensorListScalarListMetadataIiLi3EEENS1_28PointwiseOpScalarListFunctorIiLi3ELi3ELi0EEEJSt10multipliesIiEEEEvT_T0_DpT1_,"axG",@progbits,_ZN2at6native12_GLOBAL__N_125multi_tensor_apply_kernelINS1_28TensorListScalarListMetadataIiLi3EEENS1_28PointwiseOpScalarListFunctorIiLi3ELi3ELi0EEEJSt10multipliesIiEEEEvT_T0_DpT1_,comdat
.Lfunc_end101:
	.size	_ZN2at6native12_GLOBAL__N_125multi_tensor_apply_kernelINS1_28TensorListScalarListMetadataIiLi3EEENS1_28PointwiseOpScalarListFunctorIiLi3ELi3ELi0EEEJSt10multipliesIiEEEEvT_T0_DpT1_, .Lfunc_end101-_ZN2at6native12_GLOBAL__N_125multi_tensor_apply_kernelINS1_28TensorListScalarListMetadataIiLi3EEENS1_28PointwiseOpScalarListFunctorIiLi3ELi3ELi0EEEJSt10multipliesIiEEEEvT_T0_DpT1_
                                        ; -- End function
	.section	.AMDGPU.csdata,"",@progbits
; Kernel info:
; codeLenInByte = 1848
; NumSgprs: 34
; NumVgprs: 48
; NumAgprs: 0
; TotalNumVgprs: 48
; ScratchSize: 0
; MemoryBound: 0
; FloatMode: 240
; IeeeMode: 1
; LDSByteSize: 0 bytes/workgroup (compile time only)
; SGPRBlocks: 4
; VGPRBlocks: 5
; NumSGPRsForWavesPerEU: 34
; NumVGPRsForWavesPerEU: 48
; AccumOffset: 48
; Occupancy: 8
; WaveLimiterHint : 0
; COMPUTE_PGM_RSRC2:SCRATCH_EN: 0
; COMPUTE_PGM_RSRC2:USER_SGPR: 6
; COMPUTE_PGM_RSRC2:TRAP_HANDLER: 0
; COMPUTE_PGM_RSRC2:TGID_X_EN: 1
; COMPUTE_PGM_RSRC2:TGID_Y_EN: 0
; COMPUTE_PGM_RSRC2:TGID_Z_EN: 0
; COMPUTE_PGM_RSRC2:TIDIG_COMP_CNT: 0
; COMPUTE_PGM_RSRC3_GFX90A:ACCUM_OFFSET: 11
; COMPUTE_PGM_RSRC3_GFX90A:TG_SPLIT: 0
	.section	.text._ZN2at6native12_GLOBAL__N_125multi_tensor_apply_kernelINS1_28TensorListScalarListMetadataIlLi3EEENS1_28PointwiseOpScalarListFunctorIlLi3ELi3ELi0EEEJSt10multipliesIlEEEEvT_T0_DpT1_,"axG",@progbits,_ZN2at6native12_GLOBAL__N_125multi_tensor_apply_kernelINS1_28TensorListScalarListMetadataIlLi3EEENS1_28PointwiseOpScalarListFunctorIlLi3ELi3ELi0EEEJSt10multipliesIlEEEEvT_T0_DpT1_,comdat
	.globl	_ZN2at6native12_GLOBAL__N_125multi_tensor_apply_kernelINS1_28TensorListScalarListMetadataIlLi3EEENS1_28PointwiseOpScalarListFunctorIlLi3ELi3ELi0EEEJSt10multipliesIlEEEEvT_T0_DpT1_ ; -- Begin function _ZN2at6native12_GLOBAL__N_125multi_tensor_apply_kernelINS1_28TensorListScalarListMetadataIlLi3EEENS1_28PointwiseOpScalarListFunctorIlLi3ELi3ELi0EEEJSt10multipliesIlEEEEvT_T0_DpT1_
	.p2align	8
	.type	_ZN2at6native12_GLOBAL__N_125multi_tensor_apply_kernelINS1_28TensorListScalarListMetadataIlLi3EEENS1_28PointwiseOpScalarListFunctorIlLi3ELi3ELi0EEEJSt10multipliesIlEEEEvT_T0_DpT1_,@function
_ZN2at6native12_GLOBAL__N_125multi_tensor_apply_kernelINS1_28TensorListScalarListMetadataIlLi3EEENS1_28PointwiseOpScalarListFunctorIlLi3ELi3ELi0EEEJSt10multipliesIlEEEEvT_T0_DpT1_: ; @_ZN2at6native12_GLOBAL__N_125multi_tensor_apply_kernelINS1_28TensorListScalarListMetadataIlLi3EEENS1_28PointwiseOpScalarListFunctorIlLi3ELi3ELi0EEEJSt10multipliesIlEEEEvT_T0_DpT1_
; %bb.0:
	v_mov_b32_e32 v1, s6
	global_load_ubyte v1, v1, s[4:5] offset:1920
	s_add_u32 s0, s4, s6
	s_mul_hi_u32 s1, s6, 3
	s_mul_i32 s6, s6, 3
	s_addc_u32 s2, s5, 0
	s_add_u32 s0, s0, s6
	s_addc_u32 s1, s2, s1
	s_load_dword s12, s[0:1], 0x8c0
	s_mov_b32 s9, 0
	s_mov_b32 s17, s9
	s_waitcnt lgkmcnt(0)
	s_ashr_i32 s13, s12, 31
	s_lshl_b64 s[14:15], s[12:13], 19
	s_waitcnt vmcnt(0)
	v_readfirstlane_b32 s0, v1
	s_lshl_b32 s8, s0, 3
	s_load_dwordx2 s[10:11], s[4:5], s8 offset:0x600
	s_load_dwordx2 s[6:7], s[4:5], s8 offset:0x0
	;; [unrolled: 1-line block ×5, first 2 shown]
	s_waitcnt lgkmcnt(0)
	s_add_u32 s22, s6, s14
	s_addc_u32 s23, s7, s15
	s_and_b32 s8, s22, 31
	s_add_u32 s24, s2, s14
	s_addc_u32 s25, s3, s15
	s_add_u32 s26, s0, s14
	s_addc_u32 s27, s1, s15
	s_or_b32 s16, s26, s24
	s_and_b32 s16, s16, 31
	s_cmp_eq_u32 s16, 0
	s_cselect_b64 s[20:21], -1, 0
	s_lshl_b64 s[12:13], s[12:13], 16
	s_sub_u32 s12, s18, s12
	s_subb_u32 s13, s19, s13
	s_and_b32 s16, s18, 3
	s_or_b64 s[8:9], s[8:9], s[16:17]
	s_cmp_eq_u64 s[8:9], 0
	s_cselect_b64 s[8:9], -1, 0
	s_and_b64 s[16:17], s[20:21], s[8:9]
	s_mov_b64 s[8:9], -1
	s_and_b64 vcc, exec, s[16:17]
	s_cbranch_vccnz .LBB102_29
; %bb.1:
	v_cmp_lt_i64_e64 s[8:9], s[12:13], 1
	s_and_b64 vcc, exec, s[8:9]
	s_cbranch_vccnz .LBB102_28
; %bb.2:
	s_load_dword s8, s[4:5], 0xdd4
	v_mov_b32_e32 v2, 0x10000
	v_mov_b32_e32 v3, 0
	v_cmp_lt_u64_e32 vcc, s[12:13], v[2:3]
	v_lshlrev_b32_e32 v14, 3, v0
	s_waitcnt lgkmcnt(0)
	s_and_b32 s18, s8, 0xffff
	s_and_b64 s[8:9], vcc, exec
	v_mov_b32_e32 v19, s7
	v_add_co_u32_e32 v2, vcc, s6, v14
	v_addc_co_u32_e32 v1, vcc, 0, v19, vcc
	v_mov_b32_e32 v21, s3
	v_add_co_u32_e32 v4, vcc, s2, v14
	v_addc_co_u32_e32 v3, vcc, 0, v21, vcc
	v_mov_b32_e32 v15, 0
	v_mov_b32_e32 v23, s1
	v_add_co_u32_e32 v6, vcc, s0, v14
	v_addc_co_u32_e32 v5, vcc, 0, v23, vcc
	v_mad_u64_u32 v[12:13], s[8:9], s18, 24, v[14:15]
	v_add_co_u32_e32 v8, vcc, s6, v12
	v_addc_co_u32_e32 v7, vcc, v19, v13, vcc
	v_add_co_u32_e32 v10, vcc, s2, v12
	v_addc_co_u32_e32 v9, vcc, v21, v13, vcc
	v_add_co_u32_e32 v12, vcc, s0, v12
	s_mul_i32 s20, s18, 3
	v_addc_co_u32_e32 v11, vcc, v23, v13, vcc
	s_cselect_b32 s17, s13, 0
	s_cselect_b32 s16, s12, 0x10000
	v_add_co_u32_e32 v25, vcc, s20, v0
	s_lshl_b32 s1, s18, 4
	v_addc_co_u32_e64 v50, s[8:9], 0, 0, vcc
	v_add_co_u32_e32 v17, vcc, s1, v14
	v_addc_co_u32_e64 v20, s[8:9], 0, 0, vcc
	v_add_co_u32_e32 v14, vcc, s6, v17
	v_addc_co_u32_e32 v13, vcc, v19, v20, vcc
	v_add_co_u32_e32 v16, vcc, s2, v17
	v_addc_co_u32_e32 v15, vcc, v21, v20, vcc
	v_add_co_u32_e32 v18, vcc, s0, v17
	s_lshl_b32 s19, s18, 1
	v_addc_co_u32_e32 v17, vcc, v23, v20, vcc
	v_add_co_u32_e32 v51, vcc, s19, v0
	v_addc_co_u32_e64 v52, s[8:9], 0, 0, vcc
	v_add_co_u32_e32 v53, vcc, s18, v0
	v_lshlrev_b32_e32 v24, 3, v53
	v_addc_co_u32_e64 v54, s[8:9], 0, 0, vcc
	v_add_co_u32_e32 v20, vcc, s6, v24
	v_addc_co_u32_e32 v19, vcc, 0, v19, vcc
	v_add_co_u32_e32 v22, vcc, s2, v24
	v_addc_co_u32_e32 v21, vcc, 0, v21, vcc
	v_add_co_u32_e32 v24, vcc, s0, v24
	s_mov_b32 s28, 0
	s_lshl_b32 s29, s18, 2
	s_lshl_b32 s30, s18, 5
	v_addc_co_u32_e32 v23, vcc, 0, v23, vcc
	s_mov_b64 s[18:19], 0
	s_branch .LBB102_4
.LBB102_3:                              ;   in Loop: Header=BB102_4 Depth=1
	s_or_b64 exec, exec, s[0:1]
	s_add_u32 s18, s18, s29
	s_addc_u32 s19, s19, 0
	s_waitcnt vmcnt(0)
	v_pk_mov_b32 v[26:27], s[12:13], s[12:13] op_sel:[0,1]
	v_cmp_lt_i64_e32 vcc, s[18:19], v[26:27]
	v_mov_b32_e32 v26, 0x10000
	v_mov_b32_e32 v27, 0
	v_cmp_lt_u64_e64 s[0:1], s[18:19], v[26:27]
	s_and_b64 s[0:1], vcc, s[0:1]
	v_mov_b32_e32 v26, s28
	v_add_co_u32_e32 v2, vcc, s30, v2
	v_addc_co_u32_e32 v1, vcc, v1, v26, vcc
	v_add_co_u32_e32 v4, vcc, s30, v4
	v_addc_co_u32_e32 v3, vcc, v3, v26, vcc
	;; [unrolled: 2-line block ×12, first 2 shown]
	s_and_b64 vcc, exec, s[0:1]
	s_cbranch_vccz .LBB102_28
.LBB102_4:                              ; =>This Inner Loop Header: Depth=1
	v_mov_b32_e32 v27, s19
	v_add_co_u32_e32 v26, vcc, s18, v0
	v_addc_co_u32_e32 v27, vcc, 0, v27, vcc
	v_cmp_gt_u64_e32 vcc, s[16:17], v[26:27]
	v_pk_mov_b32 v[26:27], 0, 0
	v_pk_mov_b32 v[28:29], v[26:27], v[26:27] op_sel:[0,1]
	v_pk_mov_b32 v[30:31], v[26:27], v[26:27] op_sel:[0,1]
	s_and_saveexec_b64 s[2:3], vcc
	s_cbranch_execz .LBB102_6
; %bb.5:                                ;   in Loop: Header=BB102_4 Depth=1
	v_mov_b32_e32 v28, s15
	v_add_co_u32_e64 v32, s[0:1], s14, v2
	v_addc_co_u32_e64 v33, s[0:1], v1, v28, s[0:1]
	v_add_co_u32_e64 v34, s[0:1], s14, v4
	v_addc_co_u32_e64 v35, s[0:1], v3, v28, s[0:1]
	global_load_dwordx2 v[28:29], v[32:33], off
	global_load_dwordx2 v[30:31], v[34:35], off
.LBB102_6:                              ;   in Loop: Header=BB102_4 Depth=1
	s_or_b64 exec, exec, s[2:3]
	s_and_saveexec_b64 s[2:3], vcc
	s_cbranch_execz .LBB102_8
; %bb.7:                                ;   in Loop: Header=BB102_4 Depth=1
	v_mov_b32_e32 v27, s15
	v_add_co_u32_e64 v26, s[0:1], s14, v6
	v_addc_co_u32_e64 v27, s[0:1], v5, v27, s[0:1]
	global_load_dwordx2 v[26:27], v[26:27], off
.LBB102_8:                              ;   in Loop: Header=BB102_4 Depth=1
	s_or_b64 exec, exec, s[2:3]
	v_mov_b32_e32 v33, s19
	v_add_co_u32_e64 v32, s[0:1], s18, v53
	v_addc_co_u32_e64 v33, s[0:1], v54, v33, s[0:1]
	v_cmp_gt_u64_e64 s[0:1], s[16:17], v[32:33]
	v_pk_mov_b32 v[32:33], 0, 0
	v_pk_mov_b32 v[34:35], v[32:33], v[32:33] op_sel:[0,1]
	v_pk_mov_b32 v[36:37], v[32:33], v[32:33] op_sel:[0,1]
	s_and_saveexec_b64 s[6:7], s[0:1]
	s_cbranch_execz .LBB102_10
; %bb.9:                                ;   in Loop: Header=BB102_4 Depth=1
	v_mov_b32_e32 v34, s15
	v_add_co_u32_e64 v38, s[2:3], s14, v20
	v_addc_co_u32_e64 v39, s[2:3], v19, v34, s[2:3]
	v_add_co_u32_e64 v40, s[2:3], s14, v22
	v_addc_co_u32_e64 v41, s[2:3], v21, v34, s[2:3]
	global_load_dwordx2 v[34:35], v[38:39], off
	global_load_dwordx2 v[36:37], v[40:41], off
.LBB102_10:                             ;   in Loop: Header=BB102_4 Depth=1
	s_or_b64 exec, exec, s[6:7]
	s_and_saveexec_b64 s[6:7], s[0:1]
	s_cbranch_execz .LBB102_12
; %bb.11:                               ;   in Loop: Header=BB102_4 Depth=1
	v_mov_b32_e32 v33, s15
	v_add_co_u32_e64 v32, s[2:3], s14, v24
	v_addc_co_u32_e64 v33, s[2:3], v23, v33, s[2:3]
	global_load_dwordx2 v[32:33], v[32:33], off
.LBB102_12:                             ;   in Loop: Header=BB102_4 Depth=1
	s_or_b64 exec, exec, s[6:7]
	v_mov_b32_e32 v39, s19
	v_add_co_u32_e64 v38, s[2:3], s18, v51
	v_addc_co_u32_e64 v39, s[2:3], v52, v39, s[2:3]
	v_cmp_gt_u64_e64 s[2:3], s[16:17], v[38:39]
	v_pk_mov_b32 v[38:39], 0, 0
	v_pk_mov_b32 v[40:41], v[38:39], v[38:39] op_sel:[0,1]
	v_pk_mov_b32 v[42:43], v[38:39], v[38:39] op_sel:[0,1]
	s_and_saveexec_b64 s[8:9], s[2:3]
	s_cbranch_execz .LBB102_14
; %bb.13:                               ;   in Loop: Header=BB102_4 Depth=1
	v_mov_b32_e32 v40, s15
	v_add_co_u32_e64 v44, s[6:7], s14, v14
	v_addc_co_u32_e64 v45, s[6:7], v13, v40, s[6:7]
	v_add_co_u32_e64 v46, s[6:7], s14, v16
	v_addc_co_u32_e64 v47, s[6:7], v15, v40, s[6:7]
	global_load_dwordx2 v[40:41], v[44:45], off
	global_load_dwordx2 v[42:43], v[46:47], off
.LBB102_14:                             ;   in Loop: Header=BB102_4 Depth=1
	s_or_b64 exec, exec, s[8:9]
	s_and_saveexec_b64 s[8:9], s[2:3]
	s_cbranch_execz .LBB102_16
; %bb.15:                               ;   in Loop: Header=BB102_4 Depth=1
	v_mov_b32_e32 v39, s15
	v_add_co_u32_e64 v38, s[6:7], s14, v18
	v_addc_co_u32_e64 v39, s[6:7], v17, v39, s[6:7]
	global_load_dwordx2 v[38:39], v[38:39], off
.LBB102_16:                             ;   in Loop: Header=BB102_4 Depth=1
	s_or_b64 exec, exec, s[8:9]
	v_mov_b32_e32 v45, s19
	v_add_co_u32_e64 v44, s[6:7], s18, v25
	v_addc_co_u32_e64 v45, s[6:7], v50, v45, s[6:7]
	v_cmp_gt_u64_e64 s[6:7], s[16:17], v[44:45]
	v_pk_mov_b32 v[44:45], 0, 0
	v_pk_mov_b32 v[46:47], v[44:45], v[44:45] op_sel:[0,1]
	v_pk_mov_b32 v[48:49], v[44:45], v[44:45] op_sel:[0,1]
	s_and_saveexec_b64 s[20:21], s[6:7]
	s_cbranch_execnz .LBB102_22
; %bb.17:                               ;   in Loop: Header=BB102_4 Depth=1
	s_or_b64 exec, exec, s[20:21]
	s_and_saveexec_b64 s[20:21], s[6:7]
	s_cbranch_execnz .LBB102_23
.LBB102_18:                             ;   in Loop: Header=BB102_4 Depth=1
	s_or_b64 exec, exec, s[20:21]
	s_and_saveexec_b64 s[8:9], vcc
	s_cbranch_execnz .LBB102_24
.LBB102_19:                             ;   in Loop: Header=BB102_4 Depth=1
	s_or_b64 exec, exec, s[8:9]
	s_and_saveexec_b64 s[8:9], s[0:1]
	s_cbranch_execnz .LBB102_25
.LBB102_20:                             ;   in Loop: Header=BB102_4 Depth=1
	s_or_b64 exec, exec, s[8:9]
	s_and_saveexec_b64 s[0:1], s[2:3]
	s_cbranch_execnz .LBB102_26
.LBB102_21:                             ;   in Loop: Header=BB102_4 Depth=1
	s_or_b64 exec, exec, s[0:1]
	s_and_saveexec_b64 s[0:1], s[6:7]
	s_cbranch_execz .LBB102_3
	s_branch .LBB102_27
.LBB102_22:                             ;   in Loop: Header=BB102_4 Depth=1
	v_mov_b32_e32 v46, s15
	v_add_co_u32_e64 v56, s[8:9], s14, v8
	v_addc_co_u32_e64 v57, s[8:9], v7, v46, s[8:9]
	v_add_co_u32_e64 v58, s[8:9], s14, v10
	v_addc_co_u32_e64 v59, s[8:9], v9, v46, s[8:9]
	global_load_dwordx2 v[46:47], v[56:57], off
	global_load_dwordx2 v[48:49], v[58:59], off
	s_or_b64 exec, exec, s[20:21]
	s_and_saveexec_b64 s[20:21], s[6:7]
	s_cbranch_execz .LBB102_18
.LBB102_23:                             ;   in Loop: Header=BB102_4 Depth=1
	v_mov_b32_e32 v45, s15
	v_add_co_u32_e64 v44, s[8:9], s14, v12
	v_addc_co_u32_e64 v45, s[8:9], v11, v45, s[8:9]
	global_load_dwordx2 v[44:45], v[44:45], off
	s_or_b64 exec, exec, s[20:21]
	s_and_saveexec_b64 s[8:9], vcc
	s_cbranch_execz .LBB102_19
.LBB102_24:                             ;   in Loop: Header=BB102_4 Depth=1
	v_mov_b32_e32 v55, s15
	v_add_co_u32_e32 v56, vcc, s14, v2
	v_addc_co_u32_e32 v57, vcc, v1, v55, vcc
	s_waitcnt vmcnt(0)
	v_mul_lo_u32 v55, v31, s10
	v_mul_lo_u32 v58, v30, s11
	v_mad_u64_u32 v[30:31], s[20:21], v30, s10, 0
	v_add3_u32 v31, v31, v58, v55
	v_mul_lo_u32 v31, v31, v26
	v_mul_lo_u32 v55, v30, v27
	v_mad_u64_u32 v[26:27], s[20:21], v30, v26, v[28:29]
	v_add3_u32 v27, v31, v27, v55
	global_store_dwordx2 v[56:57], v[26:27], off
	s_or_b64 exec, exec, s[8:9]
	s_and_saveexec_b64 s[8:9], s[0:1]
	s_cbranch_execz .LBB102_20
.LBB102_25:                             ;   in Loop: Header=BB102_4 Depth=1
	s_waitcnt vmcnt(0)
	v_mul_lo_u32 v28, v37, s10
	v_mul_lo_u32 v29, v36, s11
	v_mad_u64_u32 v[26:27], s[0:1], v36, s10, 0
	v_add3_u32 v27, v27, v29, v28
	v_mul_lo_u32 v28, v27, v32
	v_mul_lo_u32 v29, v26, v33
	v_mad_u64_u32 v[26:27], s[0:1], v26, v32, v[34:35]
	v_add3_u32 v27, v28, v27, v29
	v_mov_b32_e32 v29, s15
	v_add_co_u32_e32 v28, vcc, s14, v20
	v_addc_co_u32_e32 v29, vcc, v19, v29, vcc
	global_store_dwordx2 v[28:29], v[26:27], off
	s_or_b64 exec, exec, s[8:9]
	s_and_saveexec_b64 s[0:1], s[2:3]
	s_cbranch_execz .LBB102_21
.LBB102_26:                             ;   in Loop: Header=BB102_4 Depth=1
	s_waitcnt vmcnt(0)
	v_mul_lo_u32 v28, v43, s10
	v_mul_lo_u32 v29, v42, s11
	v_mad_u64_u32 v[26:27], s[2:3], v42, s10, 0
	v_add3_u32 v27, v27, v29, v28
	v_mul_lo_u32 v28, v27, v38
	v_mul_lo_u32 v29, v26, v39
	v_mad_u64_u32 v[26:27], s[2:3], v26, v38, v[40:41]
	v_add3_u32 v27, v28, v27, v29
	v_mov_b32_e32 v29, s15
	v_add_co_u32_e32 v28, vcc, s14, v14
	v_addc_co_u32_e32 v29, vcc, v13, v29, vcc
	global_store_dwordx2 v[28:29], v[26:27], off
	s_or_b64 exec, exec, s[0:1]
	s_and_saveexec_b64 s[0:1], s[6:7]
	s_cbranch_execz .LBB102_3
.LBB102_27:                             ;   in Loop: Header=BB102_4 Depth=1
	s_waitcnt vmcnt(0)
	v_mul_lo_u32 v28, v49, s10
	v_mul_lo_u32 v29, v48, s11
	v_mad_u64_u32 v[26:27], s[2:3], v48, s10, 0
	v_add3_u32 v27, v27, v29, v28
	v_mul_lo_u32 v28, v27, v44
	v_mul_lo_u32 v29, v26, v45
	v_mad_u64_u32 v[26:27], s[2:3], v26, v44, v[46:47]
	v_add3_u32 v27, v28, v27, v29
	v_mov_b32_e32 v29, s15
	v_add_co_u32_e32 v28, vcc, s14, v8
	v_addc_co_u32_e32 v29, vcc, v7, v29, vcc
	global_store_dwordx2 v[28:29], v[26:27], off
	s_branch .LBB102_3
.LBB102_28:
	s_mov_b64 s[8:9], 0
.LBB102_29:
	s_andn2_b64 vcc, exec, s[8:9]
	s_cbranch_vccnz .LBB102_33
; %bb.30:
	v_mov_b32_e32 v3, 0
	v_lshlrev_b32_e32 v2, 2, v0
	s_mov_b32 s0, 0
	v_cmp_gt_i64_e32 vcc, s[12:13], v[2:3]
	s_and_saveexec_b64 s[2:3], vcc
	s_cbranch_execz .LBB102_33
; %bb.31:
	s_load_dword s1, s[4:5], 0xdd4
	v_lshlrev_b32_e32 v4, 5, v0
	s_mov_b64 s[4:5], 0
	s_mov_b64 s[6:7], 0xffff
	s_waitcnt lgkmcnt(0)
	s_and_b32 s1, s1, 0xffff
	v_add_lshl_u32 v2, v0, s1, 2
	s_lshl_b32 s8, s1, 2
	s_lshl_b32 s9, s1, 5
	v_mov_b32_e32 v0, s0
.LBB102_32:                             ; =>This Inner Loop Header: Depth=1
	v_mov_b32_e32 v5, s25
	v_add_co_u32_e32 v30, vcc, s24, v4
	v_mov_b32_e32 v1, s23
	v_mov_b32_e32 v6, s27
	v_add_co_u32_e64 v32, s[0:1], s26, v4
	v_add_co_u32_e64 v34, s[2:3], s22, v4
	v_addc_co_u32_e32 v31, vcc, 0, v5, vcc
	v_addc_co_u32_e64 v35, s[2:3], 0, v1, s[2:3]
	v_addc_co_u32_e64 v33, vcc, 0, v6, s[0:1]
	global_load_dwordx4 v[6:9], v[30:31], off
	global_load_dwordx4 v[10:13], v[30:31], off offset:16
	global_load_dwordx4 v[14:17], v[32:33], off
	global_load_dwordx4 v[18:21], v[34:35], off
	global_load_dwordx4 v[22:25], v[32:33], off offset:16
	global_load_dwordx4 v[26:29], v[34:35], off offset:16
	v_cmp_le_i64_e32 vcc, s[12:13], v[2:3]
	v_cmp_lt_u64_e64 s[0:1], s[6:7], v[2:3]
	s_or_b64 s[0:1], vcc, s[0:1]
	s_add_u32 s22, s22, s9
	s_addc_u32 s23, s23, 0
	s_add_u32 s26, s26, s9
	s_addc_u32 s27, s27, 0
	;; [unrolled: 2-line block ×3, first 2 shown]
	s_and_b64 s[0:1], exec, s[0:1]
	s_or_b64 s[4:5], s[0:1], s[4:5]
	v_add_co_u32_e64 v2, s[2:3], s8, v2
	v_addc_co_u32_e64 v3, s[2:3], v3, v0, s[2:3]
	s_waitcnt vmcnt(5)
	v_mul_lo_u32 v1, v7, s10
	v_mul_lo_u32 v5, v6, s11
	v_mad_u64_u32 v[6:7], s[0:1], v6, s10, 0
	v_mul_lo_u32 v30, v9, s10
	v_mul_lo_u32 v31, v8, s11
	v_mad_u64_u32 v[8:9], s[0:1], v8, s10, 0
	s_waitcnt vmcnt(4)
	v_mul_lo_u32 v32, v11, s10
	v_mul_lo_u32 v33, v10, s11
	v_mad_u64_u32 v[10:11], s[0:1], v10, s10, 0
	v_mul_lo_u32 v36, v13, s10
	v_mul_lo_u32 v37, v12, s11
	v_mad_u64_u32 v[12:13], s[0:1], v12, s10, 0
	v_add3_u32 v1, v7, v5, v1
	s_waitcnt vmcnt(3)
	v_mul_lo_u32 v5, v6, v15
	v_add3_u32 v15, v9, v31, v30
	s_waitcnt vmcnt(2)
	v_mad_u64_u32 v[6:7], s[0:1], v6, v14, v[18:19]
	v_mul_lo_u32 v17, v8, v17
	v_mad_u64_u32 v[8:9], s[0:1], v8, v16, v[20:21]
	v_add3_u32 v18, v11, v33, v32
	v_add3_u32 v20, v13, v37, v36
	v_mul_lo_u32 v1, v1, v14
	v_mul_lo_u32 v14, v15, v16
	s_waitcnt vmcnt(1)
	v_mul_lo_u32 v19, v10, v23
	s_waitcnt vmcnt(0)
	v_mad_u64_u32 v[10:11], s[0:1], v10, v22, v[26:27]
	v_mul_lo_u32 v21, v12, v25
	v_mad_u64_u32 v[12:13], s[0:1], v12, v24, v[28:29]
	v_mul_lo_u32 v15, v18, v22
	v_mul_lo_u32 v16, v20, v24
	v_add3_u32 v7, v1, v7, v5
	v_add3_u32 v9, v14, v9, v17
	;; [unrolled: 1-line block ×4, first 2 shown]
	global_store_dwordx4 v[34:35], v[6:9], off
	global_store_dwordx4 v[34:35], v[10:13], off offset:16
	s_andn2_b64 exec, exec, s[4:5]
	s_cbranch_execnz .LBB102_32
.LBB102_33:
	s_endpgm
	.section	.rodata,"a",@progbits
	.p2align	6, 0x0
	.amdhsa_kernel _ZN2at6native12_GLOBAL__N_125multi_tensor_apply_kernelINS1_28TensorListScalarListMetadataIlLi3EEENS1_28PointwiseOpScalarListFunctorIlLi3ELi3ELi0EEEJSt10multipliesIlEEEEvT_T0_DpT1_
		.amdhsa_group_segment_fixed_size 0
		.amdhsa_private_segment_fixed_size 0
		.amdhsa_kernarg_size 3784
		.amdhsa_user_sgpr_count 6
		.amdhsa_user_sgpr_private_segment_buffer 1
		.amdhsa_user_sgpr_dispatch_ptr 0
		.amdhsa_user_sgpr_queue_ptr 0
		.amdhsa_user_sgpr_kernarg_segment_ptr 1
		.amdhsa_user_sgpr_dispatch_id 0
		.amdhsa_user_sgpr_flat_scratch_init 0
		.amdhsa_user_sgpr_kernarg_preload_length 0
		.amdhsa_user_sgpr_kernarg_preload_offset 0
		.amdhsa_user_sgpr_private_segment_size 0
		.amdhsa_uses_dynamic_stack 0
		.amdhsa_system_sgpr_private_segment_wavefront_offset 0
		.amdhsa_system_sgpr_workgroup_id_x 1
		.amdhsa_system_sgpr_workgroup_id_y 0
		.amdhsa_system_sgpr_workgroup_id_z 0
		.amdhsa_system_sgpr_workgroup_info 0
		.amdhsa_system_vgpr_workitem_id 0
		.amdhsa_next_free_vgpr 60
		.amdhsa_next_free_sgpr 31
		.amdhsa_accum_offset 60
		.amdhsa_reserve_vcc 1
		.amdhsa_reserve_flat_scratch 0
		.amdhsa_float_round_mode_32 0
		.amdhsa_float_round_mode_16_64 0
		.amdhsa_float_denorm_mode_32 3
		.amdhsa_float_denorm_mode_16_64 3
		.amdhsa_dx10_clamp 1
		.amdhsa_ieee_mode 1
		.amdhsa_fp16_overflow 0
		.amdhsa_tg_split 0
		.amdhsa_exception_fp_ieee_invalid_op 0
		.amdhsa_exception_fp_denorm_src 0
		.amdhsa_exception_fp_ieee_div_zero 0
		.amdhsa_exception_fp_ieee_overflow 0
		.amdhsa_exception_fp_ieee_underflow 0
		.amdhsa_exception_fp_ieee_inexact 0
		.amdhsa_exception_int_div_zero 0
	.end_amdhsa_kernel
	.section	.text._ZN2at6native12_GLOBAL__N_125multi_tensor_apply_kernelINS1_28TensorListScalarListMetadataIlLi3EEENS1_28PointwiseOpScalarListFunctorIlLi3ELi3ELi0EEEJSt10multipliesIlEEEEvT_T0_DpT1_,"axG",@progbits,_ZN2at6native12_GLOBAL__N_125multi_tensor_apply_kernelINS1_28TensorListScalarListMetadataIlLi3EEENS1_28PointwiseOpScalarListFunctorIlLi3ELi3ELi0EEEJSt10multipliesIlEEEEvT_T0_DpT1_,comdat
.Lfunc_end102:
	.size	_ZN2at6native12_GLOBAL__N_125multi_tensor_apply_kernelINS1_28TensorListScalarListMetadataIlLi3EEENS1_28PointwiseOpScalarListFunctorIlLi3ELi3ELi0EEEJSt10multipliesIlEEEEvT_T0_DpT1_, .Lfunc_end102-_ZN2at6native12_GLOBAL__N_125multi_tensor_apply_kernelINS1_28TensorListScalarListMetadataIlLi3EEENS1_28PointwiseOpScalarListFunctorIlLi3ELi3ELi0EEEJSt10multipliesIlEEEEvT_T0_DpT1_
                                        ; -- End function
	.section	.AMDGPU.csdata,"",@progbits
; Kernel info:
; codeLenInByte = 2284
; NumSgprs: 35
; NumVgprs: 60
; NumAgprs: 0
; TotalNumVgprs: 60
; ScratchSize: 0
; MemoryBound: 0
; FloatMode: 240
; IeeeMode: 1
; LDSByteSize: 0 bytes/workgroup (compile time only)
; SGPRBlocks: 4
; VGPRBlocks: 7
; NumSGPRsForWavesPerEU: 35
; NumVGPRsForWavesPerEU: 60
; AccumOffset: 60
; Occupancy: 8
; WaveLimiterHint : 1
; COMPUTE_PGM_RSRC2:SCRATCH_EN: 0
; COMPUTE_PGM_RSRC2:USER_SGPR: 6
; COMPUTE_PGM_RSRC2:TRAP_HANDLER: 0
; COMPUTE_PGM_RSRC2:TGID_X_EN: 1
; COMPUTE_PGM_RSRC2:TGID_Y_EN: 0
; COMPUTE_PGM_RSRC2:TGID_Z_EN: 0
; COMPUTE_PGM_RSRC2:TIDIG_COMP_CNT: 0
; COMPUTE_PGM_RSRC3_GFX90A:ACCUM_OFFSET: 14
; COMPUTE_PGM_RSRC3_GFX90A:TG_SPLIT: 0
	.section	.text._ZN2at6native12_GLOBAL__N_125multi_tensor_apply_kernelINS1_28TensorListScalarListMetadataIsLi3EEENS1_28PointwiseOpScalarListFunctorIsLi3ELi3ELi0EEEJSt10multipliesIsEEEEvT_T0_DpT1_,"axG",@progbits,_ZN2at6native12_GLOBAL__N_125multi_tensor_apply_kernelINS1_28TensorListScalarListMetadataIsLi3EEENS1_28PointwiseOpScalarListFunctorIsLi3ELi3ELi0EEEJSt10multipliesIsEEEEvT_T0_DpT1_,comdat
	.globl	_ZN2at6native12_GLOBAL__N_125multi_tensor_apply_kernelINS1_28TensorListScalarListMetadataIsLi3EEENS1_28PointwiseOpScalarListFunctorIsLi3ELi3ELi0EEEJSt10multipliesIsEEEEvT_T0_DpT1_ ; -- Begin function _ZN2at6native12_GLOBAL__N_125multi_tensor_apply_kernelINS1_28TensorListScalarListMetadataIsLi3EEENS1_28PointwiseOpScalarListFunctorIsLi3ELi3ELi0EEEJSt10multipliesIsEEEEvT_T0_DpT1_
	.p2align	8
	.type	_ZN2at6native12_GLOBAL__N_125multi_tensor_apply_kernelINS1_28TensorListScalarListMetadataIsLi3EEENS1_28PointwiseOpScalarListFunctorIsLi3ELi3ELi0EEEJSt10multipliesIsEEEEvT_T0_DpT1_,@function
_ZN2at6native12_GLOBAL__N_125multi_tensor_apply_kernelINS1_28TensorListScalarListMetadataIsLi3EEENS1_28PointwiseOpScalarListFunctorIsLi3ELi3ELi0EEEJSt10multipliesIsEEEEvT_T0_DpT1_: ; @_ZN2at6native12_GLOBAL__N_125multi_tensor_apply_kernelINS1_28TensorListScalarListMetadataIsLi3EEENS1_28PointwiseOpScalarListFunctorIsLi3ELi3ELi0EEEJSt10multipliesIsEEEEvT_T0_DpT1_
; %bb.0:
	v_mov_b32_e32 v1, s6
	global_load_ubyte v1, v1, s[4:5] offset:1632
	s_add_u32 s0, s4, s6
	s_mul_i32 s1, s6, 3
	s_addc_u32 s2, s5, 0
	s_mul_hi_u32 s3, s6, 3
	s_add_u32 s0, s0, s1
	s_addc_u32 s1, s2, s3
	s_load_dword s0, s[0:1], 0x7a0
	s_mov_b32 s7, 0
	s_waitcnt lgkmcnt(0)
	s_ashr_i32 s1, s0, 31
	s_waitcnt vmcnt(0)
	v_readfirstlane_b32 s2, v1
	s_lshl_b32 s6, s2, 3
	s_add_u32 s2, s4, s6
	v_mul_hi_i32 v3, v1, -6
	v_mul_lo_u32 v1, v1, -6
	s_addc_u32 s3, s5, 0
	v_mov_b32_e32 v4, s3
	v_add_co_u32_e32 v2, vcc, s2, v1
	v_addc_co_u32_e32 v3, vcc, v4, v3, vcc
	global_load_ushort v25, v[2:3], off offset:1536
	s_load_dwordx2 s[10:11], s[4:5], s6 offset:0x0
	s_load_dwordx2 s[12:13], s[4:5], s6 offset:0x180
	;; [unrolled: 1-line block ×4, first 2 shown]
	s_lshl_b64 s[18:19], s[0:1], 17
	s_waitcnt lgkmcnt(0)
	s_and_b32 s6, s10, 7
	s_add_u32 s8, s12, s18
	s_or_b32 s8, s14, s8
	s_and_b32 s8, s8, 7
	s_cmp_eq_u32 s8, 0
	s_cselect_b64 s[8:9], -1, 0
	s_lshl_b64 s[0:1], s[0:1], 16
	s_sub_u32 s16, s2, s0
	s_subb_u32 s17, s3, s1
	s_and_b32 s0, s2, 3
	s_or_b32 s6, s6, s0
	s_cmp_eq_u64 s[6:7], 0
	s_cselect_b64 s[0:1], -1, 0
	s_and_b64 s[2:3], s[8:9], s[0:1]
	s_mov_b64 s[0:1], -1
	s_and_b64 vcc, exec, s[2:3]
	s_cbranch_vccnz .LBB103_29
; %bb.1:
	v_cmp_lt_i64_e64 s[0:1], s[16:17], 1
	s_and_b64 vcc, exec, s[0:1]
	s_cbranch_vccnz .LBB103_28
; %bb.2:
	s_load_dword s0, s[4:5], 0xcb4
	v_mov_b32_e32 v2, 0x10000
	v_mov_b32_e32 v3, 0
	v_cmp_lt_u64_e32 vcc, s[16:17], v[2:3]
	v_lshlrev_b32_e32 v14, 1, v0
	s_waitcnt lgkmcnt(0)
	s_and_b32 s2, s0, 0xffff
	s_and_b64 s[0:1], vcc, exec
	v_mov_b32_e32 v19, s11
	v_add_co_u32_e32 v2, vcc, s10, v14
	v_addc_co_u32_e32 v1, vcc, 0, v19, vcc
	v_mov_b32_e32 v21, s13
	v_add_co_u32_e32 v4, vcc, s12, v14
	v_addc_co_u32_e32 v3, vcc, 0, v21, vcc
	v_mov_b32_e32 v15, 0
	v_mov_b32_e32 v23, s15
	v_add_co_u32_e32 v6, vcc, s14, v14
	v_addc_co_u32_e32 v5, vcc, 0, v23, vcc
	v_mad_u64_u32 v[12:13], s[0:1], s2, 6, v[14:15]
	v_add_co_u32_e32 v8, vcc, s10, v12
	v_addc_co_u32_e32 v7, vcc, v19, v13, vcc
	v_add_co_u32_e32 v10, vcc, s12, v12
	v_addc_co_u32_e32 v9, vcc, v21, v13, vcc
	v_add_co_u32_e32 v12, vcc, s14, v12
	s_mul_i32 s6, s2, 3
	v_addc_co_u32_e32 v11, vcc, v23, v13, vcc
	s_cselect_b32 s21, s17, 0
	s_cselect_b32 s20, s16, 0x10000
	s_lshl_b32 s27, s2, 2
	v_add_co_u32_e32 v26, vcc, s6, v0
	v_addc_co_u32_e64 v27, s[0:1], 0, 0, vcc
	v_add_co_u32_e32 v17, vcc, s27, v14
	v_addc_co_u32_e64 v20, s[0:1], 0, 0, vcc
	v_add_co_u32_e32 v14, vcc, s10, v17
	v_addc_co_u32_e32 v13, vcc, v19, v20, vcc
	v_add_co_u32_e32 v16, vcc, s12, v17
	v_addc_co_u32_e32 v15, vcc, v21, v20, vcc
	v_add_co_u32_e32 v18, vcc, s14, v17
	s_lshl_b32 s3, s2, 1
	v_addc_co_u32_e32 v17, vcc, v23, v20, vcc
	v_add_co_u32_e32 v28, vcc, s3, v0
	v_addc_co_u32_e64 v29, s[0:1], 0, 0, vcc
	v_add_co_u32_e32 v30, vcc, s2, v0
	v_lshlrev_b32_e32 v24, 1, v30
	v_addc_co_u32_e64 v31, s[0:1], 0, 0, vcc
	v_add_co_u32_e32 v20, vcc, s10, v24
	v_addc_co_u32_e32 v19, vcc, 0, v19, vcc
	v_add_co_u32_e32 v22, vcc, s12, v24
	v_addc_co_u32_e32 v21, vcc, 0, v21, vcc
	v_add_co_u32_e32 v24, vcc, s14, v24
	s_mov_b32 s26, 0
	s_lshl_b32 s28, s2, 3
	v_addc_co_u32_e32 v23, vcc, 0, v23, vcc
	s_mov_b64 s[22:23], 0
	s_branch .LBB103_4
.LBB103_3:                              ;   in Loop: Header=BB103_4 Depth=1
	s_or_b64 exec, exec, s[0:1]
	s_add_u32 s22, s22, s27
	s_addc_u32 s23, s23, 0
	s_waitcnt vmcnt(0)
	v_pk_mov_b32 v[32:33], s[16:17], s[16:17] op_sel:[0,1]
	v_cmp_lt_i64_e32 vcc, s[22:23], v[32:33]
	v_mov_b32_e32 v32, 0x10000
	v_mov_b32_e32 v33, 0
	v_cmp_lt_u64_e64 s[0:1], s[22:23], v[32:33]
	s_and_b64 s[0:1], vcc, s[0:1]
	v_mov_b32_e32 v32, s26
	v_add_co_u32_e32 v2, vcc, s28, v2
	v_addc_co_u32_e32 v1, vcc, v1, v32, vcc
	v_add_co_u32_e32 v4, vcc, s28, v4
	v_addc_co_u32_e32 v3, vcc, v3, v32, vcc
	;; [unrolled: 2-line block ×12, first 2 shown]
	s_and_b64 vcc, exec, s[0:1]
	s_cbranch_vccz .LBB103_28
.LBB103_4:                              ; =>This Inner Loop Header: Depth=1
	v_mov_b32_e32 v33, s23
	v_add_co_u32_e32 v32, vcc, s22, v0
	v_addc_co_u32_e32 v33, vcc, 0, v33, vcc
	v_cmp_gt_u64_e32 vcc, s[20:21], v[32:33]
	v_mov_b32_e32 v32, 0
	v_mov_b32_e32 v33, 0
	s_and_saveexec_b64 s[2:3], vcc
	s_cbranch_execz .LBB103_6
; %bb.5:                                ;   in Loop: Header=BB103_4 Depth=1
	v_mov_b32_e32 v32, s19
	v_add_co_u32_e64 v34, s[0:1], s18, v2
	v_addc_co_u32_e64 v35, s[0:1], v1, v32, s[0:1]
	v_add_co_u32_e64 v36, s[0:1], s18, v4
	v_addc_co_u32_e64 v37, s[0:1], v3, v32, s[0:1]
	global_load_ushort v32, v[34:35], off
	global_load_ushort v33, v[36:37], off
.LBB103_6:                              ;   in Loop: Header=BB103_4 Depth=1
	s_or_b64 exec, exec, s[2:3]
	v_mov_b32_e32 v34, 0
	v_mov_b32_e32 v35, 0
	s_and_saveexec_b64 s[2:3], vcc
	s_cbranch_execz .LBB103_8
; %bb.7:                                ;   in Loop: Header=BB103_4 Depth=1
	v_mov_b32_e32 v35, s19
	v_add_co_u32_e64 v36, s[0:1], s18, v6
	v_addc_co_u32_e64 v37, s[0:1], v5, v35, s[0:1]
	global_load_ushort v35, v[36:37], off
.LBB103_8:                              ;   in Loop: Header=BB103_4 Depth=1
	s_or_b64 exec, exec, s[2:3]
	v_mov_b32_e32 v37, s23
	v_add_co_u32_e64 v36, s[0:1], s22, v30
	v_addc_co_u32_e64 v37, s[0:1], v31, v37, s[0:1]
	v_cmp_gt_u64_e64 s[0:1], s[20:21], v[36:37]
	v_mov_b32_e32 v36, 0
	s_and_saveexec_b64 s[6:7], s[0:1]
	s_cbranch_execz .LBB103_10
; %bb.9:                                ;   in Loop: Header=BB103_4 Depth=1
	v_mov_b32_e32 v34, s19
	v_add_co_u32_e64 v38, s[2:3], s18, v22
	v_addc_co_u32_e64 v39, s[2:3], v21, v34, s[2:3]
	v_add_co_u32_e64 v40, s[2:3], s18, v20
	v_addc_co_u32_e64 v41, s[2:3], v19, v34, s[2:3]
	global_load_ushort v34, v[40:41], off
	global_load_ushort v36, v[38:39], off
.LBB103_10:                             ;   in Loop: Header=BB103_4 Depth=1
	s_or_b64 exec, exec, s[6:7]
	v_mov_b32_e32 v37, 0
	v_mov_b32_e32 v38, 0
	s_and_saveexec_b64 s[6:7], s[0:1]
	s_cbranch_execz .LBB103_12
; %bb.11:                               ;   in Loop: Header=BB103_4 Depth=1
	v_mov_b32_e32 v39, s19
	v_add_co_u32_e64 v38, s[2:3], s18, v24
	v_addc_co_u32_e64 v39, s[2:3], v23, v39, s[2:3]
	global_load_ushort v38, v[38:39], off
.LBB103_12:                             ;   in Loop: Header=BB103_4 Depth=1
	s_or_b64 exec, exec, s[6:7]
	v_mov_b32_e32 v39, s23
	v_add_co_u32_e64 v40, s[2:3], s22, v28
	v_addc_co_u32_e64 v41, s[2:3], v29, v39, s[2:3]
	v_cmp_gt_u64_e64 s[2:3], s[20:21], v[40:41]
	v_mov_b32_e32 v39, 0
	s_and_saveexec_b64 s[8:9], s[2:3]
	s_cbranch_execz .LBB103_14
; %bb.13:                               ;   in Loop: Header=BB103_4 Depth=1
	v_mov_b32_e32 v37, s19
	v_add_co_u32_e64 v40, s[6:7], s18, v16
	v_addc_co_u32_e64 v41, s[6:7], v15, v37, s[6:7]
	v_add_co_u32_e64 v42, s[6:7], s18, v14
	v_addc_co_u32_e64 v43, s[6:7], v13, v37, s[6:7]
	global_load_ushort v37, v[42:43], off
	global_load_ushort v39, v[40:41], off
.LBB103_14:                             ;   in Loop: Header=BB103_4 Depth=1
	s_or_b64 exec, exec, s[8:9]
	v_mov_b32_e32 v40, 0
	v_mov_b32_e32 v41, 0
	s_and_saveexec_b64 s[8:9], s[2:3]
	s_cbranch_execz .LBB103_16
; %bb.15:                               ;   in Loop: Header=BB103_4 Depth=1
	v_mov_b32_e32 v41, s19
	v_add_co_u32_e64 v42, s[6:7], s18, v18
	v_addc_co_u32_e64 v43, s[6:7], v17, v41, s[6:7]
	global_load_ushort v41, v[42:43], off
.LBB103_16:                             ;   in Loop: Header=BB103_4 Depth=1
	s_or_b64 exec, exec, s[8:9]
	v_mov_b32_e32 v43, s23
	v_add_co_u32_e64 v42, s[6:7], s22, v26
	v_addc_co_u32_e64 v43, s[6:7], v27, v43, s[6:7]
	v_cmp_gt_u64_e64 s[6:7], s[20:21], v[42:43]
	v_mov_b32_e32 v42, 0
	s_and_saveexec_b64 s[24:25], s[6:7]
	s_cbranch_execnz .LBB103_22
; %bb.17:                               ;   in Loop: Header=BB103_4 Depth=1
	s_or_b64 exec, exec, s[24:25]
	v_mov_b32_e32 v43, 0
	s_and_saveexec_b64 s[24:25], s[6:7]
	s_cbranch_execnz .LBB103_23
.LBB103_18:                             ;   in Loop: Header=BB103_4 Depth=1
	s_or_b64 exec, exec, s[24:25]
	s_and_saveexec_b64 s[8:9], vcc
	s_cbranch_execnz .LBB103_24
.LBB103_19:                             ;   in Loop: Header=BB103_4 Depth=1
	s_or_b64 exec, exec, s[8:9]
	s_and_saveexec_b64 s[8:9], s[0:1]
	s_cbranch_execnz .LBB103_25
.LBB103_20:                             ;   in Loop: Header=BB103_4 Depth=1
	s_or_b64 exec, exec, s[8:9]
	s_and_saveexec_b64 s[0:1], s[2:3]
	s_cbranch_execnz .LBB103_26
.LBB103_21:                             ;   in Loop: Header=BB103_4 Depth=1
	s_or_b64 exec, exec, s[0:1]
	s_and_saveexec_b64 s[0:1], s[6:7]
	s_cbranch_execz .LBB103_3
	s_branch .LBB103_27
.LBB103_22:                             ;   in Loop: Header=BB103_4 Depth=1
	v_mov_b32_e32 v40, s19
	v_add_co_u32_e64 v44, s[8:9], s18, v10
	v_addc_co_u32_e64 v45, s[8:9], v9, v40, s[8:9]
	v_add_co_u32_e64 v46, s[8:9], s18, v8
	v_addc_co_u32_e64 v47, s[8:9], v7, v40, s[8:9]
	global_load_ushort v40, v[46:47], off
	global_load_ushort v42, v[44:45], off
	s_or_b64 exec, exec, s[24:25]
	v_mov_b32_e32 v43, 0
	s_and_saveexec_b64 s[24:25], s[6:7]
	s_cbranch_execz .LBB103_18
.LBB103_23:                             ;   in Loop: Header=BB103_4 Depth=1
	v_mov_b32_e32 v43, s19
	v_add_co_u32_e64 v44, s[8:9], s18, v12
	v_addc_co_u32_e64 v45, s[8:9], v11, v43, s[8:9]
	global_load_ushort v43, v[44:45], off
	s_or_b64 exec, exec, s[24:25]
	s_and_saveexec_b64 s[8:9], vcc
	s_cbranch_execz .LBB103_19
.LBB103_24:                             ;   in Loop: Header=BB103_4 Depth=1
	s_waitcnt vmcnt(0)
	v_mul_lo_u16_e32 v33, v33, v25
	v_mad_legacy_u16 v35, v33, v35, v32
	v_mov_b32_e32 v33, s19
	v_add_co_u32_e32 v32, vcc, s18, v2
	v_addc_co_u32_e32 v33, vcc, v1, v33, vcc
	global_store_short v[32:33], v35, off
	s_or_b64 exec, exec, s[8:9]
	s_and_saveexec_b64 s[8:9], s[0:1]
	s_cbranch_execz .LBB103_20
.LBB103_25:                             ;   in Loop: Header=BB103_4 Depth=1
	s_waitcnt vmcnt(0)
	v_mul_lo_u16_e32 v32, v36, v25
	v_mad_legacy_u16 v34, v32, v38, v34
	v_mov_b32_e32 v33, s19
	v_add_co_u32_e32 v32, vcc, s18, v20
	v_addc_co_u32_e32 v33, vcc, v19, v33, vcc
	global_store_short v[32:33], v34, off
	s_or_b64 exec, exec, s[8:9]
	s_and_saveexec_b64 s[0:1], s[2:3]
	s_cbranch_execz .LBB103_21
.LBB103_26:                             ;   in Loop: Header=BB103_4 Depth=1
	s_waitcnt vmcnt(0)
	v_mul_lo_u16_e32 v32, v39, v25
	v_mad_legacy_u16 v34, v32, v41, v37
	v_mov_b32_e32 v33, s19
	v_add_co_u32_e32 v32, vcc, s18, v14
	v_addc_co_u32_e32 v33, vcc, v13, v33, vcc
	global_store_short v[32:33], v34, off
	s_or_b64 exec, exec, s[0:1]
	s_and_saveexec_b64 s[0:1], s[6:7]
	s_cbranch_execz .LBB103_3
.LBB103_27:                             ;   in Loop: Header=BB103_4 Depth=1
	s_waitcnt vmcnt(0)
	v_mul_lo_u16_e32 v32, v42, v25
	v_mad_legacy_u16 v34, v32, v43, v40
	v_mov_b32_e32 v33, s19
	v_add_co_u32_e32 v32, vcc, s18, v8
	v_addc_co_u32_e32 v33, vcc, v7, v33, vcc
	global_store_short v[32:33], v34, off
	s_branch .LBB103_3
.LBB103_28:
	s_mov_b64 s[0:1], 0
.LBB103_29:
	s_andn2_b64 vcc, exec, s[0:1]
	s_cbranch_vccnz .LBB103_33
; %bb.30:
	v_mov_b32_e32 v3, 0
	v_lshlrev_b32_e32 v2, 2, v0
	s_mov_b32 s0, 0
	v_cmp_gt_i64_e32 vcc, s[16:17], v[2:3]
	s_and_saveexec_b64 s[2:3], vcc
	s_cbranch_execz .LBB103_33
; %bb.31:
	s_load_dword s1, s[4:5], 0xcb4
	v_lshlrev_b32_e32 v1, 3, v0
	v_mov_b32_e32 v2, s19
	v_add_co_u32_e32 v4, vcc, s18, v1
	s_waitcnt lgkmcnt(0)
	s_and_b32 s1, s1, 0xffff
	v_addc_co_u32_e32 v1, vcc, 0, v2, vcc
	s_lshl_b32 s8, s1, 3
	v_add_lshl_u32 v2, v0, s1, 2
	s_lshl_b32 s9, s1, 2
	s_mov_b64 s[4:5], 0
	v_mov_b32_e32 v0, s11
	v_mov_b32_e32 v5, s13
	v_mov_b32_e32 v6, s15
	s_mov_b64 s[6:7], 0xffff
	v_mov_b32_e32 v7, s0
	v_mov_b32_e32 v8, s0
.LBB103_32:                             ; =>This Inner Loop Header: Depth=1
	v_add_co_u32_e32 v10, vcc, s10, v4
	v_addc_co_u32_e32 v11, vcc, v0, v1, vcc
	v_add_co_u32_e32 v12, vcc, s12, v4
	v_addc_co_u32_e32 v13, vcc, v5, v1, vcc
	;; [unrolled: 2-line block ×3, first 2 shown]
	global_load_dwordx2 v[16:17], v[12:13], off
	global_load_dwordx2 v[18:19], v[10:11], off
	;; [unrolled: 1-line block ×3, first 2 shown]
	v_cmp_le_i64_e32 vcc, s[16:17], v[2:3]
	v_cmp_lt_u64_e64 s[0:1], s[6:7], v[2:3]
	v_add_co_u32_e64 v4, s[2:3], s8, v4
	v_addc_co_u32_e64 v1, s[2:3], v1, v7, s[2:3]
	s_or_b64 s[0:1], vcc, s[0:1]
	v_add_co_u32_e64 v2, s[2:3], s9, v2
	s_and_b64 s[0:1], exec, s[0:1]
	v_addc_co_u32_e64 v3, s[2:3], v3, v8, s[2:3]
	s_or_b64 s[4:5], s[0:1], s[4:5]
	s_waitcnt vmcnt(2)
	v_mul_lo_u16_e32 v9, v25, v16
	s_waitcnt vmcnt(1)
	v_lshrrev_b32_e32 v12, 16, v18
	s_waitcnt vmcnt(0)
	v_lshrrev_b32_e32 v13, 16, v20
	v_mul_lo_u16_sdwa v14, v25, v16 dst_sel:DWORD dst_unused:UNUSED_PAD src0_sel:DWORD src1_sel:WORD_1
	v_mul_lo_u16_e32 v15, v25, v17
	v_lshrrev_b32_e32 v16, 16, v19
	v_lshrrev_b32_e32 v22, 16, v21
	v_mul_lo_u16_sdwa v17, v25, v17 dst_sel:DWORD dst_unused:UNUSED_PAD src0_sel:DWORD src1_sel:WORD_1
	v_mul_lo_u16_e32 v9, v9, v20
	v_mad_legacy_u16 v12, v14, v13, v12
	v_mad_legacy_u16 v14, v17, v22, v16
	v_add_u16_e32 v9, v9, v18
	v_lshlrev_b32_e32 v12, 16, v12
	v_mad_legacy_u16 v13, v15, v21, v19
	v_lshlrev_b32_e32 v14, 16, v14
	v_or_b32_e32 v9, v12, v9
	v_or3_b32 v13, 0, v13, v14
	v_or3_b32 v12, v9, 0, 0
	global_store_dwordx2 v[10:11], v[12:13], off
	s_andn2_b64 exec, exec, s[4:5]
	s_cbranch_execnz .LBB103_32
.LBB103_33:
	s_endpgm
	.section	.rodata,"a",@progbits
	.p2align	6, 0x0
	.amdhsa_kernel _ZN2at6native12_GLOBAL__N_125multi_tensor_apply_kernelINS1_28TensorListScalarListMetadataIsLi3EEENS1_28PointwiseOpScalarListFunctorIsLi3ELi3ELi0EEEJSt10multipliesIsEEEEvT_T0_DpT1_
		.amdhsa_group_segment_fixed_size 0
		.amdhsa_private_segment_fixed_size 0
		.amdhsa_kernarg_size 3496
		.amdhsa_user_sgpr_count 6
		.amdhsa_user_sgpr_private_segment_buffer 1
		.amdhsa_user_sgpr_dispatch_ptr 0
		.amdhsa_user_sgpr_queue_ptr 0
		.amdhsa_user_sgpr_kernarg_segment_ptr 1
		.amdhsa_user_sgpr_dispatch_id 0
		.amdhsa_user_sgpr_flat_scratch_init 0
		.amdhsa_user_sgpr_kernarg_preload_length 0
		.amdhsa_user_sgpr_kernarg_preload_offset 0
		.amdhsa_user_sgpr_private_segment_size 0
		.amdhsa_uses_dynamic_stack 0
		.amdhsa_system_sgpr_private_segment_wavefront_offset 0
		.amdhsa_system_sgpr_workgroup_id_x 1
		.amdhsa_system_sgpr_workgroup_id_y 0
		.amdhsa_system_sgpr_workgroup_id_z 0
		.amdhsa_system_sgpr_workgroup_info 0
		.amdhsa_system_vgpr_workitem_id 0
		.amdhsa_next_free_vgpr 48
		.amdhsa_next_free_sgpr 29
		.amdhsa_accum_offset 48
		.amdhsa_reserve_vcc 1
		.amdhsa_reserve_flat_scratch 0
		.amdhsa_float_round_mode_32 0
		.amdhsa_float_round_mode_16_64 0
		.amdhsa_float_denorm_mode_32 3
		.amdhsa_float_denorm_mode_16_64 3
		.amdhsa_dx10_clamp 1
		.amdhsa_ieee_mode 1
		.amdhsa_fp16_overflow 0
		.amdhsa_tg_split 0
		.amdhsa_exception_fp_ieee_invalid_op 0
		.amdhsa_exception_fp_denorm_src 0
		.amdhsa_exception_fp_ieee_div_zero 0
		.amdhsa_exception_fp_ieee_overflow 0
		.amdhsa_exception_fp_ieee_underflow 0
		.amdhsa_exception_fp_ieee_inexact 0
		.amdhsa_exception_int_div_zero 0
	.end_amdhsa_kernel
	.section	.text._ZN2at6native12_GLOBAL__N_125multi_tensor_apply_kernelINS1_28TensorListScalarListMetadataIsLi3EEENS1_28PointwiseOpScalarListFunctorIsLi3ELi3ELi0EEEJSt10multipliesIsEEEEvT_T0_DpT1_,"axG",@progbits,_ZN2at6native12_GLOBAL__N_125multi_tensor_apply_kernelINS1_28TensorListScalarListMetadataIsLi3EEENS1_28PointwiseOpScalarListFunctorIsLi3ELi3ELi0EEEJSt10multipliesIsEEEEvT_T0_DpT1_,comdat
.Lfunc_end103:
	.size	_ZN2at6native12_GLOBAL__N_125multi_tensor_apply_kernelINS1_28TensorListScalarListMetadataIsLi3EEENS1_28PointwiseOpScalarListFunctorIsLi3ELi3ELi0EEEJSt10multipliesIsEEEEvT_T0_DpT1_, .Lfunc_end103-_ZN2at6native12_GLOBAL__N_125multi_tensor_apply_kernelINS1_28TensorListScalarListMetadataIsLi3EEENS1_28PointwiseOpScalarListFunctorIsLi3ELi3ELi0EEEJSt10multipliesIsEEEEvT_T0_DpT1_
                                        ; -- End function
	.section	.AMDGPU.csdata,"",@progbits
; Kernel info:
; codeLenInByte = 1832
; NumSgprs: 33
; NumVgprs: 48
; NumAgprs: 0
; TotalNumVgprs: 48
; ScratchSize: 0
; MemoryBound: 0
; FloatMode: 240
; IeeeMode: 1
; LDSByteSize: 0 bytes/workgroup (compile time only)
; SGPRBlocks: 4
; VGPRBlocks: 5
; NumSGPRsForWavesPerEU: 33
; NumVGPRsForWavesPerEU: 48
; AccumOffset: 48
; Occupancy: 8
; WaveLimiterHint : 0
; COMPUTE_PGM_RSRC2:SCRATCH_EN: 0
; COMPUTE_PGM_RSRC2:USER_SGPR: 6
; COMPUTE_PGM_RSRC2:TRAP_HANDLER: 0
; COMPUTE_PGM_RSRC2:TGID_X_EN: 1
; COMPUTE_PGM_RSRC2:TGID_Y_EN: 0
; COMPUTE_PGM_RSRC2:TGID_Z_EN: 0
; COMPUTE_PGM_RSRC2:TIDIG_COMP_CNT: 0
; COMPUTE_PGM_RSRC3_GFX90A:ACCUM_OFFSET: 11
; COMPUTE_PGM_RSRC3_GFX90A:TG_SPLIT: 0
	.section	.text._ZN2at6native12_GLOBAL__N_125multi_tensor_apply_kernelINS1_28TensorListScalarListMetadataIdLi3EEENS1_28PointwiseOpScalarListFunctorIdLi3ELi3ELi0EEEJSt10multipliesIdEEEEvT_T0_DpT1_,"axG",@progbits,_ZN2at6native12_GLOBAL__N_125multi_tensor_apply_kernelINS1_28TensorListScalarListMetadataIdLi3EEENS1_28PointwiseOpScalarListFunctorIdLi3ELi3ELi0EEEJSt10multipliesIdEEEEvT_T0_DpT1_,comdat
	.globl	_ZN2at6native12_GLOBAL__N_125multi_tensor_apply_kernelINS1_28TensorListScalarListMetadataIdLi3EEENS1_28PointwiseOpScalarListFunctorIdLi3ELi3ELi0EEEJSt10multipliesIdEEEEvT_T0_DpT1_ ; -- Begin function _ZN2at6native12_GLOBAL__N_125multi_tensor_apply_kernelINS1_28TensorListScalarListMetadataIdLi3EEENS1_28PointwiseOpScalarListFunctorIdLi3ELi3ELi0EEEJSt10multipliesIdEEEEvT_T0_DpT1_
	.p2align	8
	.type	_ZN2at6native12_GLOBAL__N_125multi_tensor_apply_kernelINS1_28TensorListScalarListMetadataIdLi3EEENS1_28PointwiseOpScalarListFunctorIdLi3ELi3ELi0EEEJSt10multipliesIdEEEEvT_T0_DpT1_,@function
_ZN2at6native12_GLOBAL__N_125multi_tensor_apply_kernelINS1_28TensorListScalarListMetadataIdLi3EEENS1_28PointwiseOpScalarListFunctorIdLi3ELi3ELi0EEEJSt10multipliesIdEEEEvT_T0_DpT1_: ; @_ZN2at6native12_GLOBAL__N_125multi_tensor_apply_kernelINS1_28TensorListScalarListMetadataIdLi3EEENS1_28PointwiseOpScalarListFunctorIdLi3ELi3ELi0EEEJSt10multipliesIdEEEEvT_T0_DpT1_
; %bb.0:
	v_mov_b32_e32 v1, s6
	global_load_ubyte v1, v1, s[4:5] offset:1920
	s_add_u32 s0, s4, s6
	s_mul_hi_u32 s3, s6, 3
	s_mul_i32 s6, s6, 3
	s_addc_u32 s7, s5, 0
	s_add_u32 s2, s0, s6
	s_addc_u32 s3, s7, s3
	s_load_dword s10, s[2:3], 0x8c0
	s_mov_b32 s1, 0
	s_mov_b32 s19, s1
	s_waitcnt lgkmcnt(0)
	s_ashr_i32 s11, s10, 31
	s_lshl_b64 s[16:17], s[10:11], 19
	s_waitcnt vmcnt(0)
	v_readfirstlane_b32 s0, v1
	s_lshl_b32 s0, s0, 3
	s_load_dwordx2 s[12:13], s[4:5], s0 offset:0x600
	s_load_dwordx2 s[8:9], s[4:5], s0 offset:0x0
	;; [unrolled: 1-line block ×5, first 2 shown]
	s_waitcnt lgkmcnt(0)
	s_add_u32 s24, s8, s16
	s_addc_u32 s25, s9, s17
	s_and_b32 s0, s24, 31
	s_add_u32 s26, s6, s16
	s_addc_u32 s27, s7, s17
	s_add_u32 s28, s2, s16
	s_addc_u32 s29, s3, s17
	s_or_b32 s14, s28, s26
	s_and_b32 s14, s14, 31
	s_cmp_eq_u32 s14, 0
	s_cselect_b64 s[22:23], -1, 0
	s_lshl_b64 s[10:11], s[10:11], 16
	s_sub_u32 s14, s20, s10
	s_subb_u32 s15, s21, s11
	s_and_b32 s18, s20, 3
	s_or_b64 s[0:1], s[0:1], s[18:19]
	s_cmp_eq_u64 s[0:1], 0
	s_cselect_b64 s[0:1], -1, 0
	s_and_b64 s[10:11], s[22:23], s[0:1]
	s_mov_b64 s[0:1], -1
	s_and_b64 vcc, exec, s[10:11]
	s_cbranch_vccnz .LBB104_29
; %bb.1:
	v_cmp_lt_i64_e64 s[0:1], s[14:15], 1
	s_and_b64 vcc, exec, s[0:1]
	s_cbranch_vccnz .LBB104_28
; %bb.2:
	s_load_dword s0, s[4:5], 0xdd4
	v_mov_b32_e32 v2, 0x10000
	v_mov_b32_e32 v3, 0
	v_cmp_lt_u64_e32 vcc, s[14:15], v[2:3]
	v_lshlrev_b32_e32 v14, 3, v0
	s_waitcnt lgkmcnt(0)
	s_and_b32 s20, s0, 0xffff
	s_and_b64 s[0:1], vcc, exec
	v_mov_b32_e32 v19, s9
	v_add_co_u32_e32 v2, vcc, s8, v14
	v_addc_co_u32_e32 v1, vcc, 0, v19, vcc
	v_mov_b32_e32 v21, s7
	v_add_co_u32_e32 v4, vcc, s6, v14
	v_addc_co_u32_e32 v3, vcc, 0, v21, vcc
	v_mov_b32_e32 v15, 0
	v_mov_b32_e32 v23, s3
	v_add_co_u32_e32 v6, vcc, s2, v14
	v_addc_co_u32_e32 v5, vcc, 0, v23, vcc
	v_mad_u64_u32 v[12:13], s[10:11], s20, 24, v[14:15]
	v_add_co_u32_e32 v8, vcc, s8, v12
	v_addc_co_u32_e32 v7, vcc, v19, v13, vcc
	v_add_co_u32_e32 v10, vcc, s6, v12
	v_addc_co_u32_e32 v9, vcc, v21, v13, vcc
	v_add_co_u32_e32 v12, vcc, s2, v12
	s_mul_i32 s22, s20, 3
	v_addc_co_u32_e32 v11, vcc, v23, v13, vcc
	s_cselect_b32 s19, s15, 0
	s_cselect_b32 s18, s14, 0x10000
	v_add_co_u32_e32 v25, vcc, s22, v0
	s_lshl_b32 s3, s20, 4
	v_addc_co_u32_e64 v50, s[10:11], 0, 0, vcc
	v_add_co_u32_e32 v17, vcc, s3, v14
	v_addc_co_u32_e64 v20, s[10:11], 0, 0, vcc
	v_add_co_u32_e32 v14, vcc, s8, v17
	v_addc_co_u32_e32 v13, vcc, v19, v20, vcc
	v_add_co_u32_e32 v16, vcc, s6, v17
	v_addc_co_u32_e32 v15, vcc, v21, v20, vcc
	v_add_co_u32_e32 v18, vcc, s2, v17
	s_lshl_b32 s21, s20, 1
	v_addc_co_u32_e32 v17, vcc, v23, v20, vcc
	v_add_co_u32_e32 v51, vcc, s21, v0
	v_addc_co_u32_e64 v52, s[10:11], 0, 0, vcc
	v_add_co_u32_e32 v53, vcc, s20, v0
	v_lshlrev_b32_e32 v24, 3, v53
	v_addc_co_u32_e64 v54, s[10:11], 0, 0, vcc
	v_add_co_u32_e32 v20, vcc, s8, v24
	v_addc_co_u32_e32 v19, vcc, 0, v19, vcc
	v_add_co_u32_e32 v22, vcc, s6, v24
	v_addc_co_u32_e32 v21, vcc, 0, v21, vcc
	v_add_co_u32_e32 v24, vcc, s2, v24
	s_mov_b32 s30, 0
	v_cmp_eq_f64_e64 s[0:1], s[12:13], 1.0
	s_lshl_b32 s31, s20, 2
	s_lshl_b32 s33, s20, 5
	v_addc_co_u32_e32 v23, vcc, 0, v23, vcc
	s_mov_b64 s[20:21], 0
	s_branch .LBB104_4
.LBB104_3:                              ;   in Loop: Header=BB104_4 Depth=1
	s_or_b64 exec, exec, s[2:3]
	s_add_u32 s20, s20, s31
	s_addc_u32 s21, s21, 0
	s_waitcnt vmcnt(0)
	v_pk_mov_b32 v[26:27], s[14:15], s[14:15] op_sel:[0,1]
	v_cmp_lt_i64_e32 vcc, s[20:21], v[26:27]
	v_mov_b32_e32 v26, 0x10000
	v_mov_b32_e32 v27, 0
	v_cmp_lt_u64_e64 s[2:3], s[20:21], v[26:27]
	s_and_b64 s[2:3], vcc, s[2:3]
	v_mov_b32_e32 v26, s30
	v_add_co_u32_e32 v2, vcc, s33, v2
	v_addc_co_u32_e32 v1, vcc, v1, v26, vcc
	v_add_co_u32_e32 v4, vcc, s33, v4
	v_addc_co_u32_e32 v3, vcc, v3, v26, vcc
	;; [unrolled: 2-line block ×12, first 2 shown]
	s_and_b64 vcc, exec, s[2:3]
	s_cbranch_vccz .LBB104_28
.LBB104_4:                              ; =>This Inner Loop Header: Depth=1
	v_mov_b32_e32 v27, s21
	v_add_co_u32_e32 v26, vcc, s20, v0
	v_addc_co_u32_e32 v27, vcc, 0, v27, vcc
	v_cmp_gt_u64_e32 vcc, s[18:19], v[26:27]
	v_pk_mov_b32 v[26:27], 0, 0
	v_pk_mov_b32 v[28:29], v[26:27], v[26:27] op_sel:[0,1]
	v_pk_mov_b32 v[30:31], v[26:27], v[26:27] op_sel:[0,1]
	s_and_saveexec_b64 s[6:7], vcc
	s_cbranch_execz .LBB104_6
; %bb.5:                                ;   in Loop: Header=BB104_4 Depth=1
	v_mov_b32_e32 v28, s17
	v_add_co_u32_e64 v32, s[2:3], s16, v2
	v_addc_co_u32_e64 v33, s[2:3], v1, v28, s[2:3]
	v_add_co_u32_e64 v34, s[2:3], s16, v4
	v_addc_co_u32_e64 v35, s[2:3], v3, v28, s[2:3]
	global_load_dwordx2 v[28:29], v[32:33], off
	global_load_dwordx2 v[30:31], v[34:35], off
.LBB104_6:                              ;   in Loop: Header=BB104_4 Depth=1
	s_or_b64 exec, exec, s[6:7]
	s_and_saveexec_b64 s[6:7], vcc
	s_cbranch_execz .LBB104_8
; %bb.7:                                ;   in Loop: Header=BB104_4 Depth=1
	v_mov_b32_e32 v27, s17
	v_add_co_u32_e64 v26, s[2:3], s16, v6
	v_addc_co_u32_e64 v27, s[2:3], v5, v27, s[2:3]
	global_load_dwordx2 v[26:27], v[26:27], off
.LBB104_8:                              ;   in Loop: Header=BB104_4 Depth=1
	s_or_b64 exec, exec, s[6:7]
	v_mov_b32_e32 v33, s21
	v_add_co_u32_e64 v32, s[2:3], s20, v53
	v_addc_co_u32_e64 v33, s[2:3], v54, v33, s[2:3]
	v_cmp_gt_u64_e64 s[2:3], s[18:19], v[32:33]
	v_pk_mov_b32 v[32:33], 0, 0
	v_pk_mov_b32 v[34:35], v[32:33], v[32:33] op_sel:[0,1]
	v_pk_mov_b32 v[36:37], v[32:33], v[32:33] op_sel:[0,1]
	s_and_saveexec_b64 s[8:9], s[2:3]
	s_cbranch_execz .LBB104_10
; %bb.9:                                ;   in Loop: Header=BB104_4 Depth=1
	v_mov_b32_e32 v34, s17
	v_add_co_u32_e64 v38, s[6:7], s16, v20
	v_addc_co_u32_e64 v39, s[6:7], v19, v34, s[6:7]
	v_add_co_u32_e64 v40, s[6:7], s16, v22
	v_addc_co_u32_e64 v41, s[6:7], v21, v34, s[6:7]
	global_load_dwordx2 v[34:35], v[38:39], off
	global_load_dwordx2 v[36:37], v[40:41], off
.LBB104_10:                             ;   in Loop: Header=BB104_4 Depth=1
	s_or_b64 exec, exec, s[8:9]
	s_and_saveexec_b64 s[8:9], s[2:3]
	s_cbranch_execz .LBB104_12
; %bb.11:                               ;   in Loop: Header=BB104_4 Depth=1
	v_mov_b32_e32 v33, s17
	v_add_co_u32_e64 v32, s[6:7], s16, v24
	v_addc_co_u32_e64 v33, s[6:7], v23, v33, s[6:7]
	global_load_dwordx2 v[32:33], v[32:33], off
.LBB104_12:                             ;   in Loop: Header=BB104_4 Depth=1
	s_or_b64 exec, exec, s[8:9]
	v_mov_b32_e32 v39, s21
	v_add_co_u32_e64 v38, s[6:7], s20, v51
	v_addc_co_u32_e64 v39, s[6:7], v52, v39, s[6:7]
	v_cmp_gt_u64_e64 s[6:7], s[18:19], v[38:39]
	v_pk_mov_b32 v[38:39], 0, 0
	v_pk_mov_b32 v[40:41], v[38:39], v[38:39] op_sel:[0,1]
	v_pk_mov_b32 v[42:43], v[38:39], v[38:39] op_sel:[0,1]
	s_and_saveexec_b64 s[10:11], s[6:7]
	s_cbranch_execz .LBB104_14
; %bb.13:                               ;   in Loop: Header=BB104_4 Depth=1
	v_mov_b32_e32 v40, s17
	v_add_co_u32_e64 v44, s[8:9], s16, v14
	v_addc_co_u32_e64 v45, s[8:9], v13, v40, s[8:9]
	v_add_co_u32_e64 v46, s[8:9], s16, v16
	v_addc_co_u32_e64 v47, s[8:9], v15, v40, s[8:9]
	global_load_dwordx2 v[40:41], v[44:45], off
	global_load_dwordx2 v[42:43], v[46:47], off
.LBB104_14:                             ;   in Loop: Header=BB104_4 Depth=1
	s_or_b64 exec, exec, s[10:11]
	s_and_saveexec_b64 s[10:11], s[6:7]
	s_cbranch_execz .LBB104_16
; %bb.15:                               ;   in Loop: Header=BB104_4 Depth=1
	v_mov_b32_e32 v39, s17
	v_add_co_u32_e64 v38, s[8:9], s16, v18
	v_addc_co_u32_e64 v39, s[8:9], v17, v39, s[8:9]
	global_load_dwordx2 v[38:39], v[38:39], off
.LBB104_16:                             ;   in Loop: Header=BB104_4 Depth=1
	s_or_b64 exec, exec, s[10:11]
	v_mov_b32_e32 v45, s21
	v_add_co_u32_e64 v44, s[8:9], s20, v25
	v_addc_co_u32_e64 v45, s[8:9], v50, v45, s[8:9]
	v_cmp_gt_u64_e64 s[8:9], s[18:19], v[44:45]
	v_pk_mov_b32 v[44:45], 0, 0
	v_pk_mov_b32 v[46:47], v[44:45], v[44:45] op_sel:[0,1]
	v_pk_mov_b32 v[48:49], v[44:45], v[44:45] op_sel:[0,1]
	s_and_saveexec_b64 s[22:23], s[8:9]
	s_cbranch_execnz .LBB104_22
; %bb.17:                               ;   in Loop: Header=BB104_4 Depth=1
	s_or_b64 exec, exec, s[22:23]
	s_and_saveexec_b64 s[22:23], s[8:9]
	s_cbranch_execnz .LBB104_23
.LBB104_18:                             ;   in Loop: Header=BB104_4 Depth=1
	s_or_b64 exec, exec, s[22:23]
	s_and_saveexec_b64 s[10:11], vcc
	s_cbranch_execnz .LBB104_24
.LBB104_19:                             ;   in Loop: Header=BB104_4 Depth=1
	s_or_b64 exec, exec, s[10:11]
	s_and_saveexec_b64 s[10:11], s[2:3]
	s_cbranch_execnz .LBB104_25
.LBB104_20:                             ;   in Loop: Header=BB104_4 Depth=1
	s_or_b64 exec, exec, s[10:11]
	s_and_saveexec_b64 s[2:3], s[6:7]
	s_cbranch_execnz .LBB104_26
.LBB104_21:                             ;   in Loop: Header=BB104_4 Depth=1
	s_or_b64 exec, exec, s[2:3]
	s_and_saveexec_b64 s[2:3], s[8:9]
	s_cbranch_execz .LBB104_3
	s_branch .LBB104_27
.LBB104_22:                             ;   in Loop: Header=BB104_4 Depth=1
	v_mov_b32_e32 v46, s17
	v_add_co_u32_e64 v56, s[10:11], s16, v8
	v_addc_co_u32_e64 v57, s[10:11], v7, v46, s[10:11]
	v_add_co_u32_e64 v58, s[10:11], s16, v10
	v_addc_co_u32_e64 v59, s[10:11], v9, v46, s[10:11]
	global_load_dwordx2 v[46:47], v[56:57], off
	global_load_dwordx2 v[48:49], v[58:59], off
	s_or_b64 exec, exec, s[22:23]
	s_and_saveexec_b64 s[22:23], s[8:9]
	s_cbranch_execz .LBB104_18
.LBB104_23:                             ;   in Loop: Header=BB104_4 Depth=1
	v_mov_b32_e32 v45, s17
	v_add_co_u32_e64 v44, s[10:11], s16, v12
	v_addc_co_u32_e64 v45, s[10:11], v11, v45, s[10:11]
	global_load_dwordx2 v[44:45], v[44:45], off
	s_or_b64 exec, exec, s[22:23]
	s_and_saveexec_b64 s[10:11], vcc
	s_cbranch_execz .LBB104_19
.LBB104_24:                             ;   in Loop: Header=BB104_4 Depth=1
	s_waitcnt vmcnt(0)
	v_fma_f64 v[56:57], v[30:31], v[26:27], v[28:29]
	v_mul_f64 v[26:27], v[30:31], v[26:27]
	v_fmac_f64_e32 v[28:29], s[12:13], v[26:27]
	v_cndmask_b32_e64 v27, v29, v57, s[0:1]
	v_cndmask_b32_e64 v26, v28, v56, s[0:1]
	v_mov_b32_e32 v29, s17
	v_add_co_u32_e32 v28, vcc, s16, v2
	v_addc_co_u32_e32 v29, vcc, v1, v29, vcc
	global_store_dwordx2 v[28:29], v[26:27], off
	s_or_b64 exec, exec, s[10:11]
	s_and_saveexec_b64 s[10:11], s[2:3]
	s_cbranch_execz .LBB104_20
.LBB104_25:                             ;   in Loop: Header=BB104_4 Depth=1
	s_waitcnt vmcnt(0)
	v_mul_f64 v[28:29], v[36:37], v[32:33]
	v_fma_f64 v[26:27], v[36:37], v[32:33], v[34:35]
	v_fmac_f64_e32 v[34:35], s[12:13], v[28:29]
	v_mov_b32_e32 v29, s17
	v_add_co_u32_e32 v28, vcc, s16, v20
	v_cndmask_b32_e64 v27, v35, v27, s[0:1]
	v_cndmask_b32_e64 v26, v34, v26, s[0:1]
	v_addc_co_u32_e32 v29, vcc, v19, v29, vcc
	global_store_dwordx2 v[28:29], v[26:27], off
	s_or_b64 exec, exec, s[10:11]
	s_and_saveexec_b64 s[2:3], s[6:7]
	s_cbranch_execz .LBB104_21
.LBB104_26:                             ;   in Loop: Header=BB104_4 Depth=1
	s_waitcnt vmcnt(0)
	v_mul_f64 v[28:29], v[42:43], v[38:39]
	v_fma_f64 v[26:27], v[42:43], v[38:39], v[40:41]
	v_fmac_f64_e32 v[40:41], s[12:13], v[28:29]
	v_mov_b32_e32 v29, s17
	v_add_co_u32_e32 v28, vcc, s16, v14
	v_cndmask_b32_e64 v27, v41, v27, s[0:1]
	v_cndmask_b32_e64 v26, v40, v26, s[0:1]
	v_addc_co_u32_e32 v29, vcc, v13, v29, vcc
	global_store_dwordx2 v[28:29], v[26:27], off
	s_or_b64 exec, exec, s[2:3]
	s_and_saveexec_b64 s[2:3], s[8:9]
	s_cbranch_execz .LBB104_3
.LBB104_27:                             ;   in Loop: Header=BB104_4 Depth=1
	s_waitcnt vmcnt(0)
	v_mul_f64 v[28:29], v[48:49], v[44:45]
	v_fma_f64 v[26:27], v[48:49], v[44:45], v[46:47]
	v_fmac_f64_e32 v[46:47], s[12:13], v[28:29]
	v_mov_b32_e32 v29, s17
	v_add_co_u32_e32 v28, vcc, s16, v8
	v_cndmask_b32_e64 v27, v47, v27, s[0:1]
	v_cndmask_b32_e64 v26, v46, v26, s[0:1]
	v_addc_co_u32_e32 v29, vcc, v7, v29, vcc
	global_store_dwordx2 v[28:29], v[26:27], off
	s_branch .LBB104_3
.LBB104_28:
	s_mov_b64 s[0:1], 0
.LBB104_29:
	s_andn2_b64 vcc, exec, s[0:1]
	s_cbranch_vccnz .LBB104_33
; %bb.30:
	v_mov_b32_e32 v3, 0
	v_lshlrev_b32_e32 v2, 2, v0
	s_mov_b32 s0, 0
	v_cmp_gt_i64_e32 vcc, s[14:15], v[2:3]
	s_and_saveexec_b64 s[2:3], vcc
	s_cbranch_execz .LBB104_33
; %bb.31:
	s_load_dword s1, s[4:5], 0xdd4
	v_cmp_eq_f64_e64 vcc, s[12:13], 1.0
	v_lshlrev_b32_e32 v4, 5, v0
	s_mov_b64 s[6:7], 0
	s_mov_b64 s[8:9], 0xffff
	s_waitcnt lgkmcnt(0)
	s_and_b32 s1, s1, 0xffff
	v_add_lshl_u32 v2, v0, s1, 2
	s_lshl_b32 s10, s1, 2
	s_lshl_b32 s11, s1, 5
	v_mov_b32_e32 v0, s0
.LBB104_32:                             ; =>This Inner Loop Header: Depth=1
	v_mov_b32_e32 v1, s25
	v_add_co_u32_e64 v34, s[4:5], s24, v4
	v_mov_b32_e32 v5, s27
	v_add_co_u32_e64 v30, s[0:1], s26, v4
	;; [unrolled: 2-line block ×3, first 2 shown]
	v_addc_co_u32_e64 v35, s[4:5], 0, v1, s[4:5]
	v_addc_co_u32_e64 v31, s[0:1], 0, v5, s[0:1]
	;; [unrolled: 1-line block ×3, first 2 shown]
	global_load_dwordx4 v[6:9], v[34:35], off
	global_load_dwordx4 v[10:13], v[30:31], off
	;; [unrolled: 1-line block ×3, first 2 shown]
	global_load_dwordx4 v[18:21], v[30:31], off offset:16
	global_load_dwordx4 v[22:25], v[32:33], off offset:16
	;; [unrolled: 1-line block ×3, first 2 shown]
	v_cmp_le_i64_e64 s[0:1], s[14:15], v[2:3]
	v_cmp_lt_u64_e64 s[2:3], s[8:9], v[2:3]
	s_or_b64 s[0:1], s[0:1], s[2:3]
	s_add_u32 s24, s24, s11
	s_addc_u32 s25, s25, 0
	s_add_u32 s28, s28, s11
	s_addc_u32 s29, s29, 0
	;; [unrolled: 2-line block ×3, first 2 shown]
	v_add_co_u32_e64 v2, s[4:5], s10, v2
	s_and_b64 s[0:1], exec, s[0:1]
	v_addc_co_u32_e64 v3, s[4:5], v3, v0, s[4:5]
	s_or_b64 s[6:7], s[0:1], s[6:7]
	s_waitcnt vmcnt(3)
	v_fma_f64 v[30:31], v[10:11], v[14:15], v[6:7]
	v_mul_f64 v[10:11], v[10:11], v[14:15]
	v_fma_f64 v[14:15], v[12:13], v[16:17], v[8:9]
	v_mul_f64 v[12:13], v[12:13], v[16:17]
	s_waitcnt vmcnt(0)
	v_fma_f64 v[16:17], v[18:19], v[22:23], v[26:27]
	v_mul_f64 v[18:19], v[18:19], v[22:23]
	v_fma_f64 v[22:23], v[20:21], v[24:25], v[28:29]
	v_mul_f64 v[20:21], v[20:21], v[24:25]
	v_fmac_f64_e32 v[6:7], s[12:13], v[10:11]
	v_fmac_f64_e32 v[8:9], s[12:13], v[12:13]
	;; [unrolled: 1-line block ×4, first 2 shown]
	v_cndmask_b32_e32 v7, v7, v31, vcc
	v_cndmask_b32_e32 v6, v6, v30, vcc
	v_cndmask_b32_e32 v9, v9, v15, vcc
	v_cndmask_b32_e32 v8, v8, v14, vcc
	v_cndmask_b32_e32 v11, v27, v17, vcc
	v_cndmask_b32_e32 v10, v26, v16, vcc
	v_cndmask_b32_e32 v13, v29, v23, vcc
	v_cndmask_b32_e32 v12, v28, v22, vcc
	global_store_dwordx4 v[34:35], v[6:9], off
	global_store_dwordx4 v[34:35], v[10:13], off offset:16
	s_andn2_b64 exec, exec, s[6:7]
	s_cbranch_execnz .LBB104_32
.LBB104_33:
	s_endpgm
	.section	.rodata,"a",@progbits
	.p2align	6, 0x0
	.amdhsa_kernel _ZN2at6native12_GLOBAL__N_125multi_tensor_apply_kernelINS1_28TensorListScalarListMetadataIdLi3EEENS1_28PointwiseOpScalarListFunctorIdLi3ELi3ELi0EEEJSt10multipliesIdEEEEvT_T0_DpT1_
		.amdhsa_group_segment_fixed_size 0
		.amdhsa_private_segment_fixed_size 0
		.amdhsa_kernarg_size 3784
		.amdhsa_user_sgpr_count 6
		.amdhsa_user_sgpr_private_segment_buffer 1
		.amdhsa_user_sgpr_dispatch_ptr 0
		.amdhsa_user_sgpr_queue_ptr 0
		.amdhsa_user_sgpr_kernarg_segment_ptr 1
		.amdhsa_user_sgpr_dispatch_id 0
		.amdhsa_user_sgpr_flat_scratch_init 0
		.amdhsa_user_sgpr_kernarg_preload_length 0
		.amdhsa_user_sgpr_kernarg_preload_offset 0
		.amdhsa_user_sgpr_private_segment_size 0
		.amdhsa_uses_dynamic_stack 0
		.amdhsa_system_sgpr_private_segment_wavefront_offset 0
		.amdhsa_system_sgpr_workgroup_id_x 1
		.amdhsa_system_sgpr_workgroup_id_y 0
		.amdhsa_system_sgpr_workgroup_id_z 0
		.amdhsa_system_sgpr_workgroup_info 0
		.amdhsa_system_vgpr_workitem_id 0
		.amdhsa_next_free_vgpr 60
		.amdhsa_next_free_sgpr 34
		.amdhsa_accum_offset 60
		.amdhsa_reserve_vcc 1
		.amdhsa_reserve_flat_scratch 0
		.amdhsa_float_round_mode_32 0
		.amdhsa_float_round_mode_16_64 0
		.amdhsa_float_denorm_mode_32 3
		.amdhsa_float_denorm_mode_16_64 3
		.amdhsa_dx10_clamp 1
		.amdhsa_ieee_mode 1
		.amdhsa_fp16_overflow 0
		.amdhsa_tg_split 0
		.amdhsa_exception_fp_ieee_invalid_op 0
		.amdhsa_exception_fp_denorm_src 0
		.amdhsa_exception_fp_ieee_div_zero 0
		.amdhsa_exception_fp_ieee_overflow 0
		.amdhsa_exception_fp_ieee_underflow 0
		.amdhsa_exception_fp_ieee_inexact 0
		.amdhsa_exception_int_div_zero 0
	.end_amdhsa_kernel
	.section	.text._ZN2at6native12_GLOBAL__N_125multi_tensor_apply_kernelINS1_28TensorListScalarListMetadataIdLi3EEENS1_28PointwiseOpScalarListFunctorIdLi3ELi3ELi0EEEJSt10multipliesIdEEEEvT_T0_DpT1_,"axG",@progbits,_ZN2at6native12_GLOBAL__N_125multi_tensor_apply_kernelINS1_28TensorListScalarListMetadataIdLi3EEENS1_28PointwiseOpScalarListFunctorIdLi3ELi3ELi0EEEJSt10multipliesIdEEEEvT_T0_DpT1_,comdat
.Lfunc_end104:
	.size	_ZN2at6native12_GLOBAL__N_125multi_tensor_apply_kernelINS1_28TensorListScalarListMetadataIdLi3EEENS1_28PointwiseOpScalarListFunctorIdLi3ELi3ELi0EEEJSt10multipliesIdEEEEvT_T0_DpT1_, .Lfunc_end104-_ZN2at6native12_GLOBAL__N_125multi_tensor_apply_kernelINS1_28TensorListScalarListMetadataIdLi3EEENS1_28PointwiseOpScalarListFunctorIdLi3ELi3ELi0EEEJSt10multipliesIdEEEEvT_T0_DpT1_
                                        ; -- End function
	.section	.AMDGPU.csdata,"",@progbits
; Kernel info:
; codeLenInByte = 2040
; NumSgprs: 38
; NumVgprs: 60
; NumAgprs: 0
; TotalNumVgprs: 60
; ScratchSize: 0
; MemoryBound: 0
; FloatMode: 240
; IeeeMode: 1
; LDSByteSize: 0 bytes/workgroup (compile time only)
; SGPRBlocks: 4
; VGPRBlocks: 7
; NumSGPRsForWavesPerEU: 38
; NumVGPRsForWavesPerEU: 60
; AccumOffset: 60
; Occupancy: 8
; WaveLimiterHint : 1
; COMPUTE_PGM_RSRC2:SCRATCH_EN: 0
; COMPUTE_PGM_RSRC2:USER_SGPR: 6
; COMPUTE_PGM_RSRC2:TRAP_HANDLER: 0
; COMPUTE_PGM_RSRC2:TGID_X_EN: 1
; COMPUTE_PGM_RSRC2:TGID_Y_EN: 0
; COMPUTE_PGM_RSRC2:TGID_Z_EN: 0
; COMPUTE_PGM_RSRC2:TIDIG_COMP_CNT: 0
; COMPUTE_PGM_RSRC3_GFX90A:ACCUM_OFFSET: 14
; COMPUTE_PGM_RSRC3_GFX90A:TG_SPLIT: 0
	.section	.text._ZN2at6native12_GLOBAL__N_125multi_tensor_apply_kernelINS1_28TensorListScalarListMetadataIfLi3EEENS1_28PointwiseOpScalarListFunctorIfLi3ELi3ELi0EEEJSt10multipliesIfEEEEvT_T0_DpT1_,"axG",@progbits,_ZN2at6native12_GLOBAL__N_125multi_tensor_apply_kernelINS1_28TensorListScalarListMetadataIfLi3EEENS1_28PointwiseOpScalarListFunctorIfLi3ELi3ELi0EEEJSt10multipliesIfEEEEvT_T0_DpT1_,comdat
	.globl	_ZN2at6native12_GLOBAL__N_125multi_tensor_apply_kernelINS1_28TensorListScalarListMetadataIfLi3EEENS1_28PointwiseOpScalarListFunctorIfLi3ELi3ELi0EEEJSt10multipliesIfEEEEvT_T0_DpT1_ ; -- Begin function _ZN2at6native12_GLOBAL__N_125multi_tensor_apply_kernelINS1_28TensorListScalarListMetadataIfLi3EEENS1_28PointwiseOpScalarListFunctorIfLi3ELi3ELi0EEEJSt10multipliesIfEEEEvT_T0_DpT1_
	.p2align	8
	.type	_ZN2at6native12_GLOBAL__N_125multi_tensor_apply_kernelINS1_28TensorListScalarListMetadataIfLi3EEENS1_28PointwiseOpScalarListFunctorIfLi3ELi3ELi0EEEJSt10multipliesIfEEEEvT_T0_DpT1_,@function
_ZN2at6native12_GLOBAL__N_125multi_tensor_apply_kernelINS1_28TensorListScalarListMetadataIfLi3EEENS1_28PointwiseOpScalarListFunctorIfLi3ELi3ELi0EEEJSt10multipliesIfEEEEvT_T0_DpT1_: ; @_ZN2at6native12_GLOBAL__N_125multi_tensor_apply_kernelINS1_28TensorListScalarListMetadataIfLi3EEENS1_28PointwiseOpScalarListFunctorIfLi3ELi3ELi0EEEJSt10multipliesIfEEEEvT_T0_DpT1_
; %bb.0:
	v_mov_b32_e32 v1, s6
	global_load_ubyte v1, v1, s[4:5] offset:1728
	s_add_u32 s0, s4, s6
	s_mul_i32 s1, s6, 3
	s_addc_u32 s2, s5, 0
	s_mul_hi_u32 s3, s6, 3
	s_add_u32 s0, s0, s1
	s_addc_u32 s1, s2, s3
	s_load_dword s8, s[0:1], 0x800
	s_mov_b32 s11, 0
	s_waitcnt lgkmcnt(0)
	s_ashr_i32 s9, s8, 31
	s_waitcnt vmcnt(0)
	v_readfirstlane_b32 s0, v1
	s_lshl_b32 s10, s0, 3
	s_add_u32 s12, s4, s10
	s_load_dwordx2 s[6:7], s[4:5], s10 offset:0x0
	s_load_dwordx2 s[2:3], s[4:5], s10 offset:0x180
	;; [unrolled: 1-line block ×4, first 2 shown]
	s_addc_u32 s10, s5, 0
	s_lshl_b64 s[14:15], s[8:9], 18
	s_waitcnt lgkmcnt(0)
	s_add_u32 s24, s6, s14
	v_lshlrev_b32_e32 v1, 2, v1
	v_mov_b32_e32 v3, s10
	s_addc_u32 s26, s7, s15
	s_and_b32 s10, s24, 15
	v_sub_co_u32_e32 v2, vcc, s12, v1
	s_add_u32 s27, s2, s14
	v_subbrev_co_u32_e32 v1, vcc, 0, v3, vcc
	s_addc_u32 s28, s3, s15
	v_readfirstlane_b32 s12, v2
	v_readfirstlane_b32 s13, v1
	s_add_u32 s29, s0, s14
	s_load_dword s25, s[12:13], 0x600
	s_addc_u32 s30, s1, s15
	s_or_b32 s12, s29, s27
	s_and_b32 s12, s12, 15
	s_cmp_eq_u32 s12, 0
	s_cselect_b64 s[18:19], -1, 0
	s_lshl_b64 s[8:9], s[8:9], 16
	s_sub_u32 s12, s16, s8
	s_subb_u32 s13, s17, s9
	s_and_b32 s8, s16, 3
	s_or_b32 s10, s10, s8
	s_cmp_eq_u64 s[10:11], 0
	s_cselect_b64 s[8:9], -1, 0
	s_and_b64 s[10:11], s[18:19], s[8:9]
	s_mov_b64 s[8:9], -1
	s_and_b64 vcc, exec, s[10:11]
	s_cbranch_vccnz .LBB105_45
; %bb.1:
	v_cmp_lt_i64_e64 s[8:9], s[12:13], 1
	s_and_b64 vcc, exec, s[8:9]
	s_cbranch_vccnz .LBB105_44
; %bb.2:
	s_load_dword s8, s[4:5], 0xd14
	v_mov_b32_e32 v2, 0x10000
	v_mov_b32_e32 v3, 0
	v_cmp_lt_u64_e32 vcc, s[12:13], v[2:3]
	v_lshlrev_b32_e32 v14, 2, v0
	s_waitcnt lgkmcnt(0)
	s_and_b32 s10, s8, 0xffff
	s_and_b64 s[8:9], vcc, exec
	v_mov_b32_e32 v19, s7
	v_add_co_u32_e32 v2, vcc, s6, v14
	v_addc_co_u32_e32 v1, vcc, 0, v19, vcc
	v_mov_b32_e32 v21, s3
	v_add_co_u32_e32 v4, vcc, s2, v14
	v_addc_co_u32_e32 v3, vcc, 0, v21, vcc
	v_mov_b32_e32 v15, 0
	v_mov_b32_e32 v23, s1
	v_add_co_u32_e32 v6, vcc, s0, v14
	v_addc_co_u32_e32 v5, vcc, 0, v23, vcc
	v_mad_u64_u32 v[12:13], s[8:9], s10, 12, v[14:15]
	v_add_co_u32_e32 v8, vcc, s6, v12
	v_addc_co_u32_e32 v7, vcc, v19, v13, vcc
	v_add_co_u32_e32 v10, vcc, s2, v12
	v_addc_co_u32_e32 v9, vcc, v21, v13, vcc
	v_add_co_u32_e32 v12, vcc, s0, v12
	s_mul_i32 s20, s10, 3
	v_addc_co_u32_e32 v11, vcc, v23, v13, vcc
	s_cselect_b32 s17, s13, 0
	s_cselect_b32 s16, s12, 0x10000
	v_add_co_u32_e32 v25, vcc, s20, v0
	s_lshl_b32 s1, s10, 3
	v_addc_co_u32_e64 v26, s[8:9], 0, 0, vcc
	v_add_co_u32_e32 v17, vcc, s1, v14
	v_addc_co_u32_e64 v20, s[8:9], 0, 0, vcc
	v_add_co_u32_e32 v14, vcc, s6, v17
	v_addc_co_u32_e32 v13, vcc, v19, v20, vcc
	v_add_co_u32_e32 v16, vcc, s2, v17
	v_addc_co_u32_e32 v15, vcc, v21, v20, vcc
	v_add_co_u32_e32 v18, vcc, s0, v17
	s_lshl_b32 s11, s10, 1
	v_addc_co_u32_e32 v17, vcc, v23, v20, vcc
	v_add_co_u32_e32 v27, vcc, s11, v0
	v_addc_co_u32_e64 v28, s[8:9], 0, 0, vcc
	v_add_co_u32_e32 v29, vcc, s10, v0
	v_lshlrev_b32_e32 v24, 2, v29
	v_addc_co_u32_e64 v30, s[8:9], 0, 0, vcc
	v_add_co_u32_e32 v20, vcc, s6, v24
	v_addc_co_u32_e32 v19, vcc, 0, v19, vcc
	v_add_co_u32_e32 v22, vcc, s2, v24
	v_addc_co_u32_e32 v21, vcc, 0, v21, vcc
	v_add_co_u32_e32 v24, vcc, s0, v24
	s_mov_b32 s31, 0
	v_cmp_neq_f32_e64 s[18:19], s25, 1.0
	s_lshl_b32 s33, s10, 2
	s_lshl_b32 s34, s10, 4
	v_addc_co_u32_e32 v23, vcc, 0, v23, vcc
	s_mov_b64 s[20:21], 0
	s_branch .LBB105_4
.LBB105_3:                              ;   in Loop: Header=BB105_4 Depth=1
	s_or_b64 exec, exec, s[0:1]
	s_add_u32 s20, s20, s33
	s_addc_u32 s21, s21, 0
	s_waitcnt vmcnt(0)
	v_pk_mov_b32 v[32:33], s[12:13], s[12:13] op_sel:[0,1]
	v_cmp_ge_i64_e32 vcc, s[20:21], v[32:33]
	v_mov_b32_e32 v32, 0xffff
	v_mov_b32_e32 v33, 0
	v_cmp_gt_u64_e64 s[0:1], s[20:21], v[32:33]
	s_or_b64 s[0:1], vcc, s[0:1]
	v_mov_b32_e32 v31, s31
	v_add_co_u32_e32 v2, vcc, s34, v2
	v_addc_co_u32_e32 v1, vcc, v1, v31, vcc
	v_add_co_u32_e32 v4, vcc, s34, v4
	v_addc_co_u32_e32 v3, vcc, v3, v31, vcc
	;; [unrolled: 2-line block ×12, first 2 shown]
	s_and_b64 vcc, exec, s[0:1]
	s_cbranch_vccnz .LBB105_44
.LBB105_4:                              ; =>This Inner Loop Header: Depth=1
	v_mov_b32_e32 v31, s21
	v_add_co_u32_e32 v32, vcc, s20, v0
	v_addc_co_u32_e32 v33, vcc, 0, v31, vcc
	v_cmp_gt_u64_e64 s[0:1], s[16:17], v[32:33]
	v_mov_b32_e32 v32, 0
	v_mov_b32_e32 v33, 0
	s_and_saveexec_b64 s[2:3], s[0:1]
	s_cbranch_execz .LBB105_6
; %bb.5:                                ;   in Loop: Header=BB105_4 Depth=1
	v_mov_b32_e32 v31, s15
	v_add_co_u32_e32 v34, vcc, s14, v2
	v_addc_co_u32_e32 v35, vcc, v1, v31, vcc
	v_add_co_u32_e32 v36, vcc, s14, v4
	v_addc_co_u32_e32 v37, vcc, v3, v31, vcc
	global_load_dword v32, v[34:35], off
	global_load_dword v33, v[36:37], off
.LBB105_6:                              ;   in Loop: Header=BB105_4 Depth=1
	s_or_b64 exec, exec, s[2:3]
	v_mov_b32_e32 v31, 0
	v_mov_b32_e32 v35, 0
	s_and_saveexec_b64 s[2:3], s[0:1]
	s_cbranch_execz .LBB105_8
; %bb.7:                                ;   in Loop: Header=BB105_4 Depth=1
	v_mov_b32_e32 v35, s15
	v_add_co_u32_e32 v34, vcc, s14, v6
	v_addc_co_u32_e32 v35, vcc, v5, v35, vcc
	global_load_dword v35, v[34:35], off
.LBB105_8:                              ;   in Loop: Header=BB105_4 Depth=1
	s_or_b64 exec, exec, s[2:3]
	v_mov_b32_e32 v34, s21
	v_add_co_u32_e32 v36, vcc, s20, v29
	v_addc_co_u32_e32 v37, vcc, v30, v34, vcc
	v_cmp_gt_u64_e64 s[2:3], s[16:17], v[36:37]
	v_mov_b32_e32 v36, 0
	s_and_saveexec_b64 s[6:7], s[2:3]
	s_cbranch_execz .LBB105_10
; %bb.9:                                ;   in Loop: Header=BB105_4 Depth=1
	v_mov_b32_e32 v31, s15
	v_add_co_u32_e32 v38, vcc, s14, v20
	v_addc_co_u32_e32 v39, vcc, v19, v31, vcc
	v_add_co_u32_e32 v40, vcc, s14, v22
	v_addc_co_u32_e32 v41, vcc, v21, v31, vcc
	global_load_dword v31, v[38:39], off
	global_load_dword v36, v[40:41], off
.LBB105_10:                             ;   in Loop: Header=BB105_4 Depth=1
	s_or_b64 exec, exec, s[6:7]
	v_mov_b32_e32 v34, 0
	v_mov_b32_e32 v37, 0
	s_and_saveexec_b64 s[6:7], s[2:3]
	s_cbranch_execz .LBB105_12
; %bb.11:                               ;   in Loop: Header=BB105_4 Depth=1
	v_mov_b32_e32 v37, s15
	v_add_co_u32_e32 v38, vcc, s14, v24
	v_addc_co_u32_e32 v39, vcc, v23, v37, vcc
	global_load_dword v37, v[38:39], off
.LBB105_12:                             ;   in Loop: Header=BB105_4 Depth=1
	s_or_b64 exec, exec, s[6:7]
	v_mov_b32_e32 v39, s21
	v_add_co_u32_e32 v38, vcc, s20, v27
	v_addc_co_u32_e32 v39, vcc, v28, v39, vcc
	v_cmp_gt_u64_e64 s[6:7], s[16:17], v[38:39]
	v_mov_b32_e32 v39, 0
	s_and_saveexec_b64 s[8:9], s[6:7]
	s_cbranch_execz .LBB105_14
; %bb.13:                               ;   in Loop: Header=BB105_4 Depth=1
	v_mov_b32_e32 v34, s15
	v_add_co_u32_e32 v40, vcc, s14, v14
	v_addc_co_u32_e32 v41, vcc, v13, v34, vcc
	v_add_co_u32_e32 v42, vcc, s14, v16
	v_addc_co_u32_e32 v43, vcc, v15, v34, vcc
	global_load_dword v34, v[40:41], off
	global_load_dword v39, v[42:43], off
.LBB105_14:                             ;   in Loop: Header=BB105_4 Depth=1
	s_or_b64 exec, exec, s[8:9]
	v_mov_b32_e32 v38, 0
	v_mov_b32_e32 v40, 0
	s_and_saveexec_b64 s[8:9], s[6:7]
	s_cbranch_execz .LBB105_16
; %bb.15:                               ;   in Loop: Header=BB105_4 Depth=1
	v_mov_b32_e32 v41, s15
	v_add_co_u32_e32 v40, vcc, s14, v18
	v_addc_co_u32_e32 v41, vcc, v17, v41, vcc
	global_load_dword v40, v[40:41], off
.LBB105_16:                             ;   in Loop: Header=BB105_4 Depth=1
	s_or_b64 exec, exec, s[8:9]
	v_mov_b32_e32 v41, s21
	v_add_co_u32_e32 v42, vcc, s20, v25
	v_addc_co_u32_e32 v43, vcc, v26, v41, vcc
	v_cmp_gt_u64_e64 s[8:9], s[16:17], v[42:43]
	v_mov_b32_e32 v41, 0
	s_and_saveexec_b64 s[10:11], s[8:9]
	s_cbranch_execnz .LBB105_34
; %bb.17:                               ;   in Loop: Header=BB105_4 Depth=1
	s_or_b64 exec, exec, s[10:11]
	v_mov_b32_e32 v42, 0
	s_and_saveexec_b64 s[10:11], s[8:9]
	s_cbranch_execnz .LBB105_35
.LBB105_18:                             ;   in Loop: Header=BB105_4 Depth=1
	s_or_b64 exec, exec, s[10:11]
	s_and_b64 vcc, exec, s[18:19]
	s_cbranch_vccz .LBB105_36
.LBB105_19:                             ;   in Loop: Header=BB105_4 Depth=1
	s_waitcnt vmcnt(0)
	v_mul_f32_e32 v43, v33, v35
	v_fma_f32 v43, s25, v43, v32
	s_cbranch_execnz .LBB105_21
.LBB105_20:                             ;   in Loop: Header=BB105_4 Depth=1
	s_waitcnt vmcnt(0)
	v_fmac_f32_e32 v32, v33, v35
	v_mov_b32_e32 v43, v32
.LBB105_21:                             ;   in Loop: Header=BB105_4 Depth=1
	s_waitcnt vmcnt(1)
	v_cndmask_b32_e64 v32, 0, 1, s[18:19]
	v_cmp_ne_u32_e64 s[10:11], 1, v32
	s_andn2_b64 vcc, exec, s[18:19]
	s_cbranch_vccnz .LBB105_41
; %bb.22:                               ;   in Loop: Header=BB105_4 Depth=1
	s_waitcnt vmcnt(0)
	v_mul_f32_e32 v32, v36, v37
	v_fma_f32 v32, s25, v32, v31
	s_cbranch_execnz .LBB105_24
.LBB105_23:                             ;   in Loop: Header=BB105_4 Depth=1
	s_waitcnt vmcnt(0)
	v_fmac_f32_e32 v31, v36, v37
	v_mov_b32_e32 v32, v31
.LBB105_24:                             ;   in Loop: Header=BB105_4 Depth=1
	s_and_b64 vcc, exec, s[10:11]
	s_cbranch_vccnz .LBB105_42
; %bb.25:                               ;   in Loop: Header=BB105_4 Depth=1
	s_waitcnt vmcnt(0)
	v_mul_f32_e32 v31, v39, v40
	v_fma_f32 v31, s25, v31, v34
	s_cbranch_execnz .LBB105_27
.LBB105_26:                             ;   in Loop: Header=BB105_4 Depth=1
	s_waitcnt vmcnt(0)
	v_fmac_f32_e32 v34, v39, v40
	v_mov_b32_e32 v31, v34
.LBB105_27:                             ;   in Loop: Header=BB105_4 Depth=1
	s_and_b64 vcc, exec, s[10:11]
	s_cbranch_vccnz .LBB105_43
; %bb.28:                               ;   in Loop: Header=BB105_4 Depth=1
	s_waitcnt vmcnt(0)
	v_mul_f32_e32 v33, v41, v42
	v_fma_f32 v33, s25, v33, v38
	s_cbranch_execnz .LBB105_30
.LBB105_29:                             ;   in Loop: Header=BB105_4 Depth=1
	s_waitcnt vmcnt(0)
	v_fmac_f32_e32 v38, v41, v42
	v_mov_b32_e32 v33, v38
.LBB105_30:                             ;   in Loop: Header=BB105_4 Depth=1
	s_and_saveexec_b64 s[10:11], s[0:1]
	s_xor_b64 s[0:1], exec, s[10:11]
	s_cbranch_execnz .LBB105_37
; %bb.31:                               ;   in Loop: Header=BB105_4 Depth=1
	s_or_b64 exec, exec, s[0:1]
	s_and_saveexec_b64 s[0:1], s[2:3]
	s_cbranch_execnz .LBB105_38
.LBB105_32:                             ;   in Loop: Header=BB105_4 Depth=1
	s_or_b64 exec, exec, s[0:1]
	s_and_saveexec_b64 s[0:1], s[6:7]
	s_cbranch_execnz .LBB105_39
.LBB105_33:                             ;   in Loop: Header=BB105_4 Depth=1
	s_or_b64 exec, exec, s[0:1]
	s_and_saveexec_b64 s[0:1], s[8:9]
	s_cbranch_execz .LBB105_3
	s_branch .LBB105_40
.LBB105_34:                             ;   in Loop: Header=BB105_4 Depth=1
	v_mov_b32_e32 v38, s15
	v_add_co_u32_e32 v42, vcc, s14, v8
	v_addc_co_u32_e32 v43, vcc, v7, v38, vcc
	v_add_co_u32_e32 v44, vcc, s14, v10
	v_addc_co_u32_e32 v45, vcc, v9, v38, vcc
	global_load_dword v38, v[42:43], off
	global_load_dword v41, v[44:45], off
	s_or_b64 exec, exec, s[10:11]
	v_mov_b32_e32 v42, 0
	s_and_saveexec_b64 s[10:11], s[8:9]
	s_cbranch_execz .LBB105_18
.LBB105_35:                             ;   in Loop: Header=BB105_4 Depth=1
	v_mov_b32_e32 v43, s15
	v_add_co_u32_e32 v42, vcc, s14, v12
	v_addc_co_u32_e32 v43, vcc, v11, v43, vcc
	global_load_dword v42, v[42:43], off
	s_or_b64 exec, exec, s[10:11]
	s_and_b64 vcc, exec, s[18:19]
	s_cbranch_vccnz .LBB105_19
.LBB105_36:                             ;   in Loop: Header=BB105_4 Depth=1
                                        ; implicit-def: $vgpr43
	s_branch .LBB105_20
.LBB105_37:                             ;   in Loop: Header=BB105_4 Depth=1
	s_waitcnt vmcnt(0)
	v_mov_b32_e32 v35, s15
	v_add_co_u32_e32 v34, vcc, s14, v2
	v_addc_co_u32_e32 v35, vcc, v1, v35, vcc
	global_store_dword v[34:35], v43, off
	s_or_b64 exec, exec, s[0:1]
	s_and_saveexec_b64 s[0:1], s[2:3]
	s_cbranch_execz .LBB105_32
.LBB105_38:                             ;   in Loop: Header=BB105_4 Depth=1
	s_waitcnt vmcnt(0)
	v_mov_b32_e32 v35, s15
	v_add_co_u32_e32 v34, vcc, s14, v20
	v_addc_co_u32_e32 v35, vcc, v19, v35, vcc
	global_store_dword v[34:35], v32, off
	s_or_b64 exec, exec, s[0:1]
	s_and_saveexec_b64 s[0:1], s[6:7]
	s_cbranch_execz .LBB105_33
.LBB105_39:                             ;   in Loop: Header=BB105_4 Depth=1
	v_mov_b32_e32 v32, s15
	v_add_co_u32_e32 v34, vcc, s14, v14
	s_waitcnt vmcnt(0)
	v_addc_co_u32_e32 v35, vcc, v13, v32, vcc
	global_store_dword v[34:35], v31, off
	s_or_b64 exec, exec, s[0:1]
	s_and_saveexec_b64 s[0:1], s[8:9]
	s_cbranch_execz .LBB105_3
.LBB105_40:                             ;   in Loop: Header=BB105_4 Depth=1
	v_mov_b32_e32 v31, s15
	v_add_co_u32_e32 v34, vcc, s14, v8
	s_waitcnt vmcnt(0)
	v_addc_co_u32_e32 v35, vcc, v7, v31, vcc
	global_store_dword v[34:35], v33, off
	s_branch .LBB105_3
.LBB105_41:                             ;   in Loop: Header=BB105_4 Depth=1
                                        ; implicit-def: $vgpr32
	s_branch .LBB105_23
.LBB105_42:                             ;   in Loop: Header=BB105_4 Depth=1
                                        ; implicit-def: $vgpr31
	s_branch .LBB105_26
.LBB105_43:                             ;   in Loop: Header=BB105_4 Depth=1
                                        ; implicit-def: $vgpr33
	s_branch .LBB105_29
.LBB105_44:
	s_mov_b64 s[8:9], 0
.LBB105_45:
	s_andn2_b64 vcc, exec, s[8:9]
	s_cbranch_vccnz .LBB105_65
; %bb.46:
	v_mov_b32_e32 v17, 0
	v_lshlrev_b32_e32 v16, 2, v0
	s_mov_b32 s2, 0
	v_cmp_gt_i64_e32 vcc, s[12:13], v[16:17]
	s_and_saveexec_b64 s[0:1], vcc
	s_cbranch_execz .LBB105_65
; %bb.47:
	s_load_dword s0, s[4:5], 0xd14
	s_waitcnt lgkmcnt(0)
	v_cmp_neq_f32_e64 s[6:7], s25, 1.0
	v_lshlrev_b32_e32 v18, 4, v0
	s_mov_b64 s[4:5], 0
	s_mov_b64 s[8:9], 0xffff
	s_and_b32 s0, s0, 0xffff
	v_add_lshl_u32 v16, v0, s0, 2
	v_cndmask_b32_e64 v0, 0, 1, s[6:7]
	s_lshl_b32 s10, s0, 2
	s_lshl_b32 s11, s0, 4
	v_cmp_ne_u32_e64 s[0:1], 1, v0
	v_mov_b32_e32 v19, s2
	s_branch .LBB105_49
.LBB105_48:                             ;   in Loop: Header=BB105_49 Depth=1
	v_cmp_le_i64_e32 vcc, s[12:13], v[16:17]
	v_cmp_lt_u64_e64 s[2:3], s[8:9], v[16:17]
	s_or_b64 s[2:3], vcc, s[2:3]
	s_add_u32 s24, s24, s11
	s_addc_u32 s26, s26, 0
	s_add_u32 s29, s29, s11
	s_addc_u32 s30, s30, 0
	;; [unrolled: 2-line block ×3, first 2 shown]
	s_and_b64 s[2:3], exec, s[2:3]
	v_add_co_u32_e32 v16, vcc, s10, v16
	s_or_b64 s[4:5], s[2:3], s[4:5]
	v_addc_co_u32_e32 v17, vcc, v17, v19, vcc
	global_store_dwordx4 v[20:21], v[12:15], off
	s_andn2_b64 exec, exec, s[4:5]
	s_cbranch_execz .LBB105_65
.LBB105_49:                             ; =>This Inner Loop Header: Depth=1
	s_waitcnt vmcnt(3)
	v_mov_b32_e32 v0, s26
	v_add_co_u32_e32 v20, vcc, s24, v18
	v_addc_co_u32_e32 v21, vcc, 0, v0, vcc
	s_waitcnt vmcnt(2)
	v_mov_b32_e32 v5, s28
	v_add_co_u32_e32 v4, vcc, s27, v18
	v_addc_co_u32_e32 v5, vcc, 0, v5, vcc
	;; [unrolled: 4-line block ×3, first 2 shown]
	global_load_dwordx4 v[0:3], v[20:21], off
	s_and_b64 vcc, exec, s[6:7]
	global_load_dwordx4 v[4:7], v[4:5], off
	s_nop 0
	global_load_dwordx4 v[8:11], v[8:9], off
	s_cbranch_vccz .LBB105_60
; %bb.50:                               ;   in Loop: Header=BB105_49 Depth=1
	s_waitcnt vmcnt(0)
	v_mul_f32_e32 v12, v4, v8
	v_fma_f32 v12, s25, v12, v0
	s_cbranch_execnz .LBB105_52
.LBB105_51:                             ;   in Loop: Header=BB105_49 Depth=1
	s_waitcnt vmcnt(0)
	v_fma_f32 v12, v4, v8, v0
.LBB105_52:                             ;   in Loop: Header=BB105_49 Depth=1
	s_and_b64 vcc, exec, s[0:1]
	s_cbranch_vccnz .LBB105_61
; %bb.53:                               ;   in Loop: Header=BB105_49 Depth=1
	s_waitcnt vmcnt(0)
	v_mul_f32_e32 v0, v5, v9
	v_fma_f32 v13, s25, v0, v1
	s_cbranch_execnz .LBB105_55
.LBB105_54:                             ;   in Loop: Header=BB105_49 Depth=1
	s_waitcnt vmcnt(0)
	v_fma_f32 v13, v5, v9, v1
.LBB105_55:                             ;   in Loop: Header=BB105_49 Depth=1
	s_and_b64 vcc, exec, s[0:1]
	s_cbranch_vccnz .LBB105_62
; %bb.56:                               ;   in Loop: Header=BB105_49 Depth=1
	s_waitcnt vmcnt(0)
	v_mul_f32_e32 v0, v6, v10
	v_fma_f32 v14, s25, v0, v2
	s_cbranch_execnz .LBB105_58
.LBB105_57:                             ;   in Loop: Header=BB105_49 Depth=1
	s_waitcnt vmcnt(0)
	v_fma_f32 v14, v6, v10, v2
.LBB105_58:                             ;   in Loop: Header=BB105_49 Depth=1
	s_and_b64 vcc, exec, s[0:1]
	s_cbranch_vccnz .LBB105_63
; %bb.59:                               ;   in Loop: Header=BB105_49 Depth=1
	s_waitcnt vmcnt(0)
	v_mul_f32_e32 v0, v7, v11
	v_fma_f32 v15, s25, v0, v3
	s_cbranch_execnz .LBB105_48
	s_branch .LBB105_64
.LBB105_60:                             ;   in Loop: Header=BB105_49 Depth=1
                                        ; implicit-def: $vgpr12
	s_branch .LBB105_51
.LBB105_61:                             ;   in Loop: Header=BB105_49 Depth=1
	s_branch .LBB105_54
.LBB105_62:                             ;   in Loop: Header=BB105_49 Depth=1
	s_branch .LBB105_57
.LBB105_63:                             ;   in Loop: Header=BB105_49 Depth=1
.LBB105_64:                             ;   in Loop: Header=BB105_49 Depth=1
	s_waitcnt vmcnt(0)
	v_fmac_f32_e32 v3, v7, v11
	v_mov_b32_e32 v15, v3
	s_branch .LBB105_48
.LBB105_65:
	s_endpgm
	.section	.rodata,"a",@progbits
	.p2align	6, 0x0
	.amdhsa_kernel _ZN2at6native12_GLOBAL__N_125multi_tensor_apply_kernelINS1_28TensorListScalarListMetadataIfLi3EEENS1_28PointwiseOpScalarListFunctorIfLi3ELi3ELi0EEEJSt10multipliesIfEEEEvT_T0_DpT1_
		.amdhsa_group_segment_fixed_size 0
		.amdhsa_private_segment_fixed_size 0
		.amdhsa_kernarg_size 3592
		.amdhsa_user_sgpr_count 6
		.amdhsa_user_sgpr_private_segment_buffer 1
		.amdhsa_user_sgpr_dispatch_ptr 0
		.amdhsa_user_sgpr_queue_ptr 0
		.amdhsa_user_sgpr_kernarg_segment_ptr 1
		.amdhsa_user_sgpr_dispatch_id 0
		.amdhsa_user_sgpr_flat_scratch_init 0
		.amdhsa_user_sgpr_kernarg_preload_length 0
		.amdhsa_user_sgpr_kernarg_preload_offset 0
		.amdhsa_user_sgpr_private_segment_size 0
		.amdhsa_uses_dynamic_stack 0
		.amdhsa_system_sgpr_private_segment_wavefront_offset 0
		.amdhsa_system_sgpr_workgroup_id_x 1
		.amdhsa_system_sgpr_workgroup_id_y 0
		.amdhsa_system_sgpr_workgroup_id_z 0
		.amdhsa_system_sgpr_workgroup_info 0
		.amdhsa_system_vgpr_workitem_id 0
		.amdhsa_next_free_vgpr 46
		.amdhsa_next_free_sgpr 35
		.amdhsa_accum_offset 48
		.amdhsa_reserve_vcc 1
		.amdhsa_reserve_flat_scratch 0
		.amdhsa_float_round_mode_32 0
		.amdhsa_float_round_mode_16_64 0
		.amdhsa_float_denorm_mode_32 3
		.amdhsa_float_denorm_mode_16_64 3
		.amdhsa_dx10_clamp 1
		.amdhsa_ieee_mode 1
		.amdhsa_fp16_overflow 0
		.amdhsa_tg_split 0
		.amdhsa_exception_fp_ieee_invalid_op 0
		.amdhsa_exception_fp_denorm_src 0
		.amdhsa_exception_fp_ieee_div_zero 0
		.amdhsa_exception_fp_ieee_overflow 0
		.amdhsa_exception_fp_ieee_underflow 0
		.amdhsa_exception_fp_ieee_inexact 0
		.amdhsa_exception_int_div_zero 0
	.end_amdhsa_kernel
	.section	.text._ZN2at6native12_GLOBAL__N_125multi_tensor_apply_kernelINS1_28TensorListScalarListMetadataIfLi3EEENS1_28PointwiseOpScalarListFunctorIfLi3ELi3ELi0EEEJSt10multipliesIfEEEEvT_T0_DpT1_,"axG",@progbits,_ZN2at6native12_GLOBAL__N_125multi_tensor_apply_kernelINS1_28TensorListScalarListMetadataIfLi3EEENS1_28PointwiseOpScalarListFunctorIfLi3ELi3ELi0EEEJSt10multipliesIfEEEEvT_T0_DpT1_,comdat
.Lfunc_end105:
	.size	_ZN2at6native12_GLOBAL__N_125multi_tensor_apply_kernelINS1_28TensorListScalarListMetadataIfLi3EEENS1_28PointwiseOpScalarListFunctorIfLi3ELi3ELi0EEEJSt10multipliesIfEEEEvT_T0_DpT1_, .Lfunc_end105-_ZN2at6native12_GLOBAL__N_125multi_tensor_apply_kernelINS1_28TensorListScalarListMetadataIfLi3EEENS1_28PointwiseOpScalarListFunctorIfLi3ELi3ELi0EEEJSt10multipliesIfEEEEvT_T0_DpT1_
                                        ; -- End function
	.section	.AMDGPU.csdata,"",@progbits
; Kernel info:
; codeLenInByte = 1992
; NumSgprs: 39
; NumVgprs: 46
; NumAgprs: 0
; TotalNumVgprs: 46
; ScratchSize: 0
; MemoryBound: 1
; FloatMode: 240
; IeeeMode: 1
; LDSByteSize: 0 bytes/workgroup (compile time only)
; SGPRBlocks: 4
; VGPRBlocks: 5
; NumSGPRsForWavesPerEU: 39
; NumVGPRsForWavesPerEU: 46
; AccumOffset: 48
; Occupancy: 8
; WaveLimiterHint : 0
; COMPUTE_PGM_RSRC2:SCRATCH_EN: 0
; COMPUTE_PGM_RSRC2:USER_SGPR: 6
; COMPUTE_PGM_RSRC2:TRAP_HANDLER: 0
; COMPUTE_PGM_RSRC2:TGID_X_EN: 1
; COMPUTE_PGM_RSRC2:TGID_Y_EN: 0
; COMPUTE_PGM_RSRC2:TGID_Z_EN: 0
; COMPUTE_PGM_RSRC2:TIDIG_COMP_CNT: 0
; COMPUTE_PGM_RSRC3_GFX90A:ACCUM_OFFSET: 11
; COMPUTE_PGM_RSRC3_GFX90A:TG_SPLIT: 0
	.section	.text._ZN2at6native12_GLOBAL__N_125multi_tensor_apply_kernelINS1_28TensorListScalarListMetadataIN3c107complexIdEELi3EEENS1_28PointwiseOpScalarListFunctorIS6_Li3ELi3ELi0EEEJSt10multipliesIS6_EEEEvT_T0_DpT1_,"axG",@progbits,_ZN2at6native12_GLOBAL__N_125multi_tensor_apply_kernelINS1_28TensorListScalarListMetadataIN3c107complexIdEELi3EEENS1_28PointwiseOpScalarListFunctorIS6_Li3ELi3ELi0EEEJSt10multipliesIS6_EEEEvT_T0_DpT1_,comdat
	.globl	_ZN2at6native12_GLOBAL__N_125multi_tensor_apply_kernelINS1_28TensorListScalarListMetadataIN3c107complexIdEELi3EEENS1_28PointwiseOpScalarListFunctorIS6_Li3ELi3ELi0EEEJSt10multipliesIS6_EEEEvT_T0_DpT1_ ; -- Begin function _ZN2at6native12_GLOBAL__N_125multi_tensor_apply_kernelINS1_28TensorListScalarListMetadataIN3c107complexIdEELi3EEENS1_28PointwiseOpScalarListFunctorIS6_Li3ELi3ELi0EEEJSt10multipliesIS6_EEEEvT_T0_DpT1_
	.p2align	8
	.type	_ZN2at6native12_GLOBAL__N_125multi_tensor_apply_kernelINS1_28TensorListScalarListMetadataIN3c107complexIdEELi3EEENS1_28PointwiseOpScalarListFunctorIS6_Li3ELi3ELi0EEEJSt10multipliesIS6_EEEEvT_T0_DpT1_,@function
_ZN2at6native12_GLOBAL__N_125multi_tensor_apply_kernelINS1_28TensorListScalarListMetadataIN3c107complexIdEELi3EEENS1_28PointwiseOpScalarListFunctorIS6_Li3ELi3ELi0EEEJSt10multipliesIS6_EEEEvT_T0_DpT1_: ; @_ZN2at6native12_GLOBAL__N_125multi_tensor_apply_kernelINS1_28TensorListScalarListMetadataIN3c107complexIdEELi3EEENS1_28PointwiseOpScalarListFunctorIS6_Li3ELi3ELi0EEEJSt10multipliesIS6_EEEEvT_T0_DpT1_
; %bb.0:
	v_mov_b32_e32 v1, s6
	global_load_ubyte v1, v1, s[4:5] offset:2304
	s_add_u32 s0, s4, s6
	s_mul_i32 s1, s6, 3
	s_addc_u32 s2, s5, 0
	s_mul_hi_u32 s3, s6, 3
	s_add_u32 s0, s0, s1
	s_addc_u32 s1, s2, s3
	s_load_dword s0, s[0:1], 0xa40
	s_mov_b32 s11, 0
	s_waitcnt lgkmcnt(0)
	s_ashr_i32 s1, s0, 31
	s_waitcnt vmcnt(0)
	v_readfirstlane_b32 s2, v1
	s_lshl_b32 s10, s2, 3
	s_add_u32 s12, s4, s10
	s_load_dwordx2 s[2:3], s[4:5], s10 offset:0x0
	s_load_dwordx2 s[6:7], s[4:5], s10 offset:0x180
	;; [unrolled: 1-line block ×4, first 2 shown]
	s_addc_u32 s13, s5, 0
	s_lshl_b64 s[18:19], s[0:1], 20
	s_waitcnt lgkmcnt(0)
	s_add_u32 s28, s2, s18
	s_addc_u32 s29, s3, s19
	s_add_u32 s30, s6, s18
	s_addc_u32 s31, s7, s19
	s_add_u32 s33, s8, s18
	s_load_dwordx4 s[12:15], s[12:13], s10 offset:0x600
	s_addc_u32 s34, s9, s19
	s_or_b32 s10, s33, s30
	s_and_b32 s24, s28, 63
	s_and_b32 s10, s10, 63
	s_cmp_eq_u32 s10, 0
	s_cselect_b64 s[22:23], -1, 0
	s_lshl_b64 s[0:1], s[0:1], 16
	s_sub_u32 s16, s20, s0
	s_subb_u32 s17, s21, s1
	s_and_b32 s0, s20, 3
	s_or_b32 s10, s24, s0
	s_cmp_eq_u64 s[10:11], 0
	s_cselect_b64 s[0:1], -1, 0
	s_and_b64 s[10:11], s[22:23], s[0:1]
	s_mov_b64 s[0:1], -1
	s_and_b64 vcc, exec, s[10:11]
	s_cbranch_vccnz .LBB106_29
; %bb.1:
	v_cmp_lt_i64_e64 s[0:1], s[16:17], 1
	s_and_b64 vcc, exec, s[0:1]
	s_cbranch_vccnz .LBB106_28
; %bb.2:
	s_load_dword s0, s[4:5], 0xf54
	v_mov_b32_e32 v2, 0x10000
	v_mov_b32_e32 v3, 0
	v_lshlrev_b32_e32 v4, 4, v0
	v_cmp_lt_u64_e32 vcc, s[16:17], v[2:3]
	s_waitcnt lgkmcnt(0)
	s_and_b32 s36, s0, 0xffff
	v_or_b32_e32 v2, 8, v4
	s_and_b64 s[0:1], vcc, exec
	v_mov_b32_e32 v5, s7
	v_add_co_u32_e32 v50, vcc, s6, v2
	v_addc_co_u32_e32 v51, vcc, 0, v5, vcc
	v_mov_b32_e32 v6, s3
	v_add_co_u32_e32 v52, vcc, s2, v2
	v_addc_co_u32_e32 v53, vcc, 0, v6, vcc
	v_add_lshl_u32 v7, v0, s36, 4
	v_mov_b32_e32 v8, s9
	v_add_co_u32_e32 v54, vcc, s8, v7
	v_addc_co_u32_e32 v55, vcc, 0, v8, vcc
	v_add_co_u32_e32 v56, vcc, s8, v2
	v_mov_b32_e32 v1, 0
	v_addc_co_u32_e32 v57, vcc, 0, v8, vcc
	v_cmp_eq_f64_e64 s[0:1], s[12:13], 1.0
	v_cmp_eq_f64_e64 s[10:11], s[14:15], 0
	v_mov_b32_e32 v3, v1
	v_add_co_u32_e32 v58, vcc, s2, v7
	s_cselect_b32 s21, s17, 0
	s_cselect_b32 s20, s16, 0x10000
	s_and_b64 s[0:1], s[0:1], s[10:11]
	v_addc_co_u32_e32 v59, vcc, 0, v6, vcc
	v_mad_u64_u32 v[2:3], s[10:11], s36, 48, v[2:3]
	v_add_co_u32_e32 v60, vcc, s6, v2
	v_addc_co_u32_e32 v61, vcc, v5, v3, vcc
	v_add_co_u32_e32 v62, vcc, s6, v7
	v_addc_co_u32_e32 v63, vcc, 0, v5, vcc
	;; [unrolled: 2-line block ×4, first 2 shown]
	s_lshl_b32 s3, s36, 5
	v_add_co_u32_e32 v2, vcc, s3, v4
	v_addc_co_u32_e64 v3, s[10:11], 0, 0, vcc
	v_add_co_u32_e32 v68, vcc, s8, v2
	v_addc_co_u32_e32 v69, vcc, v8, v3, vcc
	v_or_b32_e32 v2, 8, v2
	v_add_co_u32_e32 v70, vcc, s6, v2
	s_mov_b32 s35, 0
	v_addc_co_u32_e32 v71, vcc, v5, v3, vcc
	s_lshl_b32 s22, s36, 2
	s_mov_b32 s23, s35
	v_add_co_u32_e32 v72, vcc, s2, v2
	s_lshl_b32 s37, s36, 1
	s_mov_b32 s38, s35
	s_mul_i32 s39, s36, 3
	s_mov_b32 s40, s35
	s_lshl_b32 s41, s36, 6
	s_mov_b32 s42, s35
	v_addc_co_u32_e32 v73, vcc, v6, v3, vcc
	v_pk_mov_b32 v[74:75], v[0:1], v[0:1] op_sel:[0,1]
	s_mov_b64 s[24:25], s[22:23]
	s_branch .LBB106_4
.LBB106_3:                              ;   in Loop: Header=BB106_4 Depth=1
	s_or_b64 exec, exec, s[2:3]
	s_waitcnt vmcnt(1)
	v_pk_mov_b32 v[2:3], s[16:17], s[16:17] op_sel:[0,1]
	v_cmp_lt_i64_e32 vcc, s[24:25], v[2:3]
	v_mov_b32_e32 v2, 0x10000
	v_mov_b32_e32 v3, 0
	v_cmp_lt_u64_e64 s[2:3], s[24:25], v[2:3]
	s_and_b64 s[2:3], vcc, s[2:3]
	v_mov_b32_e32 v1, s23
	v_add_co_u32_e32 v74, vcc, s22, v74
	v_addc_co_u32_e32 v75, vcc, v75, v1, vcc
	v_mov_b32_e32 v1, s42
	v_add_co_u32_e32 v50, vcc, s41, v50
	v_addc_co_u32_e32 v51, vcc, v51, v1, vcc
	v_add_co_u32_e32 v52, vcc, s41, v52
	v_addc_co_u32_e32 v53, vcc, v53, v1, vcc
	v_add_co_u32_e32 v54, vcc, s41, v54
	v_addc_co_u32_e32 v55, vcc, v55, v1, vcc
	v_add_co_u32_e32 v56, vcc, s41, v56
	v_addc_co_u32_e32 v57, vcc, v57, v1, vcc
	v_add_co_u32_e32 v58, vcc, s41, v58
	v_addc_co_u32_e32 v59, vcc, v59, v1, vcc
	v_add_co_u32_e32 v60, vcc, s41, v60
	v_addc_co_u32_e32 v61, vcc, v61, v1, vcc
	v_add_co_u32_e32 v62, vcc, s41, v62
	v_addc_co_u32_e32 v63, vcc, v63, v1, vcc
	v_add_co_u32_e32 v64, vcc, s41, v64
	v_addc_co_u32_e32 v65, vcc, v65, v1, vcc
	v_add_co_u32_e32 v66, vcc, s41, v66
	v_addc_co_u32_e32 v67, vcc, v67, v1, vcc
	v_add_co_u32_e32 v68, vcc, s41, v68
	v_addc_co_u32_e32 v69, vcc, v69, v1, vcc
	v_add_co_u32_e32 v70, vcc, s41, v70
	v_addc_co_u32_e32 v71, vcc, v71, v1, vcc
	v_add_co_u32_e32 v72, vcc, s41, v72
	s_add_u32 s24, s24, s22
	v_addc_co_u32_e32 v73, vcc, v73, v1, vcc
	s_addc_u32 s25, s25, 0
	s_and_b64 vcc, exec, s[2:3]
	s_cbranch_vccz .LBB106_28
.LBB106_4:                              ; =>This Inner Loop Header: Depth=1
	s_waitcnt vmcnt(0)
	v_pk_mov_b32 v[8:9], 0, 0
	v_cmp_gt_u64_e32 vcc, s[20:21], v[74:75]
	v_pk_mov_b32 v[12:13], v[8:9], v[8:9] op_sel:[0,1]
	v_pk_mov_b32 v[10:11], v[8:9], v[8:9] op_sel:[0,1]
	;; [unrolled: 1-line block ×4, first 2 shown]
	s_and_saveexec_b64 s[6:7], vcc
	s_cbranch_execz .LBB106_6
; %bb.5:                                ;   in Loop: Header=BB106_4 Depth=1
	v_mov_b32_e32 v1, s19
	v_add_co_u32_e64 v6, s[2:3], s18, v50
	v_addc_co_u32_e64 v7, s[2:3], v51, v1, s[2:3]
	v_add_co_u32_e64 v14, s[2:3], s18, v52
	v_addc_co_u32_e64 v15, s[2:3], v53, v1, s[2:3]
	global_load_dwordx4 v[2:5], v[14:15], off offset:-8
	global_load_dwordx4 v[10:13], v[6:7], off offset:-8
.LBB106_6:                              ;   in Loop: Header=BB106_4 Depth=1
	s_or_b64 exec, exec, s[6:7]
	v_pk_mov_b32 v[6:7], v[8:9], v[8:9] op_sel:[0,1]
	s_and_saveexec_b64 s[6:7], vcc
	s_cbranch_execz .LBB106_8
; %bb.7:                                ;   in Loop: Header=BB106_4 Depth=1
	v_mov_b32_e32 v1, s19
	v_add_co_u32_e64 v6, s[2:3], s18, v56
	v_addc_co_u32_e64 v7, s[2:3], v57, v1, s[2:3]
	global_load_dwordx4 v[6:9], v[6:7], off offset:-8
.LBB106_8:                              ;   in Loop: Header=BB106_4 Depth=1
	s_or_b64 exec, exec, s[6:7]
	v_mov_b32_e32 v1, s35
	v_add_co_u32_e64 v14, s[2:3], s36, v74
	v_addc_co_u32_e64 v15, s[2:3], v1, v75, s[2:3]
	v_pk_mov_b32 v[20:21], 0, 0
	v_cmp_gt_u64_e64 s[2:3], s[20:21], v[14:15]
	v_pk_mov_b32 v[24:25], v[20:21], v[20:21] op_sel:[0,1]
	v_pk_mov_b32 v[22:23], v[20:21], v[20:21] op_sel:[0,1]
	;; [unrolled: 1-line block ×4, first 2 shown]
	s_and_saveexec_b64 s[8:9], s[2:3]
	s_cbranch_execz .LBB106_10
; %bb.9:                                ;   in Loop: Header=BB106_4 Depth=1
	v_mov_b32_e32 v1, s19
	v_add_co_u32_e64 v18, s[6:7], s18, v62
	v_addc_co_u32_e64 v19, s[6:7], v63, v1, s[6:7]
	v_add_co_u32_e64 v26, s[6:7], s18, v58
	v_addc_co_u32_e64 v27, s[6:7], v59, v1, s[6:7]
	global_load_dwordx4 v[14:17], v[26:27], off
	global_load_dwordx4 v[22:25], v[18:19], off
.LBB106_10:                             ;   in Loop: Header=BB106_4 Depth=1
	s_or_b64 exec, exec, s[8:9]
	v_pk_mov_b32 v[18:19], v[20:21], v[20:21] op_sel:[0,1]
	s_and_saveexec_b64 s[8:9], s[2:3]
	s_cbranch_execz .LBB106_12
; %bb.11:                               ;   in Loop: Header=BB106_4 Depth=1
	v_mov_b32_e32 v1, s19
	v_add_co_u32_e64 v18, s[6:7], s18, v54
	v_addc_co_u32_e64 v19, s[6:7], v55, v1, s[6:7]
	global_load_dwordx4 v[18:21], v[18:19], off
.LBB106_12:                             ;   in Loop: Header=BB106_4 Depth=1
	s_or_b64 exec, exec, s[8:9]
	v_mov_b32_e32 v1, s38
	v_add_co_u32_e64 v26, s[6:7], s37, v74
	v_addc_co_u32_e64 v27, s[6:7], v1, v75, s[6:7]
	v_pk_mov_b32 v[32:33], 0, 0
	v_cmp_gt_u64_e64 s[6:7], s[20:21], v[26:27]
	v_pk_mov_b32 v[36:37], v[32:33], v[32:33] op_sel:[0,1]
	v_pk_mov_b32 v[34:35], v[32:33], v[32:33] op_sel:[0,1]
	v_pk_mov_b32 v[28:29], v[32:33], v[32:33] op_sel:[0,1]
	v_pk_mov_b32 v[26:27], v[32:33], v[32:33] op_sel:[0,1]
	s_and_saveexec_b64 s[10:11], s[6:7]
	s_cbranch_execz .LBB106_14
; %bb.13:                               ;   in Loop: Header=BB106_4 Depth=1
	v_mov_b32_e32 v1, s19
	v_add_co_u32_e64 v30, s[8:9], s18, v70
	v_addc_co_u32_e64 v31, s[8:9], v71, v1, s[8:9]
	v_add_co_u32_e64 v38, s[8:9], s18, v72
	v_addc_co_u32_e64 v39, s[8:9], v73, v1, s[8:9]
	global_load_dwordx4 v[26:29], v[38:39], off offset:-8
	global_load_dwordx4 v[34:37], v[30:31], off offset:-8
.LBB106_14:                             ;   in Loop: Header=BB106_4 Depth=1
	s_or_b64 exec, exec, s[10:11]
	v_pk_mov_b32 v[30:31], v[32:33], v[32:33] op_sel:[0,1]
	s_and_saveexec_b64 s[10:11], s[6:7]
	s_cbranch_execz .LBB106_16
; %bb.15:                               ;   in Loop: Header=BB106_4 Depth=1
	v_mov_b32_e32 v1, s19
	v_add_co_u32_e64 v30, s[8:9], s18, v68
	v_addc_co_u32_e64 v31, s[8:9], v69, v1, s[8:9]
	global_load_dwordx4 v[30:33], v[30:31], off
.LBB106_16:                             ;   in Loop: Header=BB106_4 Depth=1
	s_or_b64 exec, exec, s[10:11]
	v_mov_b32_e32 v1, s40
	v_add_co_u32_e64 v38, s[8:9], s39, v74
	v_addc_co_u32_e64 v39, s[8:9], v1, v75, s[8:9]
	v_pk_mov_b32 v[44:45], 0, 0
	v_cmp_gt_u64_e64 s[8:9], s[20:21], v[38:39]
	v_pk_mov_b32 v[48:49], v[44:45], v[44:45] op_sel:[0,1]
	v_pk_mov_b32 v[46:47], v[44:45], v[44:45] op_sel:[0,1]
	;; [unrolled: 1-line block ×4, first 2 shown]
	s_and_saveexec_b64 s[26:27], s[8:9]
	s_cbranch_execnz .LBB106_22
; %bb.17:                               ;   in Loop: Header=BB106_4 Depth=1
	s_or_b64 exec, exec, s[26:27]
	v_pk_mov_b32 v[42:43], v[44:45], v[44:45] op_sel:[0,1]
	s_and_saveexec_b64 s[26:27], s[8:9]
	s_cbranch_execnz .LBB106_23
.LBB106_18:                             ;   in Loop: Header=BB106_4 Depth=1
	s_or_b64 exec, exec, s[26:27]
	s_and_saveexec_b64 s[10:11], vcc
	s_cbranch_execnz .LBB106_24
.LBB106_19:                             ;   in Loop: Header=BB106_4 Depth=1
	s_or_b64 exec, exec, s[10:11]
	s_and_saveexec_b64 s[10:11], s[2:3]
	s_cbranch_execnz .LBB106_25
.LBB106_20:                             ;   in Loop: Header=BB106_4 Depth=1
	s_or_b64 exec, exec, s[10:11]
	s_and_saveexec_b64 s[2:3], s[6:7]
	s_cbranch_execnz .LBB106_26
.LBB106_21:                             ;   in Loop: Header=BB106_4 Depth=1
	s_or_b64 exec, exec, s[2:3]
	s_and_saveexec_b64 s[2:3], s[8:9]
	s_cbranch_execz .LBB106_3
	s_branch .LBB106_27
.LBB106_22:                             ;   in Loop: Header=BB106_4 Depth=1
	v_mov_b32_e32 v1, s19
	v_add_co_u32_e64 v42, s[10:11], s18, v60
	v_addc_co_u32_e64 v43, s[10:11], v61, v1, s[10:11]
	v_add_co_u32_e64 v76, s[10:11], s18, v64
	v_addc_co_u32_e64 v77, s[10:11], v65, v1, s[10:11]
	global_load_dwordx4 v[38:41], v[76:77], off offset:-8
	global_load_dwordx4 v[46:49], v[42:43], off offset:-8
	s_or_b64 exec, exec, s[26:27]
	v_pk_mov_b32 v[42:43], v[44:45], v[44:45] op_sel:[0,1]
	s_and_saveexec_b64 s[26:27], s[8:9]
	s_cbranch_execz .LBB106_18
.LBB106_23:                             ;   in Loop: Header=BB106_4 Depth=1
	v_mov_b32_e32 v1, s19
	v_add_co_u32_e64 v42, s[10:11], s18, v66
	v_addc_co_u32_e64 v43, s[10:11], v67, v1, s[10:11]
	global_load_dwordx4 v[42:45], v[42:43], off offset:-8
	s_or_b64 exec, exec, s[26:27]
	s_and_saveexec_b64 s[10:11], vcc
	s_cbranch_execz .LBB106_19
.LBB106_24:                             ;   in Loop: Header=BB106_4 Depth=1
	s_waitcnt vmcnt(0)
	v_mul_f64 v[76:77], v[12:13], v[8:9]
	v_fma_f64 v[76:77], v[10:11], v[6:7], -v[76:77]
	v_mul_f64 v[6:7], v[12:13], v[6:7]
	v_fmac_f64_e32 v[6:7], v[10:11], v[8:9]
	v_mul_f64 v[8:9], s[14:15], v[6:7]
	v_fma_f64 v[8:9], s[12:13], v[76:77], -v[8:9]
	v_cndmask_b32_e64 v9, v9, v77, s[0:1]
	v_cndmask_b32_e64 v8, v8, v76, s[0:1]
	v_add_f64 v[2:3], v[2:3], v[8:9]
	v_mul_f64 v[8:9], s[14:15], v[76:77]
	v_fmac_f64_e32 v[8:9], s[12:13], v[6:7]
	v_cndmask_b32_e64 v7, v9, v7, s[0:1]
	v_cndmask_b32_e64 v6, v8, v6, s[0:1]
	v_add_f64 v[4:5], v[4:5], v[6:7]
	v_mov_b32_e32 v1, s19
	v_add_co_u32_e32 v6, vcc, s18, v52
	v_addc_co_u32_e32 v7, vcc, v53, v1, vcc
	global_store_dwordx4 v[6:7], v[2:5], off offset:-8
	s_or_b64 exec, exec, s[10:11]
	s_and_saveexec_b64 s[10:11], s[2:3]
	s_cbranch_execz .LBB106_20
.LBB106_25:                             ;   in Loop: Header=BB106_4 Depth=1
	s_waitcnt vmcnt(0)
	v_mul_f64 v[2:3], v[24:25], v[20:21]
	v_mul_f64 v[4:5], v[24:25], v[18:19]
	v_fma_f64 v[2:3], v[22:23], v[18:19], -v[2:3]
	v_fmac_f64_e32 v[4:5], v[22:23], v[20:21]
	v_mul_f64 v[6:7], s[14:15], v[4:5]
	v_mul_f64 v[8:9], s[14:15], v[2:3]
	v_fma_f64 v[6:7], s[12:13], v[2:3], -v[6:7]
	v_fmac_f64_e32 v[8:9], s[12:13], v[4:5]
	v_cndmask_b32_e64 v3, v7, v3, s[0:1]
	v_cndmask_b32_e64 v2, v6, v2, s[0:1]
	;; [unrolled: 1-line block ×4, first 2 shown]
	v_mov_b32_e32 v1, s19
	v_add_co_u32_e32 v6, vcc, s18, v58
	v_add_f64 v[4:5], v[16:17], v[4:5]
	v_add_f64 v[2:3], v[14:15], v[2:3]
	v_addc_co_u32_e32 v7, vcc, v59, v1, vcc
	global_store_dwordx4 v[6:7], v[2:5], off
	s_or_b64 exec, exec, s[10:11]
	s_and_saveexec_b64 s[2:3], s[6:7]
	s_cbranch_execz .LBB106_21
.LBB106_26:                             ;   in Loop: Header=BB106_4 Depth=1
	s_waitcnt vmcnt(0)
	v_mul_f64 v[2:3], v[36:37], v[32:33]
	v_mul_f64 v[4:5], v[36:37], v[30:31]
	v_fma_f64 v[2:3], v[34:35], v[30:31], -v[2:3]
	v_fmac_f64_e32 v[4:5], v[34:35], v[32:33]
	v_mul_f64 v[6:7], s[14:15], v[4:5]
	v_mul_f64 v[8:9], s[14:15], v[2:3]
	v_fma_f64 v[6:7], s[12:13], v[2:3], -v[6:7]
	v_fmac_f64_e32 v[8:9], s[12:13], v[4:5]
	v_cndmask_b32_e64 v3, v7, v3, s[0:1]
	v_cndmask_b32_e64 v2, v6, v2, s[0:1]
	v_cndmask_b32_e64 v5, v9, v5, s[0:1]
	v_cndmask_b32_e64 v4, v8, v4, s[0:1]
	v_mov_b32_e32 v1, s19
	v_add_co_u32_e32 v6, vcc, s18, v72
	v_add_f64 v[4:5], v[28:29], v[4:5]
	v_add_f64 v[2:3], v[26:27], v[2:3]
	v_addc_co_u32_e32 v7, vcc, v73, v1, vcc
	global_store_dwordx4 v[6:7], v[2:5], off offset:-8
	s_or_b64 exec, exec, s[2:3]
	s_and_saveexec_b64 s[2:3], s[8:9]
	s_cbranch_execz .LBB106_3
.LBB106_27:                             ;   in Loop: Header=BB106_4 Depth=1
	s_waitcnt vmcnt(0)
	v_mul_f64 v[2:3], v[48:49], v[44:45]
	v_mul_f64 v[4:5], v[48:49], v[42:43]
	v_fma_f64 v[2:3], v[46:47], v[42:43], -v[2:3]
	v_fmac_f64_e32 v[4:5], v[46:47], v[44:45]
	v_mul_f64 v[6:7], s[14:15], v[4:5]
	v_mul_f64 v[8:9], s[14:15], v[2:3]
	v_fma_f64 v[6:7], s[12:13], v[2:3], -v[6:7]
	v_fmac_f64_e32 v[8:9], s[12:13], v[4:5]
	v_cndmask_b32_e64 v3, v7, v3, s[0:1]
	v_cndmask_b32_e64 v2, v6, v2, s[0:1]
	;; [unrolled: 1-line block ×4, first 2 shown]
	v_mov_b32_e32 v1, s19
	v_add_co_u32_e32 v6, vcc, s18, v64
	v_add_f64 v[4:5], v[40:41], v[4:5]
	v_add_f64 v[2:3], v[38:39], v[2:3]
	v_addc_co_u32_e32 v7, vcc, v65, v1, vcc
	global_store_dwordx4 v[6:7], v[2:5], off offset:-8
	s_branch .LBB106_3
.LBB106_28:
	s_mov_b64 s[0:1], 0
.LBB106_29:
	s_andn2_b64 vcc, exec, s[0:1]
	s_cbranch_vccnz .LBB106_33
; %bb.30:
	v_mov_b32_e32 v3, 0
	v_lshlrev_b32_e32 v2, 2, v0
	s_mov_b32 s0, 0
	v_cmp_gt_i64_e32 vcc, s[16:17], v[2:3]
	s_and_saveexec_b64 s[2:3], vcc
	s_cbranch_execz .LBB106_33
; %bb.31:
	s_load_dword s1, s[4:5], 0xf54
	s_waitcnt lgkmcnt(0)
	v_cmp_eq_f64_e64 s[2:3], s[12:13], 1.0
	v_cmp_eq_f64_e64 s[4:5], s[14:15], 0
	s_mov_b64 s[6:7], 0
	s_and_b64 vcc, s[2:3], s[4:5]
	s_and_b32 s1, s1, 0xffff
	v_add_lshl_u32 v2, v0, s1, 2
	s_lshl_b32 s10, s1, 2
	v_lshlrev_b32_e32 v0, 6, v0
	s_lshl_b32 s11, s1, 6
	s_mov_b64 s[8:9], 0xffff
	v_mov_b32_e32 v1, s0
.LBB106_32:                             ; =>This Inner Loop Header: Depth=1
	s_waitcnt vmcnt(0)
	v_mov_b32_e32 v6, s31
	v_add_co_u32_e64 v54, s[0:1], s30, v0
	v_mov_b32_e32 v7, s34
	v_add_co_u32_e64 v56, s[2:3], s33, v0
	;; [unrolled: 2-line block ×3, first 2 shown]
	v_addc_co_u32_e64 v55, s[0:1], 0, v6, s[0:1]
	v_addc_co_u32_e64 v57, s[0:1], 0, v7, s[2:3]
	;; [unrolled: 1-line block ×3, first 2 shown]
	global_load_dwordx4 v[6:9], v[56:57], off
	global_load_dwordx4 v[10:13], v[54:55], off
	global_load_dwordx4 v[14:17], v[54:55], off offset:16
	global_load_dwordx4 v[18:21], v[56:57], off offset:16
	;; [unrolled: 1-line block ×6, first 2 shown]
	global_load_dwordx4 v[38:41], v[4:5], off
	global_load_dwordx4 v[42:45], v[4:5], off offset:16
	global_load_dwordx4 v[46:49], v[4:5], off offset:32
	;; [unrolled: 1-line block ×3, first 2 shown]
	v_cmp_le_i64_e64 s[0:1], s[16:17], v[2:3]
	v_cmp_lt_u64_e64 s[2:3], s[8:9], v[2:3]
	s_or_b64 s[0:1], s[0:1], s[2:3]
	s_add_u32 s28, s28, s11
	s_addc_u32 s29, s29, 0
	s_add_u32 s33, s33, s11
	s_addc_u32 s34, s34, 0
	;; [unrolled: 2-line block ×3, first 2 shown]
	v_add_co_u32_e64 v2, s[4:5], s10, v2
	s_and_b64 s[0:1], exec, s[0:1]
	v_addc_co_u32_e64 v3, s[4:5], v3, v1, s[4:5]
	s_or_b64 s[6:7], s[0:1], s[6:7]
	s_waitcnt vmcnt(10)
	v_mul_f64 v[54:55], v[12:13], v[8:9]
	v_mul_f64 v[8:9], v[10:11], v[8:9]
	s_waitcnt vmcnt(8)
	v_mul_f64 v[56:57], v[16:17], v[20:21]
	v_mul_f64 v[20:21], v[14:15], v[20:21]
	;; [unrolled: 3-line block ×4, first 2 shown]
	v_fma_f64 v[10:11], v[10:11], v[6:7], -v[54:55]
	v_fmac_f64_e32 v[8:9], v[12:13], v[6:7]
	v_fma_f64 v[6:7], v[14:15], v[18:19], -v[56:57]
	v_fmac_f64_e32 v[20:21], v[16:17], v[18:19]
	;; [unrolled: 2-line block ×4, first 2 shown]
	v_mul_f64 v[16:17], s[14:15], v[8:9]
	v_mul_f64 v[18:19], s[14:15], v[10:11]
	;; [unrolled: 1-line block ×8, first 2 shown]
	v_fma_f64 v[16:17], s[12:13], v[10:11], -v[16:17]
	v_fmac_f64_e32 v[18:19], s[12:13], v[8:9]
	v_fma_f64 v[22:23], s[12:13], v[6:7], -v[22:23]
	v_fmac_f64_e32 v[26:27], s[12:13], v[20:21]
	;; [unrolled: 2-line block ×4, first 2 shown]
	v_cndmask_b32_e32 v11, v17, v11, vcc
	v_cndmask_b32_e32 v10, v16, v10, vcc
	v_cndmask_b32_e32 v9, v19, v9, vcc
	v_cndmask_b32_e32 v8, v18, v8, vcc
	v_cndmask_b32_e32 v17, v23, v7, vcc
	v_cndmask_b32_e32 v16, v22, v6, vcc
	v_cndmask_b32_e32 v19, v27, v21, vcc
	v_cndmask_b32_e32 v18, v26, v20, vcc
	v_cndmask_b32_e32 v21, v29, v13, vcc
	v_cndmask_b32_e32 v20, v28, v12, vcc
	v_cndmask_b32_e32 v23, v31, v25, vcc
	v_cndmask_b32_e32 v22, v30, v24, vcc
	v_cndmask_b32_e32 v25, v33, v15, vcc
	v_cndmask_b32_e32 v24, v32, v14, vcc
	v_cndmask_b32_e32 v27, v35, v37, vcc
	v_cndmask_b32_e32 v26, v34, v36, vcc
	s_waitcnt vmcnt(3)
	v_add_f64 v[8:9], v[40:41], v[8:9]
	v_add_f64 v[6:7], v[38:39], v[10:11]
	s_waitcnt vmcnt(2)
	v_add_f64 v[12:13], v[44:45], v[18:19]
	v_add_f64 v[10:11], v[42:43], v[16:17]
	;; [unrolled: 3-line block ×4, first 2 shown]
	global_store_dwordx4 v[4:5], v[6:9], off
	global_store_dwordx4 v[4:5], v[10:13], off offset:16
	global_store_dwordx4 v[4:5], v[14:17], off offset:32
	;; [unrolled: 1-line block ×3, first 2 shown]
	s_andn2_b64 exec, exec, s[6:7]
	s_cbranch_execnz .LBB106_32
.LBB106_33:
	s_endpgm
	.section	.rodata,"a",@progbits
	.p2align	6, 0x0
	.amdhsa_kernel _ZN2at6native12_GLOBAL__N_125multi_tensor_apply_kernelINS1_28TensorListScalarListMetadataIN3c107complexIdEELi3EEENS1_28PointwiseOpScalarListFunctorIS6_Li3ELi3ELi0EEEJSt10multipliesIS6_EEEEvT_T0_DpT1_
		.amdhsa_group_segment_fixed_size 0
		.amdhsa_private_segment_fixed_size 0
		.amdhsa_kernarg_size 4168
		.amdhsa_user_sgpr_count 6
		.amdhsa_user_sgpr_private_segment_buffer 1
		.amdhsa_user_sgpr_dispatch_ptr 0
		.amdhsa_user_sgpr_queue_ptr 0
		.amdhsa_user_sgpr_kernarg_segment_ptr 1
		.amdhsa_user_sgpr_dispatch_id 0
		.amdhsa_user_sgpr_flat_scratch_init 0
		.amdhsa_user_sgpr_kernarg_preload_length 0
		.amdhsa_user_sgpr_kernarg_preload_offset 0
		.amdhsa_user_sgpr_private_segment_size 0
		.amdhsa_uses_dynamic_stack 0
		.amdhsa_system_sgpr_private_segment_wavefront_offset 0
		.amdhsa_system_sgpr_workgroup_id_x 1
		.amdhsa_system_sgpr_workgroup_id_y 0
		.amdhsa_system_sgpr_workgroup_id_z 0
		.amdhsa_system_sgpr_workgroup_info 0
		.amdhsa_system_vgpr_workitem_id 0
		.amdhsa_next_free_vgpr 78
		.amdhsa_next_free_sgpr 43
		.amdhsa_accum_offset 80
		.amdhsa_reserve_vcc 1
		.amdhsa_reserve_flat_scratch 0
		.amdhsa_float_round_mode_32 0
		.amdhsa_float_round_mode_16_64 0
		.amdhsa_float_denorm_mode_32 3
		.amdhsa_float_denorm_mode_16_64 3
		.amdhsa_dx10_clamp 1
		.amdhsa_ieee_mode 1
		.amdhsa_fp16_overflow 0
		.amdhsa_tg_split 0
		.amdhsa_exception_fp_ieee_invalid_op 0
		.amdhsa_exception_fp_denorm_src 0
		.amdhsa_exception_fp_ieee_div_zero 0
		.amdhsa_exception_fp_ieee_overflow 0
		.amdhsa_exception_fp_ieee_underflow 0
		.amdhsa_exception_fp_ieee_inexact 0
		.amdhsa_exception_int_div_zero 0
	.end_amdhsa_kernel
	.section	.text._ZN2at6native12_GLOBAL__N_125multi_tensor_apply_kernelINS1_28TensorListScalarListMetadataIN3c107complexIdEELi3EEENS1_28PointwiseOpScalarListFunctorIS6_Li3ELi3ELi0EEEJSt10multipliesIS6_EEEEvT_T0_DpT1_,"axG",@progbits,_ZN2at6native12_GLOBAL__N_125multi_tensor_apply_kernelINS1_28TensorListScalarListMetadataIN3c107complexIdEELi3EEENS1_28PointwiseOpScalarListFunctorIS6_Li3ELi3ELi0EEEJSt10multipliesIS6_EEEEvT_T0_DpT1_,comdat
.Lfunc_end106:
	.size	_ZN2at6native12_GLOBAL__N_125multi_tensor_apply_kernelINS1_28TensorListScalarListMetadataIN3c107complexIdEELi3EEENS1_28PointwiseOpScalarListFunctorIS6_Li3ELi3ELi0EEEJSt10multipliesIS6_EEEEvT_T0_DpT1_, .Lfunc_end106-_ZN2at6native12_GLOBAL__N_125multi_tensor_apply_kernelINS1_28TensorListScalarListMetadataIN3c107complexIdEELi3EEENS1_28PointwiseOpScalarListFunctorIS6_Li3ELi3ELi0EEEJSt10multipliesIS6_EEEEvT_T0_DpT1_
                                        ; -- End function
	.section	.AMDGPU.csdata,"",@progbits
; Kernel info:
; codeLenInByte = 2784
; NumSgprs: 47
; NumVgprs: 78
; NumAgprs: 0
; TotalNumVgprs: 78
; ScratchSize: 0
; MemoryBound: 1
; FloatMode: 240
; IeeeMode: 1
; LDSByteSize: 0 bytes/workgroup (compile time only)
; SGPRBlocks: 5
; VGPRBlocks: 9
; NumSGPRsForWavesPerEU: 47
; NumVGPRsForWavesPerEU: 78
; AccumOffset: 80
; Occupancy: 6
; WaveLimiterHint : 0
; COMPUTE_PGM_RSRC2:SCRATCH_EN: 0
; COMPUTE_PGM_RSRC2:USER_SGPR: 6
; COMPUTE_PGM_RSRC2:TRAP_HANDLER: 0
; COMPUTE_PGM_RSRC2:TGID_X_EN: 1
; COMPUTE_PGM_RSRC2:TGID_Y_EN: 0
; COMPUTE_PGM_RSRC2:TGID_Z_EN: 0
; COMPUTE_PGM_RSRC2:TIDIG_COMP_CNT: 0
; COMPUTE_PGM_RSRC3_GFX90A:ACCUM_OFFSET: 19
; COMPUTE_PGM_RSRC3_GFX90A:TG_SPLIT: 0
	.section	.text._ZN2at6native12_GLOBAL__N_125multi_tensor_apply_kernelINS1_28TensorListScalarListMetadataIN3c107complexIfEELi3EEENS1_28PointwiseOpScalarListFunctorIS6_Li3ELi3ELi0EEEJSt10multipliesIS6_EEEEvT_T0_DpT1_,"axG",@progbits,_ZN2at6native12_GLOBAL__N_125multi_tensor_apply_kernelINS1_28TensorListScalarListMetadataIN3c107complexIfEELi3EEENS1_28PointwiseOpScalarListFunctorIS6_Li3ELi3ELi0EEEJSt10multipliesIS6_EEEEvT_T0_DpT1_,comdat
	.globl	_ZN2at6native12_GLOBAL__N_125multi_tensor_apply_kernelINS1_28TensorListScalarListMetadataIN3c107complexIfEELi3EEENS1_28PointwiseOpScalarListFunctorIS6_Li3ELi3ELi0EEEJSt10multipliesIS6_EEEEvT_T0_DpT1_ ; -- Begin function _ZN2at6native12_GLOBAL__N_125multi_tensor_apply_kernelINS1_28TensorListScalarListMetadataIN3c107complexIfEELi3EEENS1_28PointwiseOpScalarListFunctorIS6_Li3ELi3ELi0EEEJSt10multipliesIS6_EEEEvT_T0_DpT1_
	.p2align	8
	.type	_ZN2at6native12_GLOBAL__N_125multi_tensor_apply_kernelINS1_28TensorListScalarListMetadataIN3c107complexIfEELi3EEENS1_28PointwiseOpScalarListFunctorIS6_Li3ELi3ELi0EEEJSt10multipliesIS6_EEEEvT_T0_DpT1_,@function
_ZN2at6native12_GLOBAL__N_125multi_tensor_apply_kernelINS1_28TensorListScalarListMetadataIN3c107complexIfEELi3EEENS1_28PointwiseOpScalarListFunctorIS6_Li3ELi3ELi0EEEJSt10multipliesIS6_EEEEvT_T0_DpT1_: ; @_ZN2at6native12_GLOBAL__N_125multi_tensor_apply_kernelINS1_28TensorListScalarListMetadataIN3c107complexIfEELi3EEENS1_28PointwiseOpScalarListFunctorIS6_Li3ELi3ELi0EEEJSt10multipliesIS6_EEEEvT_T0_DpT1_
; %bb.0:
	v_mov_b32_e32 v1, s6
	global_load_ubyte v1, v1, s[4:5] offset:1920
	s_add_u32 s0, s4, s6
	s_mul_hi_u32 s3, s6, 3
	s_mul_i32 s6, s6, 3
	s_addc_u32 s7, s5, 0
	s_add_u32 s2, s0, s6
	s_addc_u32 s3, s7, s3
	s_load_dword s10, s[2:3], 0x8c0
	s_mov_b32 s1, 0
	s_mov_b32 s19, s1
	s_waitcnt lgkmcnt(0)
	s_ashr_i32 s11, s10, 31
	s_lshl_b64 s[16:17], s[10:11], 19
	s_waitcnt vmcnt(0)
	v_readfirstlane_b32 s0, v1
	s_lshl_b32 s0, s0, 3
	s_load_dwordx2 s[12:13], s[4:5], s0 offset:0x600
	s_load_dwordx2 s[8:9], s[4:5], s0 offset:0x0
	s_load_dwordx2 s[6:7], s[4:5], s0 offset:0x180
	s_load_dwordx2 s[20:21], s[4:5], s0 offset:0x480
	s_load_dwordx2 s[2:3], s[4:5], s0 offset:0x300
	s_waitcnt lgkmcnt(0)
	s_add_u32 s24, s8, s16
	s_addc_u32 s25, s9, s17
	s_add_u32 s26, s6, s16
	s_addc_u32 s27, s7, s17
	;; [unrolled: 2-line block ×3, first 2 shown]
	s_or_b32 s14, s28, s26
	s_and_b32 s0, s24, 31
	s_and_b32 s14, s14, 31
	s_cmp_eq_u32 s14, 0
	s_cselect_b64 s[22:23], -1, 0
	s_lshl_b64 s[10:11], s[10:11], 16
	s_sub_u32 s14, s20, s10
	s_subb_u32 s15, s21, s11
	s_and_b32 s18, s20, 3
	s_or_b64 s[0:1], s[0:1], s[18:19]
	s_cmp_eq_u64 s[0:1], 0
	s_cselect_b64 s[0:1], -1, 0
	s_and_b64 s[10:11], s[22:23], s[0:1]
	s_mov_b64 s[0:1], -1
	s_and_b64 vcc, exec, s[10:11]
	s_cbranch_vccnz .LBB107_29
; %bb.1:
	v_cmp_lt_i64_e64 s[0:1], s[14:15], 1
	s_and_b64 vcc, exec, s[0:1]
	s_cbranch_vccnz .LBB107_28
; %bb.2:
	s_load_dword s0, s[4:5], 0xdd4
	v_mov_b32_e32 v2, 0x10000
	v_mov_b32_e32 v3, 0
	v_cmp_lt_u64_e32 vcc, s[14:15], v[2:3]
	v_lshlrev_b32_e32 v14, 3, v0
	s_waitcnt lgkmcnt(0)
	s_and_b32 s20, s0, 0xffff
	s_and_b64 s[0:1], vcc, exec
	v_mov_b32_e32 v19, s9
	v_add_co_u32_e32 v2, vcc, s8, v14
	v_addc_co_u32_e32 v1, vcc, 0, v19, vcc
	s_cselect_b32 s19, s15, 0
	s_cselect_b32 s18, s14, 0x10000
	s_lshl_b32 s21, s20, 1
	s_and_b32 s10, s13, 0x7fffffff
	v_mov_b32_e32 v21, s7
	v_add_co_u32_e32 v4, vcc, s6, v14
	s_cmp_eq_u32 s10, 0
	v_addc_co_u32_e32 v3, vcc, 0, v21, vcc
	v_mov_b32_e32 v15, 0
	v_cmp_eq_f32_e64 s[0:1], s12, 1.0
	s_cselect_b64 s[10:11], -1, 0
	v_mov_b32_e32 v23, s3
	v_add_co_u32_e32 v6, vcc, s2, v14
	s_and_b64 s[0:1], s[0:1], s[10:11]
	v_addc_co_u32_e32 v5, vcc, 0, v23, vcc
	v_mad_u64_u32 v[12:13], s[10:11], s20, 24, v[14:15]
	v_add_co_u32_e32 v8, vcc, s8, v12
	v_addc_co_u32_e32 v7, vcc, v19, v13, vcc
	v_add_co_u32_e32 v10, vcc, s6, v12
	v_addc_co_u32_e32 v9, vcc, v21, v13, vcc
	v_add_co_u32_e32 v12, vcc, s2, v12
	s_mul_i32 s22, s20, 3
	v_addc_co_u32_e32 v11, vcc, v23, v13, vcc
	v_add_co_u32_e32 v25, vcc, s22, v0
	s_lshl_b32 s3, s20, 4
	v_addc_co_u32_e64 v50, s[10:11], 0, 0, vcc
	v_add_co_u32_e32 v17, vcc, s3, v14
	v_addc_co_u32_e64 v20, s[10:11], 0, 0, vcc
	v_add_co_u32_e32 v14, vcc, s8, v17
	v_addc_co_u32_e32 v13, vcc, v19, v20, vcc
	v_add_co_u32_e32 v16, vcc, s6, v17
	v_addc_co_u32_e32 v15, vcc, v21, v20, vcc
	;; [unrolled: 2-line block ×3, first 2 shown]
	v_add_co_u32_e32 v51, vcc, s21, v0
	v_addc_co_u32_e64 v52, s[10:11], 0, 0, vcc
	v_add_co_u32_e32 v53, vcc, s20, v0
	v_lshlrev_b32_e32 v24, 3, v53
	v_addc_co_u32_e64 v54, s[10:11], 0, 0, vcc
	v_add_co_u32_e32 v20, vcc, s8, v24
	v_addc_co_u32_e32 v19, vcc, 0, v19, vcc
	v_add_co_u32_e32 v22, vcc, s6, v24
	v_addc_co_u32_e32 v21, vcc, 0, v21, vcc
	v_add_co_u32_e32 v24, vcc, s2, v24
	s_mov_b32 s30, 0
	s_lshl_b32 s31, s20, 2
	s_lshl_b32 s33, s20, 5
	v_addc_co_u32_e32 v23, vcc, 0, v23, vcc
	s_mov_b64 s[20:21], 0
	s_branch .LBB107_4
.LBB107_3:                              ;   in Loop: Header=BB107_4 Depth=1
	s_or_b64 exec, exec, s[2:3]
	s_add_u32 s20, s20, s31
	s_addc_u32 s21, s21, 0
	s_waitcnt vmcnt(1)
	v_pk_mov_b32 v[26:27], s[14:15], s[14:15] op_sel:[0,1]
	v_cmp_lt_i64_e32 vcc, s[20:21], v[26:27]
	v_mov_b32_e32 v26, 0x10000
	v_mov_b32_e32 v27, 0
	v_cmp_lt_u64_e64 s[2:3], s[20:21], v[26:27]
	s_and_b64 s[2:3], vcc, s[2:3]
	v_mov_b32_e32 v26, s30
	v_add_co_u32_e32 v2, vcc, s33, v2
	v_addc_co_u32_e32 v1, vcc, v1, v26, vcc
	v_add_co_u32_e32 v4, vcc, s33, v4
	v_addc_co_u32_e32 v3, vcc, v3, v26, vcc
	;; [unrolled: 2-line block ×12, first 2 shown]
	s_and_b64 vcc, exec, s[2:3]
	s_cbranch_vccz .LBB107_28
.LBB107_4:                              ; =>This Inner Loop Header: Depth=1
	v_mov_b32_e32 v27, s21
	v_add_co_u32_e32 v26, vcc, s20, v0
	v_addc_co_u32_e32 v27, vcc, 0, v27, vcc
	v_cmp_gt_u64_e32 vcc, s[18:19], v[26:27]
	s_waitcnt vmcnt(0)
	v_mov_b32_e32 v29, 0
	v_mov_b32_e32 v28, 0
	;; [unrolled: 1-line block ×4, first 2 shown]
	s_and_saveexec_b64 s[6:7], vcc
	s_cbranch_execz .LBB107_6
; %bb.5:                                ;   in Loop: Header=BB107_4 Depth=1
	v_mov_b32_e32 v29, s17
	v_add_co_u32_e64 v26, s[2:3], s16, v2
	v_addc_co_u32_e64 v27, s[2:3], v1, v29, s[2:3]
	v_add_co_u32_e64 v28, s[2:3], s16, v4
	v_addc_co_u32_e64 v29, s[2:3], v3, v29, s[2:3]
	global_load_dwordx2 v[26:27], v[26:27], off
	s_nop 0
	global_load_dwordx2 v[28:29], v[28:29], off
.LBB107_6:                              ;   in Loop: Header=BB107_4 Depth=1
	s_or_b64 exec, exec, s[6:7]
	v_mov_b32_e32 v31, 0
	v_mov_b32_e32 v35, 0
	;; [unrolled: 1-line block ×3, first 2 shown]
	s_and_saveexec_b64 s[6:7], vcc
	s_cbranch_execz .LBB107_8
; %bb.7:                                ;   in Loop: Header=BB107_4 Depth=1
	v_mov_b32_e32 v30, s17
	v_add_co_u32_e64 v32, s[2:3], s16, v6
	v_addc_co_u32_e64 v33, s[2:3], v5, v30, s[2:3]
	global_load_dwordx2 v[34:35], v[32:33], off
.LBB107_8:                              ;   in Loop: Header=BB107_4 Depth=1
	s_or_b64 exec, exec, s[6:7]
	v_mov_b32_e32 v30, s21
	v_add_co_u32_e64 v32, s[2:3], s20, v53
	v_addc_co_u32_e64 v33, s[2:3], v54, v30, s[2:3]
	v_cmp_gt_u64_e64 s[2:3], s[18:19], v[32:33]
	v_mov_b32_e32 v30, 0
	v_mov_b32_e32 v33, 0
	;; [unrolled: 1-line block ×3, first 2 shown]
	s_and_saveexec_b64 s[8:9], s[2:3]
	s_cbranch_execz .LBB107_10
; %bb.9:                                ;   in Loop: Header=BB107_4 Depth=1
	v_mov_b32_e32 v36, s17
	v_add_co_u32_e64 v30, s[6:7], s16, v20
	v_addc_co_u32_e64 v31, s[6:7], v19, v36, s[6:7]
	global_load_dwordx2 v[32:33], v[30:31], off
	v_add_co_u32_e64 v30, s[6:7], s16, v22
	v_addc_co_u32_e64 v31, s[6:7], v21, v36, s[6:7]
	global_load_dwordx2 v[30:31], v[30:31], off
.LBB107_10:                             ;   in Loop: Header=BB107_4 Depth=1
	s_or_b64 exec, exec, s[8:9]
	v_mov_b32_e32 v37, 0
	v_mov_b32_e32 v41, 0
	;; [unrolled: 1-line block ×3, first 2 shown]
	s_and_saveexec_b64 s[8:9], s[2:3]
	s_cbranch_execz .LBB107_12
; %bb.11:                               ;   in Loop: Header=BB107_4 Depth=1
	v_mov_b32_e32 v36, s17
	v_add_co_u32_e64 v38, s[6:7], s16, v24
	v_addc_co_u32_e64 v39, s[6:7], v23, v36, s[6:7]
	global_load_dwordx2 v[40:41], v[38:39], off
.LBB107_12:                             ;   in Loop: Header=BB107_4 Depth=1
	s_or_b64 exec, exec, s[8:9]
	v_mov_b32_e32 v36, s21
	v_add_co_u32_e64 v38, s[6:7], s20, v51
	v_addc_co_u32_e64 v39, s[6:7], v52, v36, s[6:7]
	v_cmp_gt_u64_e64 s[6:7], s[18:19], v[38:39]
	v_mov_b32_e32 v36, 0
	v_mov_b32_e32 v39, 0
	;; [unrolled: 1-line block ×3, first 2 shown]
	s_and_saveexec_b64 s[10:11], s[6:7]
	s_cbranch_execz .LBB107_14
; %bb.13:                               ;   in Loop: Header=BB107_4 Depth=1
	v_mov_b32_e32 v42, s17
	v_add_co_u32_e64 v36, s[8:9], s16, v14
	v_addc_co_u32_e64 v37, s[8:9], v13, v42, s[8:9]
	global_load_dwordx2 v[38:39], v[36:37], off
	v_add_co_u32_e64 v36, s[8:9], s16, v16
	v_addc_co_u32_e64 v37, s[8:9], v15, v42, s[8:9]
	global_load_dwordx2 v[36:37], v[36:37], off
.LBB107_14:                             ;   in Loop: Header=BB107_4 Depth=1
	s_or_b64 exec, exec, s[10:11]
	v_mov_b32_e32 v43, 0
	v_mov_b32_e32 v47, 0
	;; [unrolled: 1-line block ×3, first 2 shown]
	s_and_saveexec_b64 s[10:11], s[6:7]
	s_cbranch_execz .LBB107_16
; %bb.15:                               ;   in Loop: Header=BB107_4 Depth=1
	v_mov_b32_e32 v42, s17
	v_add_co_u32_e64 v44, s[8:9], s16, v18
	v_addc_co_u32_e64 v45, s[8:9], v17, v42, s[8:9]
	global_load_dwordx2 v[46:47], v[44:45], off
.LBB107_16:                             ;   in Loop: Header=BB107_4 Depth=1
	s_or_b64 exec, exec, s[10:11]
	v_mov_b32_e32 v42, s21
	v_add_co_u32_e64 v44, s[8:9], s20, v25
	v_addc_co_u32_e64 v45, s[8:9], v50, v42, s[8:9]
	v_cmp_gt_u64_e64 s[8:9], s[18:19], v[44:45]
	v_mov_b32_e32 v42, 0
	v_mov_b32_e32 v44, 0
	;; [unrolled: 1-line block ×3, first 2 shown]
	s_and_saveexec_b64 s[22:23], s[8:9]
	s_cbranch_execz .LBB107_18
; %bb.17:                               ;   in Loop: Header=BB107_4 Depth=1
	v_mov_b32_e32 v48, s17
	v_add_co_u32_e64 v42, s[10:11], s16, v8
	v_addc_co_u32_e64 v43, s[10:11], v7, v48, s[10:11]
	global_load_dwordx2 v[44:45], v[42:43], off
	v_add_co_u32_e64 v42, s[10:11], s16, v10
	v_addc_co_u32_e64 v43, s[10:11], v9, v48, s[10:11]
	global_load_dwordx2 v[42:43], v[42:43], off
.LBB107_18:                             ;   in Loop: Header=BB107_4 Depth=1
	s_or_b64 exec, exec, s[22:23]
	v_mov_b32_e32 v48, 0
	v_mov_b32_e32 v49, 0
	s_and_saveexec_b64 s[22:23], s[8:9]
	s_cbranch_execnz .LBB107_23
; %bb.19:                               ;   in Loop: Header=BB107_4 Depth=1
	s_or_b64 exec, exec, s[22:23]
	s_and_saveexec_b64 s[10:11], vcc
	s_cbranch_execnz .LBB107_24
.LBB107_20:                             ;   in Loop: Header=BB107_4 Depth=1
	s_or_b64 exec, exec, s[10:11]
	s_and_saveexec_b64 s[10:11], s[2:3]
	s_cbranch_execnz .LBB107_25
.LBB107_21:                             ;   in Loop: Header=BB107_4 Depth=1
	s_or_b64 exec, exec, s[10:11]
	s_and_saveexec_b64 s[2:3], s[6:7]
	s_cbranch_execnz .LBB107_26
.LBB107_22:                             ;   in Loop: Header=BB107_4 Depth=1
	s_or_b64 exec, exec, s[2:3]
	s_and_saveexec_b64 s[2:3], s[8:9]
	s_cbranch_execz .LBB107_3
	s_branch .LBB107_27
.LBB107_23:                             ;   in Loop: Header=BB107_4 Depth=1
	v_mov_b32_e32 v49, s17
	v_add_co_u32_e64 v48, s[10:11], s16, v12
	v_addc_co_u32_e64 v49, s[10:11], v11, v49, s[10:11]
	global_load_dwordx2 v[48:49], v[48:49], off
	s_or_b64 exec, exec, s[22:23]
	s_and_saveexec_b64 s[10:11], vcc
	s_cbranch_execz .LBB107_20
.LBB107_24:                             ;   in Loop: Header=BB107_4 Depth=1
	s_waitcnt vmcnt(0)
	v_mul_f32_e32 v55, v29, v34
	v_mul_f32_e32 v29, v29, v35
	v_fmac_f32_e32 v55, v28, v35
	v_fma_f32 v28, v28, v34, -v29
	v_mul_f32_e32 v29, s13, v28
	v_fmac_f32_e32 v29, s12, v55
	v_cndmask_b32_e64 v29, v29, v55, s[0:1]
	v_add_f32_e32 v27, v27, v29
	v_mul_f32_e32 v29, s13, v55
	v_fma_f32 v29, v28, s12, -v29
	v_cndmask_b32_e64 v28, v29, v28, s[0:1]
	v_add_f32_e32 v26, v26, v28
	v_mov_b32_e32 v29, s17
	v_add_co_u32_e32 v28, vcc, s16, v2
	v_addc_co_u32_e32 v29, vcc, v1, v29, vcc
	global_store_dwordx2 v[28:29], v[26:27], off
	s_or_b64 exec, exec, s[10:11]
	s_and_saveexec_b64 s[10:11], s[2:3]
	s_cbranch_execz .LBB107_21
.LBB107_25:                             ;   in Loop: Header=BB107_4 Depth=1
	s_waitcnt vmcnt(0)
	v_mul_f32_e32 v26, v31, v41
	v_mul_f32_e32 v27, v31, v40
	v_fma_f32 v26, v30, v40, -v26
	v_fmac_f32_e32 v27, v30, v41
	v_mul_f32_e32 v28, s13, v27
	v_mul_f32_e32 v29, s13, v26
	v_fma_f32 v28, v26, s12, -v28
	v_fmac_f32_e32 v29, s12, v27
	v_cndmask_b32_e64 v26, v28, v26, s[0:1]
	v_cndmask_b32_e64 v27, v29, v27, s[0:1]
	v_mov_b32_e32 v29, s17
	v_add_co_u32_e32 v28, vcc, s16, v20
	v_add_f32_e32 v26, v32, v26
	v_add_f32_e32 v27, v33, v27
	v_addc_co_u32_e32 v29, vcc, v19, v29, vcc
	global_store_dwordx2 v[28:29], v[26:27], off
	s_or_b64 exec, exec, s[10:11]
	s_and_saveexec_b64 s[2:3], s[6:7]
	s_cbranch_execz .LBB107_22
.LBB107_26:                             ;   in Loop: Header=BB107_4 Depth=1
	s_waitcnt vmcnt(0)
	v_mul_f32_e32 v26, v37, v47
	v_mul_f32_e32 v27, v37, v46
	v_fma_f32 v26, v36, v46, -v26
	v_fmac_f32_e32 v27, v36, v47
	v_mul_f32_e32 v28, s13, v27
	v_mul_f32_e32 v29, s13, v26
	v_fma_f32 v28, v26, s12, -v28
	v_fmac_f32_e32 v29, s12, v27
	v_cndmask_b32_e64 v26, v28, v26, s[0:1]
	v_cndmask_b32_e64 v27, v29, v27, s[0:1]
	v_mov_b32_e32 v29, s17
	v_add_co_u32_e32 v28, vcc, s16, v14
	v_add_f32_e32 v26, v38, v26
	v_add_f32_e32 v27, v39, v27
	v_addc_co_u32_e32 v29, vcc, v13, v29, vcc
	global_store_dwordx2 v[28:29], v[26:27], off
	s_or_b64 exec, exec, s[2:3]
	s_and_saveexec_b64 s[2:3], s[8:9]
	s_cbranch_execz .LBB107_3
.LBB107_27:                             ;   in Loop: Header=BB107_4 Depth=1
	s_waitcnt vmcnt(0)
	v_mov_b32_e32 v26, v43
	v_pk_mul_f32 v[26:27], v[26:27], v[48:49] op_sel_hi:[0,1]
	v_pk_fma_f32 v[28:29], v[42:43], v[48:49], v[26:27] op_sel:[0,0,1] op_sel_hi:[0,1,0] neg_lo:[0,0,1] neg_hi:[0,0,1]
	v_pk_fma_f32 v[26:27], v[42:43], v[48:49], v[26:27] op_sel:[0,0,1] op_sel_hi:[0,1,0]
	v_pk_mul_f32 v[30:31], v[26:27], s[12:13] op_sel:[1,0]
	v_pk_fma_f32 v[32:33], v[28:29], s[12:13], v[30:31] op_sel:[0,0,1] op_sel_hi:[1,1,0] neg_lo:[0,0,1] neg_hi:[0,0,1]
	v_pk_fma_f32 v[30:31], v[28:29], s[12:13], v[30:31] op_sel:[0,0,1] op_sel_hi:[0,1,0]
	v_cndmask_b32_e64 v27, v31, v27, s[0:1]
	v_cndmask_b32_e64 v26, v32, v28, s[0:1]
	v_mov_b32_e32 v29, s17
	v_add_co_u32_e32 v28, vcc, s16, v8
	v_pk_add_f32 v[26:27], v[44:45], v[26:27]
	v_addc_co_u32_e32 v29, vcc, v7, v29, vcc
	global_store_dwordx2 v[28:29], v[26:27], off
	s_branch .LBB107_3
.LBB107_28:
	s_mov_b64 s[0:1], 0
.LBB107_29:
	s_andn2_b64 vcc, exec, s[0:1]
	s_cbranch_vccnz .LBB107_33
; %bb.30:
	v_mov_b32_e32 v3, 0
	v_lshlrev_b32_e32 v2, 2, v0
	s_mov_b32 s0, 0
	v_cmp_gt_i64_e32 vcc, s[14:15], v[2:3]
	s_and_saveexec_b64 s[2:3], vcc
	s_cbranch_execz .LBB107_33
; %bb.31:
	s_load_dword s1, s[4:5], 0xdd4
	s_and_b32 s4, s13, 0x7fffffff
	s_cmp_eq_u32 s4, 0
	v_cmp_eq_f32_e64 s[2:3], s12, 1.0
	s_cselect_b64 s[4:5], -1, 0
	s_waitcnt lgkmcnt(0)
	s_and_b32 s1, s1, 0xffff
	s_and_b64 vcc, s[2:3], s[4:5]
	v_add_lshl_u32 v2, v0, s1, 2
	s_lshl_b32 s10, s1, 2
	v_lshlrev_b32_e32 v0, 5, v0
	s_lshl_b32 s11, s1, 5
	s_mov_b64 s[6:7], 0
	s_mov_b64 s[8:9], 0xffff
	v_mov_b32_e32 v1, s0
.LBB107_32:                             ; =>This Inner Loop Header: Depth=1
	v_mov_b32_e32 v5, s27
	s_waitcnt vmcnt(0)
	v_add_co_u32_e64 v28, s[0:1], s26, v0
	v_mov_b32_e32 v4, s25
	v_mov_b32_e32 v6, s29
	v_add_co_u32_e64 v30, s[2:3], s28, v0
	v_add_co_u32_e64 v32, s[4:5], s24, v0
	v_addc_co_u32_e64 v29, s[0:1], 0, v5, s[0:1]
	v_addc_co_u32_e64 v33, s[4:5], 0, v4, s[4:5]
	;; [unrolled: 1-line block ×3, first 2 shown]
	global_load_dwordx4 v[4:7], v[28:29], off
	global_load_dwordx4 v[8:11], v[30:31], off
	global_load_dwordx4 v[12:15], v[28:29], off offset:16
	global_load_dwordx4 v[16:19], v[30:31], off offset:16
	global_load_dwordx4 v[20:23], v[32:33], off
	global_load_dwordx4 v[24:27], v[32:33], off offset:16
	v_cmp_le_i64_e64 s[0:1], s[14:15], v[2:3]
	v_cmp_lt_u64_e64 s[2:3], s[8:9], v[2:3]
	s_or_b64 s[0:1], s[0:1], s[2:3]
	s_add_u32 s24, s24, s11
	s_addc_u32 s25, s25, 0
	s_add_u32 s28, s28, s11
	s_addc_u32 s29, s29, 0
	;; [unrolled: 2-line block ×3, first 2 shown]
	v_add_co_u32_e64 v2, s[4:5], s10, v2
	s_and_b64 s[0:1], exec, s[0:1]
	v_addc_co_u32_e64 v3, s[4:5], v3, v1, s[4:5]
	s_or_b64 s[6:7], s[0:1], s[6:7]
	s_waitcnt vmcnt(4)
	v_mul_f32_e32 v28, v5, v9
	v_mul_f32_e32 v9, v4, v9
	;; [unrolled: 1-line block ×4, first 2 shown]
	s_waitcnt vmcnt(2)
	v_mul_f32_e32 v30, v13, v17
	v_mul_f32_e32 v17, v12, v17
	v_mul_f32_e32 v31, v15, v19
	v_mul_f32_e32 v19, v14, v19
	v_fma_f32 v4, v4, v8, -v28
	v_fmac_f32_e32 v9, v5, v8
	v_fma_f32 v5, v6, v10, -v29
	v_fmac_f32_e32 v11, v7, v10
	;; [unrolled: 2-line block ×4, first 2 shown]
	v_mul_f32_e32 v8, s13, v9
	v_mul_f32_e32 v10, s13, v4
	;; [unrolled: 1-line block ×8, first 2 shown]
	v_fma_f32 v8, v4, s12, -v8
	v_fmac_f32_e32 v10, s12, v9
	v_fma_f32 v12, v5, s12, -v12
	v_fmac_f32_e32 v13, s12, v11
	;; [unrolled: 2-line block ×4, first 2 shown]
	v_cndmask_b32_e32 v4, v8, v4, vcc
	v_cndmask_b32_e32 v8, v10, v9, vcc
	;; [unrolled: 1-line block ×8, first 2 shown]
	s_waitcnt vmcnt(1)
	v_add_f32_e32 v4, v20, v4
	v_add_f32_e32 v5, v21, v8
	;; [unrolled: 1-line block ×4, first 2 shown]
	s_waitcnt vmcnt(0)
	v_add_f32_e32 v8, v24, v11
	v_add_f32_e32 v9, v25, v12
	;; [unrolled: 1-line block ×4, first 2 shown]
	global_store_dwordx4 v[32:33], v[4:7], off
	global_store_dwordx4 v[32:33], v[8:11], off offset:16
	s_andn2_b64 exec, exec, s[6:7]
	s_cbranch_execnz .LBB107_32
.LBB107_33:
	s_endpgm
	.section	.rodata,"a",@progbits
	.p2align	6, 0x0
	.amdhsa_kernel _ZN2at6native12_GLOBAL__N_125multi_tensor_apply_kernelINS1_28TensorListScalarListMetadataIN3c107complexIfEELi3EEENS1_28PointwiseOpScalarListFunctorIS6_Li3ELi3ELi0EEEJSt10multipliesIS6_EEEEvT_T0_DpT1_
		.amdhsa_group_segment_fixed_size 0
		.amdhsa_private_segment_fixed_size 0
		.amdhsa_kernarg_size 3784
		.amdhsa_user_sgpr_count 6
		.amdhsa_user_sgpr_private_segment_buffer 1
		.amdhsa_user_sgpr_dispatch_ptr 0
		.amdhsa_user_sgpr_queue_ptr 0
		.amdhsa_user_sgpr_kernarg_segment_ptr 1
		.amdhsa_user_sgpr_dispatch_id 0
		.amdhsa_user_sgpr_flat_scratch_init 0
		.amdhsa_user_sgpr_kernarg_preload_length 0
		.amdhsa_user_sgpr_kernarg_preload_offset 0
		.amdhsa_user_sgpr_private_segment_size 0
		.amdhsa_uses_dynamic_stack 0
		.amdhsa_system_sgpr_private_segment_wavefront_offset 0
		.amdhsa_system_sgpr_workgroup_id_x 1
		.amdhsa_system_sgpr_workgroup_id_y 0
		.amdhsa_system_sgpr_workgroup_id_z 0
		.amdhsa_system_sgpr_workgroup_info 0
		.amdhsa_system_vgpr_workitem_id 0
		.amdhsa_next_free_vgpr 56
		.amdhsa_next_free_sgpr 34
		.amdhsa_accum_offset 56
		.amdhsa_reserve_vcc 1
		.amdhsa_reserve_flat_scratch 0
		.amdhsa_float_round_mode_32 0
		.amdhsa_float_round_mode_16_64 0
		.amdhsa_float_denorm_mode_32 3
		.amdhsa_float_denorm_mode_16_64 3
		.amdhsa_dx10_clamp 1
		.amdhsa_ieee_mode 1
		.amdhsa_fp16_overflow 0
		.amdhsa_tg_split 0
		.amdhsa_exception_fp_ieee_invalid_op 0
		.amdhsa_exception_fp_denorm_src 0
		.amdhsa_exception_fp_ieee_div_zero 0
		.amdhsa_exception_fp_ieee_overflow 0
		.amdhsa_exception_fp_ieee_underflow 0
		.amdhsa_exception_fp_ieee_inexact 0
		.amdhsa_exception_int_div_zero 0
	.end_amdhsa_kernel
	.section	.text._ZN2at6native12_GLOBAL__N_125multi_tensor_apply_kernelINS1_28TensorListScalarListMetadataIN3c107complexIfEELi3EEENS1_28PointwiseOpScalarListFunctorIS6_Li3ELi3ELi0EEEJSt10multipliesIS6_EEEEvT_T0_DpT1_,"axG",@progbits,_ZN2at6native12_GLOBAL__N_125multi_tensor_apply_kernelINS1_28TensorListScalarListMetadataIN3c107complexIfEELi3EEENS1_28PointwiseOpScalarListFunctorIS6_Li3ELi3ELi0EEEJSt10multipliesIS6_EEEEvT_T0_DpT1_,comdat
.Lfunc_end107:
	.size	_ZN2at6native12_GLOBAL__N_125multi_tensor_apply_kernelINS1_28TensorListScalarListMetadataIN3c107complexIfEELi3EEENS1_28PointwiseOpScalarListFunctorIS6_Li3ELi3ELi0EEEJSt10multipliesIS6_EEEEvT_T0_DpT1_, .Lfunc_end107-_ZN2at6native12_GLOBAL__N_125multi_tensor_apply_kernelINS1_28TensorListScalarListMetadataIN3c107complexIfEELi3EEENS1_28PointwiseOpScalarListFunctorIS6_Li3ELi3ELi0EEEJSt10multipliesIS6_EEEEvT_T0_DpT1_
                                        ; -- End function
	.section	.AMDGPU.csdata,"",@progbits
; Kernel info:
; codeLenInByte = 2324
; NumSgprs: 38
; NumVgprs: 56
; NumAgprs: 0
; TotalNumVgprs: 56
; ScratchSize: 0
; MemoryBound: 0
; FloatMode: 240
; IeeeMode: 1
; LDSByteSize: 0 bytes/workgroup (compile time only)
; SGPRBlocks: 4
; VGPRBlocks: 6
; NumSGPRsForWavesPerEU: 38
; NumVGPRsForWavesPerEU: 56
; AccumOffset: 56
; Occupancy: 8
; WaveLimiterHint : 1
; COMPUTE_PGM_RSRC2:SCRATCH_EN: 0
; COMPUTE_PGM_RSRC2:USER_SGPR: 6
; COMPUTE_PGM_RSRC2:TRAP_HANDLER: 0
; COMPUTE_PGM_RSRC2:TGID_X_EN: 1
; COMPUTE_PGM_RSRC2:TGID_Y_EN: 0
; COMPUTE_PGM_RSRC2:TGID_Z_EN: 0
; COMPUTE_PGM_RSRC2:TIDIG_COMP_CNT: 0
; COMPUTE_PGM_RSRC3_GFX90A:ACCUM_OFFSET: 13
; COMPUTE_PGM_RSRC3_GFX90A:TG_SPLIT: 0
	.section	.text._ZN2at6native12_GLOBAL__N_125multi_tensor_apply_kernelINS1_28TensorListScalarListMetadataIfLi3EEENS1_28PointwiseOpScalarListFunctorIN3c104HalfELi3ELi3ELi0EEEJSt10multipliesIfEEEEvT_T0_DpT1_,"axG",@progbits,_ZN2at6native12_GLOBAL__N_125multi_tensor_apply_kernelINS1_28TensorListScalarListMetadataIfLi3EEENS1_28PointwiseOpScalarListFunctorIN3c104HalfELi3ELi3ELi0EEEJSt10multipliesIfEEEEvT_T0_DpT1_,comdat
	.globl	_ZN2at6native12_GLOBAL__N_125multi_tensor_apply_kernelINS1_28TensorListScalarListMetadataIfLi3EEENS1_28PointwiseOpScalarListFunctorIN3c104HalfELi3ELi3ELi0EEEJSt10multipliesIfEEEEvT_T0_DpT1_ ; -- Begin function _ZN2at6native12_GLOBAL__N_125multi_tensor_apply_kernelINS1_28TensorListScalarListMetadataIfLi3EEENS1_28PointwiseOpScalarListFunctorIN3c104HalfELi3ELi3ELi0EEEJSt10multipliesIfEEEEvT_T0_DpT1_
	.p2align	8
	.type	_ZN2at6native12_GLOBAL__N_125multi_tensor_apply_kernelINS1_28TensorListScalarListMetadataIfLi3EEENS1_28PointwiseOpScalarListFunctorIN3c104HalfELi3ELi3ELi0EEEJSt10multipliesIfEEEEvT_T0_DpT1_,@function
_ZN2at6native12_GLOBAL__N_125multi_tensor_apply_kernelINS1_28TensorListScalarListMetadataIfLi3EEENS1_28PointwiseOpScalarListFunctorIN3c104HalfELi3ELi3ELi0EEEJSt10multipliesIfEEEEvT_T0_DpT1_: ; @_ZN2at6native12_GLOBAL__N_125multi_tensor_apply_kernelINS1_28TensorListScalarListMetadataIfLi3EEENS1_28PointwiseOpScalarListFunctorIN3c104HalfELi3ELi3ELi0EEEJSt10multipliesIfEEEEvT_T0_DpT1_
; %bb.0:
	v_mov_b32_e32 v1, s6
	global_load_ubyte v1, v1, s[4:5] offset:1728
	s_add_u32 s0, s4, s6
	s_mul_i32 s1, s6, 3
	s_addc_u32 s2, s5, 0
	s_mul_hi_u32 s3, s6, 3
	s_add_u32 s0, s0, s1
	s_addc_u32 s1, s2, s3
	s_load_dword s8, s[0:1], 0x800
	s_mov_b32 s11, 0
	s_waitcnt lgkmcnt(0)
	s_ashr_i32 s9, s8, 31
	s_waitcnt vmcnt(0)
	v_readfirstlane_b32 s0, v1
	s_lshl_b32 s10, s0, 3
	s_add_u32 s12, s4, s10
	s_load_dwordx2 s[6:7], s[4:5], s10 offset:0x0
	s_load_dwordx2 s[2:3], s[4:5], s10 offset:0x180
	;; [unrolled: 1-line block ×4, first 2 shown]
	s_addc_u32 s10, s5, 0
	s_lshl_b64 s[14:15], s[8:9], 17
	s_waitcnt lgkmcnt(0)
	s_add_u32 s24, s6, s14
	v_lshlrev_b32_e32 v1, 2, v1
	v_mov_b32_e32 v3, s10
	s_addc_u32 s26, s7, s15
	s_and_b32 s10, s24, 7
	v_sub_co_u32_e32 v2, vcc, s12, v1
	s_add_u32 s27, s2, s14
	v_subbrev_co_u32_e32 v1, vcc, 0, v3, vcc
	s_addc_u32 s28, s3, s15
	v_readfirstlane_b32 s12, v2
	v_readfirstlane_b32 s13, v1
	s_add_u32 s29, s0, s14
	s_load_dword s25, s[12:13], 0x600
	s_addc_u32 s30, s1, s15
	s_or_b32 s12, s29, s27
	s_and_b32 s12, s12, 7
	s_cmp_eq_u32 s12, 0
	s_cselect_b64 s[18:19], -1, 0
	s_lshl_b64 s[8:9], s[8:9], 16
	s_sub_u32 s12, s16, s8
	s_subb_u32 s13, s17, s9
	s_and_b32 s8, s16, 3
	s_or_b32 s10, s10, s8
	s_cmp_eq_u64 s[10:11], 0
	s_cselect_b64 s[8:9], -1, 0
	s_and_b64 s[10:11], s[18:19], s[8:9]
	s_mov_b64 s[8:9], -1
	s_and_b64 vcc, exec, s[10:11]
	s_cbranch_vccnz .LBB108_45
; %bb.1:
	v_cmp_lt_i64_e64 s[8:9], s[12:13], 1
	s_and_b64 vcc, exec, s[8:9]
	s_cbranch_vccnz .LBB108_44
; %bb.2:
	s_load_dword s8, s[4:5], 0xd14
	v_mov_b32_e32 v2, 0x10000
	v_mov_b32_e32 v3, 0
	v_cmp_lt_u64_e32 vcc, s[12:13], v[2:3]
	v_lshlrev_b32_e32 v14, 1, v0
	s_waitcnt lgkmcnt(0)
	s_and_b32 s10, s8, 0xffff
	s_and_b64 s[8:9], vcc, exec
	v_mov_b32_e32 v19, s7
	v_add_co_u32_e32 v2, vcc, s6, v14
	v_addc_co_u32_e32 v1, vcc, 0, v19, vcc
	v_mov_b32_e32 v21, s3
	v_add_co_u32_e32 v4, vcc, s2, v14
	v_addc_co_u32_e32 v3, vcc, 0, v21, vcc
	v_mov_b32_e32 v15, 0
	v_mov_b32_e32 v23, s1
	v_add_co_u32_e32 v6, vcc, s0, v14
	v_addc_co_u32_e32 v5, vcc, 0, v23, vcc
	v_mad_u64_u32 v[12:13], s[8:9], s10, 6, v[14:15]
	v_add_co_u32_e32 v8, vcc, s6, v12
	v_addc_co_u32_e32 v7, vcc, v19, v13, vcc
	v_add_co_u32_e32 v10, vcc, s2, v12
	v_addc_co_u32_e32 v9, vcc, v21, v13, vcc
	v_add_co_u32_e32 v12, vcc, s0, v12
	s_mul_i32 s20, s10, 3
	v_addc_co_u32_e32 v11, vcc, v23, v13, vcc
	s_cselect_b32 s17, s13, 0
	s_cselect_b32 s16, s12, 0x10000
	s_lshl_b32 s33, s10, 2
	v_add_co_u32_e32 v25, vcc, s20, v0
	v_addc_co_u32_e64 v26, s[8:9], 0, 0, vcc
	v_add_co_u32_e32 v17, vcc, s33, v14
	v_addc_co_u32_e64 v20, s[8:9], 0, 0, vcc
	v_add_co_u32_e32 v14, vcc, s6, v17
	v_addc_co_u32_e32 v13, vcc, v19, v20, vcc
	v_add_co_u32_e32 v16, vcc, s2, v17
	v_addc_co_u32_e32 v15, vcc, v21, v20, vcc
	v_add_co_u32_e32 v18, vcc, s0, v17
	s_lshl_b32 s11, s10, 1
	v_addc_co_u32_e32 v17, vcc, v23, v20, vcc
	v_add_co_u32_e32 v27, vcc, s11, v0
	v_addc_co_u32_e64 v28, s[8:9], 0, 0, vcc
	v_add_co_u32_e32 v29, vcc, s10, v0
	v_lshlrev_b32_e32 v24, 1, v29
	v_addc_co_u32_e64 v30, s[8:9], 0, 0, vcc
	v_add_co_u32_e32 v20, vcc, s6, v24
	v_addc_co_u32_e32 v19, vcc, 0, v19, vcc
	v_add_co_u32_e32 v22, vcc, s2, v24
	v_addc_co_u32_e32 v21, vcc, 0, v21, vcc
	v_add_co_u32_e32 v24, vcc, s0, v24
	s_mov_b32 s31, 0
	v_cmp_neq_f32_e64 s[18:19], s25, 1.0
	s_lshl_b32 s34, s10, 3
	v_addc_co_u32_e32 v23, vcc, 0, v23, vcc
	s_mov_b64 s[20:21], 0
	s_branch .LBB108_4
.LBB108_3:                              ;   in Loop: Header=BB108_4 Depth=1
	s_or_b64 exec, exec, s[0:1]
	s_add_u32 s20, s20, s33
	s_addc_u32 s21, s21, 0
	v_pk_mov_b32 v[32:33], s[12:13], s[12:13] op_sel:[0,1]
	v_cmp_ge_i64_e32 vcc, s[20:21], v[32:33]
	v_mov_b32_e32 v32, 0xffff
	v_mov_b32_e32 v33, 0
	v_cmp_gt_u64_e64 s[0:1], s[20:21], v[32:33]
	s_or_b64 s[0:1], vcc, s[0:1]
	v_mov_b32_e32 v31, s31
	v_add_co_u32_e32 v2, vcc, s34, v2
	v_addc_co_u32_e32 v1, vcc, v1, v31, vcc
	v_add_co_u32_e32 v4, vcc, s34, v4
	v_addc_co_u32_e32 v3, vcc, v3, v31, vcc
	;; [unrolled: 2-line block ×12, first 2 shown]
	s_and_b64 vcc, exec, s[0:1]
	s_cbranch_vccnz .LBB108_44
.LBB108_4:                              ; =>This Inner Loop Header: Depth=1
	v_mov_b32_e32 v31, s21
	v_add_co_u32_e32 v32, vcc, s20, v0
	v_addc_co_u32_e32 v33, vcc, 0, v31, vcc
	v_cmp_gt_u64_e64 s[0:1], s[16:17], v[32:33]
	v_mov_b32_e32 v32, 0
	v_mov_b32_e32 v33, 0
	s_and_saveexec_b64 s[2:3], s[0:1]
	s_cbranch_execz .LBB108_6
; %bb.5:                                ;   in Loop: Header=BB108_4 Depth=1
	v_mov_b32_e32 v31, s15
	v_add_co_u32_e32 v34, vcc, s14, v2
	v_addc_co_u32_e32 v35, vcc, v1, v31, vcc
	v_add_co_u32_e32 v36, vcc, s14, v4
	v_addc_co_u32_e32 v37, vcc, v3, v31, vcc
	global_load_ushort v32, v[34:35], off
	global_load_ushort v33, v[36:37], off
.LBB108_6:                              ;   in Loop: Header=BB108_4 Depth=1
	s_or_b64 exec, exec, s[2:3]
	v_mov_b32_e32 v31, 0
	v_mov_b32_e32 v36, 0
	s_and_saveexec_b64 s[2:3], s[0:1]
	s_cbranch_execz .LBB108_8
; %bb.7:                                ;   in Loop: Header=BB108_4 Depth=1
	v_mov_b32_e32 v35, s15
	v_add_co_u32_e32 v34, vcc, s14, v6
	v_addc_co_u32_e32 v35, vcc, v5, v35, vcc
	global_load_ushort v36, v[34:35], off
.LBB108_8:                              ;   in Loop: Header=BB108_4 Depth=1
	s_or_b64 exec, exec, s[2:3]
	v_mov_b32_e32 v35, s21
	v_add_co_u32_e32 v34, vcc, s20, v29
	v_addc_co_u32_e32 v35, vcc, v30, v35, vcc
	v_cmp_gt_u64_e64 s[2:3], s[16:17], v[34:35]
	v_mov_b32_e32 v35, 0
	s_and_saveexec_b64 s[6:7], s[2:3]
	s_cbranch_execz .LBB108_10
; %bb.9:                                ;   in Loop: Header=BB108_4 Depth=1
	v_mov_b32_e32 v31, s15
	v_add_co_u32_e32 v38, vcc, s14, v20
	v_addc_co_u32_e32 v39, vcc, v19, v31, vcc
	v_add_co_u32_e32 v40, vcc, s14, v22
	v_addc_co_u32_e32 v41, vcc, v21, v31, vcc
	global_load_ushort v31, v[38:39], off
	global_load_ushort v35, v[40:41], off
.LBB108_10:                             ;   in Loop: Header=BB108_4 Depth=1
	s_or_b64 exec, exec, s[6:7]
	v_mov_b32_e32 v34, 0
	v_mov_b32_e32 v39, 0
	s_and_saveexec_b64 s[6:7], s[2:3]
	s_cbranch_execz .LBB108_12
; %bb.11:                               ;   in Loop: Header=BB108_4 Depth=1
	v_mov_b32_e32 v37, s15
	v_add_co_u32_e32 v38, vcc, s14, v24
	v_addc_co_u32_e32 v39, vcc, v23, v37, vcc
	global_load_ushort v39, v[38:39], off
.LBB108_12:                             ;   in Loop: Header=BB108_4 Depth=1
	s_or_b64 exec, exec, s[6:7]
	v_mov_b32_e32 v37, s21
	v_add_co_u32_e32 v40, vcc, s20, v27
	v_addc_co_u32_e32 v41, vcc, v28, v37, vcc
	v_cmp_gt_u64_e64 s[6:7], s[16:17], v[40:41]
	v_mov_b32_e32 v38, 0
	s_and_saveexec_b64 s[8:9], s[6:7]
	s_cbranch_execz .LBB108_14
; %bb.13:                               ;   in Loop: Header=BB108_4 Depth=1
	v_mov_b32_e32 v34, s15
	v_add_co_u32_e32 v40, vcc, s14, v14
	v_addc_co_u32_e32 v41, vcc, v13, v34, vcc
	v_add_co_u32_e32 v42, vcc, s14, v16
	v_addc_co_u32_e32 v43, vcc, v15, v34, vcc
	global_load_ushort v34, v[40:41], off
	global_load_ushort v38, v[42:43], off
.LBB108_14:                             ;   in Loop: Header=BB108_4 Depth=1
	s_or_b64 exec, exec, s[8:9]
	v_mov_b32_e32 v37, 0
	v_mov_b32_e32 v40, 0
	s_and_saveexec_b64 s[8:9], s[6:7]
	s_cbranch_execz .LBB108_16
; %bb.15:                               ;   in Loop: Header=BB108_4 Depth=1
	v_mov_b32_e32 v41, s15
	v_add_co_u32_e32 v40, vcc, s14, v18
	v_addc_co_u32_e32 v41, vcc, v17, v41, vcc
	global_load_ushort v40, v[40:41], off
.LBB108_16:                             ;   in Loop: Header=BB108_4 Depth=1
	s_or_b64 exec, exec, s[8:9]
	v_mov_b32_e32 v41, s21
	v_add_co_u32_e32 v42, vcc, s20, v25
	v_addc_co_u32_e32 v43, vcc, v26, v41, vcc
	v_cmp_gt_u64_e64 s[8:9], s[16:17], v[42:43]
	v_mov_b32_e32 v41, 0
	s_and_saveexec_b64 s[10:11], s[8:9]
	s_cbranch_execz .LBB108_18
; %bb.17:                               ;   in Loop: Header=BB108_4 Depth=1
	v_mov_b32_e32 v37, s15
	v_add_co_u32_e32 v42, vcc, s14, v8
	v_addc_co_u32_e32 v43, vcc, v7, v37, vcc
	v_add_co_u32_e32 v44, vcc, s14, v10
	v_addc_co_u32_e32 v45, vcc, v9, v37, vcc
	global_load_ushort v37, v[42:43], off
	global_load_ushort v41, v[44:45], off
.LBB108_18:                             ;   in Loop: Header=BB108_4 Depth=1
	s_or_b64 exec, exec, s[10:11]
	v_mov_b32_e32 v42, 0
	s_and_saveexec_b64 s[10:11], s[8:9]
	s_cbranch_execz .LBB108_20
; %bb.19:                               ;   in Loop: Header=BB108_4 Depth=1
	v_mov_b32_e32 v43, s15
	v_add_co_u32_e32 v42, vcc, s14, v12
	v_addc_co_u32_e32 v43, vcc, v11, v43, vcc
	global_load_ushort v42, v[42:43], off
.LBB108_20:                             ;   in Loop: Header=BB108_4 Depth=1
	s_or_b64 exec, exec, s[10:11]
	s_waitcnt vmcnt(1)
	v_cvt_f32_f16_e32 v43, v32
	s_waitcnt vmcnt(0)
	v_cvt_f32_f16_e32 v33, v33
	v_cvt_f32_f16_e32 v36, v36
	s_and_b64 vcc, exec, s[18:19]
	s_cbranch_vccz .LBB108_40
; %bb.21:                               ;   in Loop: Header=BB108_4 Depth=1
	v_mul_f32_e32 v32, v33, v36
	v_fma_f32 v32, s25, v32, v43
	s_cbranch_execnz .LBB108_23
.LBB108_22:                             ;   in Loop: Header=BB108_4 Depth=1
	v_fmac_f32_e32 v43, v33, v36
	v_mov_b32_e32 v32, v43
.LBB108_23:                             ;   in Loop: Header=BB108_4 Depth=1
	v_cvt_f32_f16_e32 v33, v31
	v_cvt_f32_f16_e32 v35, v35
	;; [unrolled: 1-line block ×3, first 2 shown]
	v_cndmask_b32_e64 v31, 0, 1, s[18:19]
	v_cmp_ne_u32_e64 s[10:11], 1, v31
	s_andn2_b64 vcc, exec, s[18:19]
	s_cbranch_vccnz .LBB108_41
; %bb.24:                               ;   in Loop: Header=BB108_4 Depth=1
	v_mul_f32_e32 v31, v35, v36
	v_fma_f32 v31, s25, v31, v33
	s_cbranch_execnz .LBB108_26
.LBB108_25:                             ;   in Loop: Header=BB108_4 Depth=1
	v_fmac_f32_e32 v33, v35, v36
	v_mov_b32_e32 v31, v33
.LBB108_26:                             ;   in Loop: Header=BB108_4 Depth=1
	v_cvt_f32_f16_e32 v34, v34
	v_cvt_f32_f16_e32 v35, v38
	;; [unrolled: 1-line block ×3, first 2 shown]
	s_and_b64 vcc, exec, s[10:11]
	s_cbranch_vccnz .LBB108_42
; %bb.27:                               ;   in Loop: Header=BB108_4 Depth=1
	v_mul_f32_e32 v33, v35, v36
	v_fma_f32 v33, s25, v33, v34
	s_cbranch_execnz .LBB108_29
.LBB108_28:                             ;   in Loop: Header=BB108_4 Depth=1
	v_fmac_f32_e32 v34, v35, v36
	v_mov_b32_e32 v33, v34
.LBB108_29:                             ;   in Loop: Header=BB108_4 Depth=1
	v_cvt_f32_f16_e32 v35, v37
	v_cvt_f32_f16_e32 v36, v41
	;; [unrolled: 1-line block ×3, first 2 shown]
	s_and_b64 vcc, exec, s[10:11]
	s_cbranch_vccnz .LBB108_43
; %bb.30:                               ;   in Loop: Header=BB108_4 Depth=1
	v_mul_f32_e32 v34, v36, v37
	v_fma_f32 v34, s25, v34, v35
	s_cbranch_execnz .LBB108_32
.LBB108_31:                             ;   in Loop: Header=BB108_4 Depth=1
	v_fmac_f32_e32 v35, v36, v37
	v_mov_b32_e32 v34, v35
.LBB108_32:                             ;   in Loop: Header=BB108_4 Depth=1
	s_and_saveexec_b64 s[10:11], s[0:1]
	s_xor_b64 s[0:1], exec, s[10:11]
	s_cbranch_execnz .LBB108_36
; %bb.33:                               ;   in Loop: Header=BB108_4 Depth=1
	s_or_b64 exec, exec, s[0:1]
	s_and_saveexec_b64 s[0:1], s[2:3]
	s_cbranch_execnz .LBB108_37
.LBB108_34:                             ;   in Loop: Header=BB108_4 Depth=1
	s_or_b64 exec, exec, s[0:1]
	s_and_saveexec_b64 s[0:1], s[6:7]
	s_cbranch_execnz .LBB108_38
.LBB108_35:                             ;   in Loop: Header=BB108_4 Depth=1
	s_or_b64 exec, exec, s[0:1]
	s_and_saveexec_b64 s[0:1], s[8:9]
	s_cbranch_execz .LBB108_3
	s_branch .LBB108_39
.LBB108_36:                             ;   in Loop: Header=BB108_4 Depth=1
	v_cvt_f16_f32_e32 v32, v32
	v_mov_b32_e32 v35, s15
	v_add_co_u32_e32 v36, vcc, s14, v2
	v_addc_co_u32_e32 v37, vcc, v1, v35, vcc
	global_store_short v[36:37], v32, off
	s_or_b64 exec, exec, s[0:1]
	s_and_saveexec_b64 s[0:1], s[2:3]
	s_cbranch_execz .LBB108_34
.LBB108_37:                             ;   in Loop: Header=BB108_4 Depth=1
	v_cvt_f16_f32_e32 v31, v31
	v_mov_b32_e32 v32, s15
	v_add_co_u32_e32 v36, vcc, s14, v20
	v_addc_co_u32_e32 v37, vcc, v19, v32, vcc
	global_store_short v[36:37], v31, off
	s_or_b64 exec, exec, s[0:1]
	s_and_saveexec_b64 s[0:1], s[6:7]
	s_cbranch_execz .LBB108_35
.LBB108_38:                             ;   in Loop: Header=BB108_4 Depth=1
	v_cvt_f16_f32_e32 v31, v33
	v_mov_b32_e32 v33, s15
	v_add_co_u32_e32 v32, vcc, s14, v14
	v_addc_co_u32_e32 v33, vcc, v13, v33, vcc
	global_store_short v[32:33], v31, off
	s_or_b64 exec, exec, s[0:1]
	s_and_saveexec_b64 s[0:1], s[8:9]
	s_cbranch_execz .LBB108_3
.LBB108_39:                             ;   in Loop: Header=BB108_4 Depth=1
	v_cvt_f16_f32_e32 v31, v34
	v_mov_b32_e32 v33, s15
	v_add_co_u32_e32 v32, vcc, s14, v8
	v_addc_co_u32_e32 v33, vcc, v7, v33, vcc
	global_store_short v[32:33], v31, off
	s_branch .LBB108_3
.LBB108_40:                             ;   in Loop: Header=BB108_4 Depth=1
                                        ; implicit-def: $vgpr32
	s_branch .LBB108_22
.LBB108_41:                             ;   in Loop: Header=BB108_4 Depth=1
                                        ; implicit-def: $vgpr31
	s_branch .LBB108_25
.LBB108_42:                             ;   in Loop: Header=BB108_4 Depth=1
                                        ; implicit-def: $vgpr33
	s_branch .LBB108_28
.LBB108_43:                             ;   in Loop: Header=BB108_4 Depth=1
                                        ; implicit-def: $vgpr34
	s_branch .LBB108_31
.LBB108_44:
	s_mov_b64 s[8:9], 0
.LBB108_45:
	s_andn2_b64 vcc, exec, s[8:9]
	s_cbranch_vccnz .LBB108_65
; %bb.46:
	v_mov_b32_e32 v3, 0
	v_lshlrev_b32_e32 v2, 2, v0
	s_mov_b32 s2, 0
	v_cmp_gt_i64_e32 vcc, s[12:13], v[2:3]
	s_and_saveexec_b64 s[0:1], vcc
	s_cbranch_execz .LBB108_65
; %bb.47:
	s_load_dword s0, s[4:5], 0xd14
	s_waitcnt lgkmcnt(0)
	v_cmp_neq_f32_e64 s[6:7], s25, 1.0
	v_lshlrev_b32_e32 v4, 3, v0
	s_mov_b64 s[4:5], 0
	s_mov_b64 s[8:9], 0xffff
	s_and_b32 s0, s0, 0xffff
	v_add_lshl_u32 v2, v0, s0, 2
	v_cndmask_b32_e64 v0, 0, 1, s[6:7]
	s_lshl_b32 s10, s0, 3
	s_lshl_b32 s11, s0, 2
	v_cmp_ne_u32_e64 s[0:1], 1, v0
	v_mov_b32_e32 v5, s2
	s_branch .LBB108_49
.LBB108_48:                             ;   in Loop: Header=BB108_49 Depth=1
	v_cmp_le_i64_e32 vcc, s[12:13], v[2:3]
	v_cmp_lt_u64_e64 s[2:3], s[8:9], v[2:3]
	s_or_b64 s[2:3], vcc, s[2:3]
	s_add_u32 s24, s24, s10
	s_addc_u32 s26, s26, 0
	s_add_u32 s27, s27, s10
	v_cvt_f16_f32_e32 v7, v8
	v_cvt_f16_f32_e32 v6, v6
	;; [unrolled: 1-line block ×4, first 2 shown]
	s_addc_u32 s28, s28, 0
	s_add_u32 s29, s29, s10
	s_addc_u32 s30, s30, 0
	s_and_b64 s[2:3], exec, s[2:3]
	v_add_co_u32_e32 v2, vcc, s11, v2
	v_pack_b32_f16 v7, v7, v8
	v_pack_b32_f16 v6, v9, v6
	s_or_b64 s[4:5], s[2:3], s[4:5]
	v_addc_co_u32_e32 v3, vcc, v3, v5, vcc
	global_store_dwordx2 v[0:1], v[6:7], off
	s_andn2_b64 exec, exec, s[4:5]
	s_cbranch_execz .LBB108_65
.LBB108_49:                             ; =>This Inner Loop Header: Depth=1
	v_mov_b32_e32 v1, s26
	v_add_co_u32_e32 v0, vcc, s24, v4
	v_addc_co_u32_e32 v1, vcc, 0, v1, vcc
	v_mov_b32_e32 v9, s28
	v_add_co_u32_e32 v8, vcc, s27, v4
	v_addc_co_u32_e32 v9, vcc, 0, v9, vcc
	;; [unrolled: 3-line block ×3, first 2 shown]
	global_load_dwordx2 v[6:7], v[0:1], off
	s_and_b64 vcc, exec, s[6:7]
	global_load_dwordx2 v[8:9], v[8:9], off
	s_waitcnt vmcnt(1)
	v_cvt_f32_f16_e32 v13, v6
	global_load_dwordx2 v[10:11], v[10:11], off
	s_waitcnt vmcnt(1)
	v_cvt_f32_f16_e32 v14, v8
	s_waitcnt vmcnt(0)
	v_cvt_f32_f16_e32 v15, v10
	s_cbranch_vccz .LBB108_60
; %bb.50:                               ;   in Loop: Header=BB108_49 Depth=1
	v_mul_f32_e32 v12, v14, v15
	v_fma_f32 v12, s25, v12, v13
	s_cbranch_execnz .LBB108_52
.LBB108_51:                             ;   in Loop: Header=BB108_49 Depth=1
	v_fmac_f32_e32 v13, v14, v15
	v_mov_b32_e32 v12, v13
.LBB108_52:                             ;   in Loop: Header=BB108_49 Depth=1
	v_cvt_f32_f16_sdwa v13, v6 dst_sel:DWORD dst_unused:UNUSED_PAD src0_sel:WORD_1
	v_cvt_f32_f16_sdwa v8, v8 dst_sel:DWORD dst_unused:UNUSED_PAD src0_sel:WORD_1
	;; [unrolled: 1-line block ×3, first 2 shown]
	s_and_b64 vcc, exec, s[0:1]
	s_cbranch_vccnz .LBB108_61
; %bb.53:                               ;   in Loop: Header=BB108_49 Depth=1
	v_mul_f32_e32 v6, v8, v10
	v_fma_f32 v6, s25, v6, v13
	s_cbranch_execnz .LBB108_55
.LBB108_54:                             ;   in Loop: Header=BB108_49 Depth=1
	v_fmac_f32_e32 v13, v8, v10
	v_mov_b32_e32 v6, v13
.LBB108_55:                             ;   in Loop: Header=BB108_49 Depth=1
	v_cvt_f32_f16_e32 v10, v7
	v_cvt_f32_f16_e32 v13, v9
	;; [unrolled: 1-line block ×3, first 2 shown]
	s_and_b64 vcc, exec, s[0:1]
	s_cbranch_vccnz .LBB108_62
; %bb.56:                               ;   in Loop: Header=BB108_49 Depth=1
	v_mul_f32_e32 v8, v13, v14
	v_fma_f32 v8, s25, v8, v10
	s_cbranch_execnz .LBB108_58
.LBB108_57:                             ;   in Loop: Header=BB108_49 Depth=1
	v_fmac_f32_e32 v10, v13, v14
	v_mov_b32_e32 v8, v10
.LBB108_58:                             ;   in Loop: Header=BB108_49 Depth=1
	v_cvt_f32_f16_sdwa v7, v7 dst_sel:DWORD dst_unused:UNUSED_PAD src0_sel:WORD_1
	v_cvt_f32_f16_sdwa v9, v9 dst_sel:DWORD dst_unused:UNUSED_PAD src0_sel:WORD_1
	;; [unrolled: 1-line block ×3, first 2 shown]
	s_and_b64 vcc, exec, s[0:1]
	s_cbranch_vccnz .LBB108_63
; %bb.59:                               ;   in Loop: Header=BB108_49 Depth=1
	v_mul_f32_e32 v11, v9, v10
	v_fma_f32 v11, s25, v11, v7
	s_cbranch_execnz .LBB108_48
	s_branch .LBB108_64
.LBB108_60:                             ;   in Loop: Header=BB108_49 Depth=1
                                        ; implicit-def: $vgpr12
	s_branch .LBB108_51
.LBB108_61:                             ;   in Loop: Header=BB108_49 Depth=1
                                        ; implicit-def: $vgpr6
	s_branch .LBB108_54
.LBB108_62:                             ;   in Loop: Header=BB108_49 Depth=1
                                        ; implicit-def: $vgpr8
	s_branch .LBB108_57
.LBB108_63:                             ;   in Loop: Header=BB108_49 Depth=1
                                        ; implicit-def: $vgpr11
.LBB108_64:                             ;   in Loop: Header=BB108_49 Depth=1
	v_fmac_f32_e32 v7, v9, v10
	v_mov_b32_e32 v11, v7
	s_branch .LBB108_48
.LBB108_65:
	s_endpgm
	.section	.rodata,"a",@progbits
	.p2align	6, 0x0
	.amdhsa_kernel _ZN2at6native12_GLOBAL__N_125multi_tensor_apply_kernelINS1_28TensorListScalarListMetadataIfLi3EEENS1_28PointwiseOpScalarListFunctorIN3c104HalfELi3ELi3ELi0EEEJSt10multipliesIfEEEEvT_T0_DpT1_
		.amdhsa_group_segment_fixed_size 0
		.amdhsa_private_segment_fixed_size 0
		.amdhsa_kernarg_size 3592
		.amdhsa_user_sgpr_count 6
		.amdhsa_user_sgpr_private_segment_buffer 1
		.amdhsa_user_sgpr_dispatch_ptr 0
		.amdhsa_user_sgpr_queue_ptr 0
		.amdhsa_user_sgpr_kernarg_segment_ptr 1
		.amdhsa_user_sgpr_dispatch_id 0
		.amdhsa_user_sgpr_flat_scratch_init 0
		.amdhsa_user_sgpr_kernarg_preload_length 0
		.amdhsa_user_sgpr_kernarg_preload_offset 0
		.amdhsa_user_sgpr_private_segment_size 0
		.amdhsa_uses_dynamic_stack 0
		.amdhsa_system_sgpr_private_segment_wavefront_offset 0
		.amdhsa_system_sgpr_workgroup_id_x 1
		.amdhsa_system_sgpr_workgroup_id_y 0
		.amdhsa_system_sgpr_workgroup_id_z 0
		.amdhsa_system_sgpr_workgroup_info 0
		.amdhsa_system_vgpr_workitem_id 0
		.amdhsa_next_free_vgpr 46
		.amdhsa_next_free_sgpr 35
		.amdhsa_accum_offset 48
		.amdhsa_reserve_vcc 1
		.amdhsa_reserve_flat_scratch 0
		.amdhsa_float_round_mode_32 0
		.amdhsa_float_round_mode_16_64 0
		.amdhsa_float_denorm_mode_32 3
		.amdhsa_float_denorm_mode_16_64 3
		.amdhsa_dx10_clamp 1
		.amdhsa_ieee_mode 1
		.amdhsa_fp16_overflow 0
		.amdhsa_tg_split 0
		.amdhsa_exception_fp_ieee_invalid_op 0
		.amdhsa_exception_fp_denorm_src 0
		.amdhsa_exception_fp_ieee_div_zero 0
		.amdhsa_exception_fp_ieee_overflow 0
		.amdhsa_exception_fp_ieee_underflow 0
		.amdhsa_exception_fp_ieee_inexact 0
		.amdhsa_exception_int_div_zero 0
	.end_amdhsa_kernel
	.section	.text._ZN2at6native12_GLOBAL__N_125multi_tensor_apply_kernelINS1_28TensorListScalarListMetadataIfLi3EEENS1_28PointwiseOpScalarListFunctorIN3c104HalfELi3ELi3ELi0EEEJSt10multipliesIfEEEEvT_T0_DpT1_,"axG",@progbits,_ZN2at6native12_GLOBAL__N_125multi_tensor_apply_kernelINS1_28TensorListScalarListMetadataIfLi3EEENS1_28PointwiseOpScalarListFunctorIN3c104HalfELi3ELi3ELi0EEEJSt10multipliesIfEEEEvT_T0_DpT1_,comdat
.Lfunc_end108:
	.size	_ZN2at6native12_GLOBAL__N_125multi_tensor_apply_kernelINS1_28TensorListScalarListMetadataIfLi3EEENS1_28PointwiseOpScalarListFunctorIN3c104HalfELi3ELi3ELi0EEEJSt10multipliesIfEEEEvT_T0_DpT1_, .Lfunc_end108-_ZN2at6native12_GLOBAL__N_125multi_tensor_apply_kernelINS1_28TensorListScalarListMetadataIfLi3EEENS1_28PointwiseOpScalarListFunctorIN3c104HalfELi3ELi3ELi0EEEJSt10multipliesIfEEEEvT_T0_DpT1_
                                        ; -- End function
	.section	.AMDGPU.csdata,"",@progbits
; Kernel info:
; codeLenInByte = 2044
; NumSgprs: 39
; NumVgprs: 46
; NumAgprs: 0
; TotalNumVgprs: 46
; ScratchSize: 0
; MemoryBound: 0
; FloatMode: 240
; IeeeMode: 1
; LDSByteSize: 0 bytes/workgroup (compile time only)
; SGPRBlocks: 4
; VGPRBlocks: 5
; NumSGPRsForWavesPerEU: 39
; NumVGPRsForWavesPerEU: 46
; AccumOffset: 48
; Occupancy: 8
; WaveLimiterHint : 0
; COMPUTE_PGM_RSRC2:SCRATCH_EN: 0
; COMPUTE_PGM_RSRC2:USER_SGPR: 6
; COMPUTE_PGM_RSRC2:TRAP_HANDLER: 0
; COMPUTE_PGM_RSRC2:TGID_X_EN: 1
; COMPUTE_PGM_RSRC2:TGID_Y_EN: 0
; COMPUTE_PGM_RSRC2:TGID_Z_EN: 0
; COMPUTE_PGM_RSRC2:TIDIG_COMP_CNT: 0
; COMPUTE_PGM_RSRC3_GFX90A:ACCUM_OFFSET: 11
; COMPUTE_PGM_RSRC3_GFX90A:TG_SPLIT: 0
	.section	.text._ZN2at6native12_GLOBAL__N_125multi_tensor_apply_kernelINS1_28TensorListScalarListMetadataIfLi3EEENS1_28PointwiseOpScalarListFunctorIN3c108BFloat16ELi3ELi3ELi0EEEJSt10multipliesIfEEEEvT_T0_DpT1_,"axG",@progbits,_ZN2at6native12_GLOBAL__N_125multi_tensor_apply_kernelINS1_28TensorListScalarListMetadataIfLi3EEENS1_28PointwiseOpScalarListFunctorIN3c108BFloat16ELi3ELi3ELi0EEEJSt10multipliesIfEEEEvT_T0_DpT1_,comdat
	.globl	_ZN2at6native12_GLOBAL__N_125multi_tensor_apply_kernelINS1_28TensorListScalarListMetadataIfLi3EEENS1_28PointwiseOpScalarListFunctorIN3c108BFloat16ELi3ELi3ELi0EEEJSt10multipliesIfEEEEvT_T0_DpT1_ ; -- Begin function _ZN2at6native12_GLOBAL__N_125multi_tensor_apply_kernelINS1_28TensorListScalarListMetadataIfLi3EEENS1_28PointwiseOpScalarListFunctorIN3c108BFloat16ELi3ELi3ELi0EEEJSt10multipliesIfEEEEvT_T0_DpT1_
	.p2align	8
	.type	_ZN2at6native12_GLOBAL__N_125multi_tensor_apply_kernelINS1_28TensorListScalarListMetadataIfLi3EEENS1_28PointwiseOpScalarListFunctorIN3c108BFloat16ELi3ELi3ELi0EEEJSt10multipliesIfEEEEvT_T0_DpT1_,@function
_ZN2at6native12_GLOBAL__N_125multi_tensor_apply_kernelINS1_28TensorListScalarListMetadataIfLi3EEENS1_28PointwiseOpScalarListFunctorIN3c108BFloat16ELi3ELi3ELi0EEEJSt10multipliesIfEEEEvT_T0_DpT1_: ; @_ZN2at6native12_GLOBAL__N_125multi_tensor_apply_kernelINS1_28TensorListScalarListMetadataIfLi3EEENS1_28PointwiseOpScalarListFunctorIN3c108BFloat16ELi3ELi3ELi0EEEJSt10multipliesIfEEEEvT_T0_DpT1_
; %bb.0:
	v_mov_b32_e32 v1, s6
	global_load_ubyte v1, v1, s[4:5] offset:1728
	s_add_u32 s0, s4, s6
	s_mul_i32 s1, s6, 3
	s_addc_u32 s2, s5, 0
	s_mul_hi_u32 s3, s6, 3
	s_add_u32 s0, s0, s1
	s_addc_u32 s1, s2, s3
	s_load_dword s0, s[0:1], 0x800
	s_mov_b32 s3, 0
	s_waitcnt lgkmcnt(0)
	s_ashr_i32 s1, s0, 31
	s_waitcnt vmcnt(0)
	v_readfirstlane_b32 s2, v1
	s_lshl_b32 s2, s2, 3
	s_add_u32 s8, s4, s2
	s_load_dwordx2 s[12:13], s[4:5], s2 offset:0x0
	s_load_dwordx2 s[14:15], s[4:5], s2 offset:0x180
	;; [unrolled: 1-line block ×4, first 2 shown]
	v_lshlrev_b32_e32 v1, 2, v1
	s_addc_u32 s2, s5, 0
	v_mov_b32_e32 v3, s2
	v_sub_co_u32_e32 v2, vcc, s8, v1
	s_lshl_b64 s[20:21], s[0:1], 17
	v_subbrev_co_u32_e32 v1, vcc, 0, v3, vcc
	v_readfirstlane_b32 s8, v2
	v_readfirstlane_b32 s9, v1
	s_waitcnt lgkmcnt(0)
	s_add_u32 s10, s14, s20
	s_load_dword s30, s[8:9], 0x600
	s_or_b32 s8, s16, s10
	s_and_b32 s2, s12, 7
	s_and_b32 s8, s8, 7
	s_cmp_eq_u32 s8, 0
	s_cselect_b64 s[8:9], -1, 0
	s_lshl_b64 s[0:1], s[0:1], 16
	s_sub_u32 s18, s6, s0
	s_subb_u32 s19, s7, s1
	s_and_b32 s0, s6, 3
	s_or_b32 s2, s2, s0
	s_cmp_eq_u64 s[2:3], 0
	s_cselect_b64 s[0:1], -1, 0
	s_and_b64 s[2:3], s[8:9], s[0:1]
	s_mov_b64 s[0:1], -1
	s_and_b64 vcc, exec, s[2:3]
	s_cbranch_vccnz .LBB109_45
; %bb.1:
	v_cmp_lt_i64_e64 s[0:1], s[18:19], 1
	s_and_b64 vcc, exec, s[0:1]
	s_cbranch_vccnz .LBB109_44
; %bb.2:
	s_load_dword s0, s[4:5], 0xd14
	v_mov_b32_e32 v2, 0x10000
	v_mov_b32_e32 v3, 0
	v_cmp_lt_u64_e32 vcc, s[18:19], v[2:3]
	v_lshlrev_b32_e32 v14, 1, v0
	s_waitcnt lgkmcnt(0)
	s_and_b32 s2, s0, 0xffff
	s_and_b64 s[0:1], vcc, exec
	v_mov_b32_e32 v19, s13
	v_add_co_u32_e32 v2, vcc, s12, v14
	v_addc_co_u32_e32 v1, vcc, 0, v19, vcc
	v_mov_b32_e32 v21, s15
	v_add_co_u32_e32 v4, vcc, s14, v14
	v_addc_co_u32_e32 v3, vcc, 0, v21, vcc
	v_mov_b32_e32 v15, 0
	v_mov_b32_e32 v23, s17
	v_add_co_u32_e32 v6, vcc, s16, v14
	v_addc_co_u32_e32 v5, vcc, 0, v23, vcc
	v_mad_u64_u32 v[12:13], s[0:1], s2, 6, v[14:15]
	v_add_co_u32_e32 v8, vcc, s12, v12
	v_addc_co_u32_e32 v7, vcc, v19, v13, vcc
	v_add_co_u32_e32 v10, vcc, s14, v12
	v_addc_co_u32_e32 v9, vcc, v21, v13, vcc
	v_add_co_u32_e32 v12, vcc, s16, v12
	s_mul_i32 s6, s2, 3
	v_addc_co_u32_e32 v11, vcc, v23, v13, vcc
	s_cselect_b32 s23, s19, 0
	s_cselect_b32 s22, s18, 0x10000
	s_lshl_b32 s33, s2, 2
	v_add_co_u32_e32 v25, vcc, s6, v0
	v_addc_co_u32_e64 v26, s[0:1], 0, 0, vcc
	v_add_co_u32_e32 v17, vcc, s33, v14
	v_addc_co_u32_e64 v20, s[0:1], 0, 0, vcc
	v_add_co_u32_e32 v14, vcc, s12, v17
	v_addc_co_u32_e32 v13, vcc, v19, v20, vcc
	v_add_co_u32_e32 v16, vcc, s14, v17
	v_addc_co_u32_e32 v15, vcc, v21, v20, vcc
	v_add_co_u32_e32 v18, vcc, s16, v17
	s_lshl_b32 s3, s2, 1
	v_addc_co_u32_e32 v17, vcc, v23, v20, vcc
	v_add_co_u32_e32 v27, vcc, s3, v0
	v_addc_co_u32_e64 v28, s[0:1], 0, 0, vcc
	v_add_co_u32_e32 v29, vcc, s2, v0
	v_lshlrev_b32_e32 v24, 1, v29
	v_addc_co_u32_e64 v30, s[0:1], 0, 0, vcc
	v_add_co_u32_e32 v20, vcc, s12, v24
	v_addc_co_u32_e32 v19, vcc, 0, v19, vcc
	v_add_co_u32_e32 v22, vcc, s14, v24
	v_addc_co_u32_e32 v21, vcc, 0, v21, vcc
	v_add_co_u32_e32 v24, vcc, s16, v24
	s_mov_b32 s31, 0
	v_cmp_neq_f32_e64 s[24:25], s30, 1.0
	s_lshl_b32 s34, s2, 3
	v_addc_co_u32_e32 v23, vcc, 0, v23, vcc
	s_mov_b64 s[26:27], 0
	s_movk_i32 s35, 0x7fff
	v_mov_b32_e32 v31, 0x7fc0
	s_branch .LBB109_4
.LBB109_3:                              ;   in Loop: Header=BB109_4 Depth=1
	s_or_b64 exec, exec, s[0:1]
	s_add_u32 s26, s26, s33
	s_addc_u32 s27, s27, 0
	v_pk_mov_b32 v[32:33], s[18:19], s[18:19] op_sel:[0,1]
	v_cmp_ge_i64_e32 vcc, s[26:27], v[32:33]
	v_mov_b32_e32 v32, 0xffff
	v_mov_b32_e32 v33, 0
	v_cmp_gt_u64_e64 s[0:1], s[26:27], v[32:33]
	s_or_b64 s[0:1], vcc, s[0:1]
	v_mov_b32_e32 v32, s31
	v_add_co_u32_e32 v2, vcc, s34, v2
	v_addc_co_u32_e32 v1, vcc, v1, v32, vcc
	v_add_co_u32_e32 v4, vcc, s34, v4
	v_addc_co_u32_e32 v3, vcc, v3, v32, vcc
	;; [unrolled: 2-line block ×12, first 2 shown]
	s_and_b64 vcc, exec, s[0:1]
	s_cbranch_vccnz .LBB109_44
.LBB109_4:                              ; =>This Inner Loop Header: Depth=1
	v_mov_b32_e32 v33, s27
	v_add_co_u32_e32 v32, vcc, s26, v0
	v_addc_co_u32_e32 v33, vcc, 0, v33, vcc
	v_cmp_gt_u64_e64 s[0:1], s[22:23], v[32:33]
	v_mov_b32_e32 v33, 0
	v_mov_b32_e32 v34, 0
	s_and_saveexec_b64 s[2:3], s[0:1]
	s_cbranch_execz .LBB109_6
; %bb.5:                                ;   in Loop: Header=BB109_4 Depth=1
	v_mov_b32_e32 v32, s21
	v_add_co_u32_e32 v36, vcc, s20, v2
	v_addc_co_u32_e32 v37, vcc, v1, v32, vcc
	v_add_co_u32_e32 v38, vcc, s20, v4
	v_addc_co_u32_e32 v39, vcc, v3, v32, vcc
	global_load_ushort v33, v[36:37], off
	global_load_ushort v34, v[38:39], off
.LBB109_6:                              ;   in Loop: Header=BB109_4 Depth=1
	s_or_b64 exec, exec, s[2:3]
	v_mov_b32_e32 v32, 0
	v_mov_b32_e32 v37, 0
	s_and_saveexec_b64 s[2:3], s[0:1]
	s_cbranch_execz .LBB109_8
; %bb.7:                                ;   in Loop: Header=BB109_4 Depth=1
	v_mov_b32_e32 v35, s21
	v_add_co_u32_e32 v36, vcc, s20, v6
	v_addc_co_u32_e32 v37, vcc, v5, v35, vcc
	global_load_ushort v37, v[36:37], off
.LBB109_8:                              ;   in Loop: Header=BB109_4 Depth=1
	s_or_b64 exec, exec, s[2:3]
	v_mov_b32_e32 v35, s27
	v_add_co_u32_e32 v38, vcc, s26, v29
	v_addc_co_u32_e32 v39, vcc, v30, v35, vcc
	v_cmp_gt_u64_e64 s[2:3], s[22:23], v[38:39]
	v_mov_b32_e32 v36, 0
	s_and_saveexec_b64 s[6:7], s[2:3]
	s_cbranch_execz .LBB109_10
; %bb.9:                                ;   in Loop: Header=BB109_4 Depth=1
	v_mov_b32_e32 v32, s21
	v_add_co_u32_e32 v38, vcc, s20, v22
	v_addc_co_u32_e32 v39, vcc, v21, v32, vcc
	v_add_co_u32_e32 v40, vcc, s20, v20
	v_addc_co_u32_e32 v41, vcc, v19, v32, vcc
	global_load_ushort v32, v[40:41], off
	global_load_ushort v36, v[38:39], off
.LBB109_10:                             ;   in Loop: Header=BB109_4 Depth=1
	s_or_b64 exec, exec, s[6:7]
	v_mov_b32_e32 v35, 0
	v_mov_b32_e32 v39, 0
	s_and_saveexec_b64 s[6:7], s[2:3]
	s_cbranch_execz .LBB109_12
; %bb.11:                               ;   in Loop: Header=BB109_4 Depth=1
	v_mov_b32_e32 v39, s21
	v_add_co_u32_e32 v38, vcc, s20, v24
	v_addc_co_u32_e32 v39, vcc, v23, v39, vcc
	global_load_ushort v39, v[38:39], off
.LBB109_12:                             ;   in Loop: Header=BB109_4 Depth=1
	s_or_b64 exec, exec, s[6:7]
	v_mov_b32_e32 v38, s27
	v_add_co_u32_e32 v40, vcc, s26, v27
	v_addc_co_u32_e32 v41, vcc, v28, v38, vcc
	v_cmp_gt_u64_e64 s[6:7], s[22:23], v[40:41]
	v_mov_b32_e32 v40, 0
	s_and_saveexec_b64 s[8:9], s[6:7]
	s_cbranch_execz .LBB109_14
; %bb.13:                               ;   in Loop: Header=BB109_4 Depth=1
	v_mov_b32_e32 v35, s21
	v_add_co_u32_e32 v42, vcc, s20, v16
	v_addc_co_u32_e32 v43, vcc, v15, v35, vcc
	v_add_co_u32_e32 v44, vcc, s20, v14
	v_addc_co_u32_e32 v45, vcc, v13, v35, vcc
	global_load_ushort v35, v[44:45], off
	global_load_ushort v40, v[42:43], off
.LBB109_14:                             ;   in Loop: Header=BB109_4 Depth=1
	s_or_b64 exec, exec, s[8:9]
	v_mov_b32_e32 v38, 0
	v_mov_b32_e32 v41, 0
	s_and_saveexec_b64 s[8:9], s[6:7]
	s_cbranch_execz .LBB109_16
; %bb.15:                               ;   in Loop: Header=BB109_4 Depth=1
	v_mov_b32_e32 v41, s21
	v_add_co_u32_e32 v42, vcc, s20, v18
	v_addc_co_u32_e32 v43, vcc, v17, v41, vcc
	global_load_ushort v41, v[42:43], off
.LBB109_16:                             ;   in Loop: Header=BB109_4 Depth=1
	s_or_b64 exec, exec, s[8:9]
	v_mov_b32_e32 v43, s27
	v_add_co_u32_e32 v42, vcc, s26, v25
	v_addc_co_u32_e32 v43, vcc, v26, v43, vcc
	v_cmp_gt_u64_e64 s[8:9], s[22:23], v[42:43]
	v_mov_b32_e32 v42, 0
	s_and_saveexec_b64 s[10:11], s[8:9]
	s_cbranch_execz .LBB109_18
; %bb.17:                               ;   in Loop: Header=BB109_4 Depth=1
	v_mov_b32_e32 v38, s21
	v_add_co_u32_e32 v44, vcc, s20, v10
	v_addc_co_u32_e32 v45, vcc, v9, v38, vcc
	v_add_co_u32_e32 v46, vcc, s20, v8
	v_addc_co_u32_e32 v47, vcc, v7, v38, vcc
	global_load_ushort v38, v[46:47], off
	global_load_ushort v42, v[44:45], off
.LBB109_18:                             ;   in Loop: Header=BB109_4 Depth=1
	s_or_b64 exec, exec, s[10:11]
	v_mov_b32_e32 v43, 0
	s_and_saveexec_b64 s[10:11], s[8:9]
	s_cbranch_execz .LBB109_20
; %bb.19:                               ;   in Loop: Header=BB109_4 Depth=1
	v_mov_b32_e32 v43, s21
	v_add_co_u32_e32 v44, vcc, s20, v12
	v_addc_co_u32_e32 v45, vcc, v11, v43, vcc
	global_load_ushort v43, v[44:45], off
.LBB109_20:                             ;   in Loop: Header=BB109_4 Depth=1
	s_or_b64 exec, exec, s[10:11]
	s_waitcnt vmcnt(1)
	v_lshlrev_b32_e32 v44, 16, v33
	s_waitcnt vmcnt(0)
	v_lshlrev_b32_e32 v34, 16, v34
	v_lshlrev_b32_e32 v37, 16, v37
	s_and_b64 vcc, exec, s[24:25]
	s_cbranch_vccz .LBB109_40
; %bb.21:                               ;   in Loop: Header=BB109_4 Depth=1
	v_mul_f32_e32 v33, v34, v37
	v_fma_f32 v33, s30, v33, v44
	s_cbranch_execnz .LBB109_23
.LBB109_22:                             ;   in Loop: Header=BB109_4 Depth=1
	v_fmac_f32_e32 v44, v34, v37
	v_mov_b32_e32 v33, v44
.LBB109_23:                             ;   in Loop: Header=BB109_4 Depth=1
	v_lshlrev_b32_e32 v34, 16, v32
	v_cndmask_b32_e64 v32, 0, 1, s[24:25]
	v_lshlrev_b32_e32 v36, 16, v36
	v_cmp_ne_u32_e64 s[10:11], 1, v32
	s_andn2_b64 vcc, exec, s[24:25]
	v_lshlrev_b32_e32 v37, 16, v39
	s_cbranch_vccnz .LBB109_41
; %bb.24:                               ;   in Loop: Header=BB109_4 Depth=1
	v_mul_f32_e32 v32, v36, v37
	v_fma_f32 v32, s30, v32, v34
	s_cbranch_execnz .LBB109_26
.LBB109_25:                             ;   in Loop: Header=BB109_4 Depth=1
	v_fmac_f32_e32 v34, v36, v37
	v_mov_b32_e32 v32, v34
.LBB109_26:                             ;   in Loop: Header=BB109_4 Depth=1
	v_lshlrev_b32_e32 v35, 16, v35
	v_lshlrev_b32_e32 v36, 16, v40
	s_and_b64 vcc, exec, s[10:11]
	v_lshlrev_b32_e32 v37, 16, v41
	s_cbranch_vccnz .LBB109_42
; %bb.27:                               ;   in Loop: Header=BB109_4 Depth=1
	v_mul_f32_e32 v34, v36, v37
	v_fma_f32 v34, s30, v34, v35
	s_cbranch_execnz .LBB109_29
.LBB109_28:                             ;   in Loop: Header=BB109_4 Depth=1
	v_fmac_f32_e32 v35, v36, v37
	v_mov_b32_e32 v34, v35
.LBB109_29:                             ;   in Loop: Header=BB109_4 Depth=1
	v_lshlrev_b32_e32 v36, 16, v38
	v_lshlrev_b32_e32 v37, 16, v42
	s_and_b64 vcc, exec, s[10:11]
	v_lshlrev_b32_e32 v38, 16, v43
	s_cbranch_vccnz .LBB109_43
; %bb.30:                               ;   in Loop: Header=BB109_4 Depth=1
	v_mul_f32_e32 v35, v37, v38
	v_fma_f32 v35, s30, v35, v36
	s_cbranch_execnz .LBB109_32
.LBB109_31:                             ;   in Loop: Header=BB109_4 Depth=1
	v_fmac_f32_e32 v36, v37, v38
	v_mov_b32_e32 v35, v36
.LBB109_32:                             ;   in Loop: Header=BB109_4 Depth=1
	s_and_saveexec_b64 s[10:11], s[0:1]
	s_xor_b64 s[0:1], exec, s[10:11]
	s_cbranch_execnz .LBB109_36
; %bb.33:                               ;   in Loop: Header=BB109_4 Depth=1
	s_or_b64 exec, exec, s[0:1]
	s_and_saveexec_b64 s[0:1], s[2:3]
	s_cbranch_execnz .LBB109_37
.LBB109_34:                             ;   in Loop: Header=BB109_4 Depth=1
	s_or_b64 exec, exec, s[0:1]
	s_and_saveexec_b64 s[0:1], s[6:7]
	s_cbranch_execnz .LBB109_38
.LBB109_35:                             ;   in Loop: Header=BB109_4 Depth=1
	s_or_b64 exec, exec, s[0:1]
	s_and_saveexec_b64 s[0:1], s[8:9]
	s_cbranch_execz .LBB109_3
	s_branch .LBB109_39
.LBB109_36:                             ;   in Loop: Header=BB109_4 Depth=1
	v_bfe_u32 v36, v33, 16, 1
	v_add3_u32 v36, v33, v36, s35
	v_lshrrev_b32_e32 v36, 16, v36
	v_cmp_o_f32_e32 vcc, v33, v33
	v_cndmask_b32_e32 v33, v31, v36, vcc
	v_mov_b32_e32 v37, s21
	v_add_co_u32_e32 v36, vcc, s20, v2
	v_addc_co_u32_e32 v37, vcc, v1, v37, vcc
	global_store_short v[36:37], v33, off
	s_or_b64 exec, exec, s[0:1]
	s_and_saveexec_b64 s[0:1], s[2:3]
	s_cbranch_execz .LBB109_34
.LBB109_37:                             ;   in Loop: Header=BB109_4 Depth=1
	v_bfe_u32 v33, v32, 16, 1
	v_mov_b32_e32 v37, s21
	v_add_co_u32_e32 v36, vcc, s20, v20
	v_add3_u32 v33, v32, v33, s35
	v_addc_co_u32_e32 v37, vcc, v19, v37, vcc
	v_lshrrev_b32_e32 v33, 16, v33
	v_cmp_o_f32_e32 vcc, v32, v32
	v_cndmask_b32_e32 v32, v31, v33, vcc
	global_store_short v[36:37], v32, off
	s_or_b64 exec, exec, s[0:1]
	s_and_saveexec_b64 s[0:1], s[6:7]
	s_cbranch_execz .LBB109_35
.LBB109_38:                             ;   in Loop: Header=BB109_4 Depth=1
	v_bfe_u32 v32, v34, 16, 1
	v_add3_u32 v32, v34, v32, s35
	v_lshrrev_b32_e32 v36, 16, v32
	v_mov_b32_e32 v33, s21
	v_add_co_u32_e32 v32, vcc, s20, v14
	v_addc_co_u32_e32 v33, vcc, v13, v33, vcc
	v_cmp_o_f32_e32 vcc, v34, v34
	v_cndmask_b32_e32 v34, v31, v36, vcc
	global_store_short v[32:33], v34, off
	s_or_b64 exec, exec, s[0:1]
	s_and_saveexec_b64 s[0:1], s[8:9]
	s_cbranch_execz .LBB109_3
.LBB109_39:                             ;   in Loop: Header=BB109_4 Depth=1
	v_bfe_u32 v32, v35, 16, 1
	v_add3_u32 v32, v35, v32, s35
	v_lshrrev_b32_e32 v34, 16, v32
	v_mov_b32_e32 v33, s21
	v_add_co_u32_e32 v32, vcc, s20, v8
	v_addc_co_u32_e32 v33, vcc, v7, v33, vcc
	v_cmp_o_f32_e32 vcc, v35, v35
	v_cndmask_b32_e32 v34, v31, v34, vcc
	global_store_short v[32:33], v34, off
	s_branch .LBB109_3
.LBB109_40:                             ;   in Loop: Header=BB109_4 Depth=1
                                        ; implicit-def: $vgpr33
	s_branch .LBB109_22
.LBB109_41:                             ;   in Loop: Header=BB109_4 Depth=1
                                        ; implicit-def: $vgpr32
	s_branch .LBB109_25
.LBB109_42:                             ;   in Loop: Header=BB109_4 Depth=1
                                        ; implicit-def: $vgpr34
	s_branch .LBB109_28
.LBB109_43:                             ;   in Loop: Header=BB109_4 Depth=1
                                        ; implicit-def: $vgpr35
	s_branch .LBB109_31
.LBB109_44:
	s_mov_b64 s[0:1], 0
.LBB109_45:
	s_andn2_b64 vcc, exec, s[0:1]
	s_cbranch_vccnz .LBB109_65
; %bb.46:
	v_mov_b32_e32 v3, 0
	v_lshlrev_b32_e32 v2, 2, v0
	s_mov_b32 s2, 0
	v_cmp_gt_i64_e32 vcc, s[18:19], v[2:3]
	s_and_saveexec_b64 s[0:1], vcc
	s_cbranch_execz .LBB109_65
; %bb.47:
	s_load_dword s0, s[4:5], 0xd14
	v_lshlrev_b32_e32 v1, 3, v0
	s_waitcnt lgkmcnt(0)
	v_cmp_neq_f32_e64 s[6:7], s30, 1.0
	v_mov_b32_e32 v2, s21
	v_add_co_u32_e32 v4, vcc, s20, v1
	s_and_b32 s0, s0, 0xffff
	v_cndmask_b32_e64 v6, 0, 1, s[6:7]
	v_addc_co_u32_e32 v1, vcc, 0, v2, vcc
	s_lshl_b32 s10, s0, 3
	v_add_lshl_u32 v2, v0, s0, 2
	s_lshl_b32 s11, s0, 2
	s_mov_b64 s[4:5], 0
	v_mov_b32_e32 v0, s13
	v_mov_b32_e32 v5, s15
	;; [unrolled: 1-line block ×3, first 2 shown]
	v_cmp_ne_u32_e64 s[0:1], 1, v6
	s_movk_i32 s13, 0x7fff
	s_mov_b64 s[8:9], 0xffff
	v_mov_b32_e32 v15, 0x7fc0
	v_mov_b32_e32 v16, 0x7fc00000
	;; [unrolled: 1-line block ×4, first 2 shown]
	s_branch .LBB109_49
.LBB109_48:                             ;   in Loop: Header=BB109_49 Depth=1
	v_bfe_u32 v10, v19, 16, 1
	v_add3_u32 v10, v19, v10, s13
	v_bfe_u32 v11, v20, 16, 1
	v_lshrrev_b32_e32 v10, 16, v10
	v_cmp_o_f32_e32 vcc, v19, v19
	v_add3_u32 v11, v20, v11, s13
	v_cndmask_b32_e32 v10, v15, v10, vcc
	v_and_b32_e32 v11, 0xffff0000, v11
	v_cmp_o_f32_e32 vcc, v20, v20
	v_cndmask_b32_e32 v11, v16, v11, vcc
	v_or_b32_e32 v10, v11, v10
	v_bfe_u32 v11, v8, 16, 1
	v_add3_u32 v11, v8, v11, s13
	v_lshrrev_b32_e32 v11, 16, v11
	v_cmp_o_f32_e32 vcc, v8, v8
	v_cndmask_b32_e32 v8, v15, v11, vcc
	v_bfe_u32 v11, v9, 16, 1
	v_add3_u32 v11, v9, v11, s13
	v_and_b32_e32 v11, 0xffff0000, v11
	v_cmp_o_f32_e32 vcc, v9, v9
	v_cndmask_b32_e32 v9, v16, v11, vcc
	v_cmp_le_i64_e32 vcc, s[18:19], v[2:3]
	v_cmp_lt_u64_e64 s[2:3], s[8:9], v[2:3]
	s_or_b64 s[2:3], vcc, s[2:3]
	v_add_co_u32_e32 v4, vcc, s10, v4
	v_addc_co_u32_e32 v1, vcc, v1, v17, vcc
	s_and_b64 s[2:3], exec, s[2:3]
	v_add_co_u32_e32 v2, vcc, s11, v2
	v_or3_b32 v9, 0, v8, v9
	v_or3_b32 v8, v10, 0, 0
	s_or_b64 s[4:5], s[2:3], s[4:5]
	v_addc_co_u32_e32 v3, vcc, v3, v18, vcc
	global_store_dwordx2 v[6:7], v[8:9], off
	s_andn2_b64 exec, exec, s[4:5]
	s_cbranch_execz .LBB109_65
.LBB109_49:                             ; =>This Inner Loop Header: Depth=1
	v_add_co_u32_e32 v6, vcc, s12, v4
	v_addc_co_u32_e32 v7, vcc, v0, v1, vcc
	v_add_co_u32_e32 v10, vcc, s14, v4
	v_addc_co_u32_e32 v11, vcc, v5, v1, vcc
	;; [unrolled: 2-line block ×3, first 2 shown]
	global_load_dwordx2 v[8:9], v[6:7], off
	s_and_b64 vcc, exec, s[6:7]
	global_load_dwordx2 v[10:11], v[10:11], off
	s_waitcnt vmcnt(1)
	v_lshlrev_b32_e32 v20, 16, v8
	global_load_dwordx2 v[12:13], v[12:13], off
	s_waitcnt vmcnt(1)
	v_lshlrev_b32_e32 v21, 16, v10
	s_waitcnt vmcnt(0)
	v_lshlrev_b32_e32 v22, 16, v12
	s_cbranch_vccz .LBB109_60
; %bb.50:                               ;   in Loop: Header=BB109_49 Depth=1
	v_mul_f32_e32 v19, v21, v22
	v_fma_f32 v19, s30, v19, v20
	s_cbranch_execnz .LBB109_52
.LBB109_51:                             ;   in Loop: Header=BB109_49 Depth=1
	v_fmac_f32_e32 v20, v21, v22
	v_mov_b32_e32 v19, v20
.LBB109_52:                             ;   in Loop: Header=BB109_49 Depth=1
	v_and_b32_e32 v21, 0xffff0000, v8
	v_and_b32_e32 v22, 0xffff0000, v10
	s_and_b64 vcc, exec, s[0:1]
	v_and_b32_e32 v23, 0xffff0000, v12
	s_cbranch_vccnz .LBB109_61
; %bb.53:                               ;   in Loop: Header=BB109_49 Depth=1
	v_mul_f32_e32 v20, v22, v23
	v_fma_f32 v20, s30, v20, v21
	s_cbranch_execnz .LBB109_55
.LBB109_54:                             ;   in Loop: Header=BB109_49 Depth=1
	v_fmac_f32_e32 v21, v22, v23
	v_mov_b32_e32 v20, v21
.LBB109_55:                             ;   in Loop: Header=BB109_49 Depth=1
	v_alignbit_b32 v8, v9, v8, 16
	v_and_b32_e32 v21, 0xffff0000, v8
	v_alignbit_b32 v8, v11, v10, 16
	v_and_b32_e32 v10, 0xffff0000, v8
	v_alignbit_b32 v8, v13, v12, 16
	s_and_b64 vcc, exec, s[0:1]
	v_and_b32_e32 v12, 0xffff0000, v8
	s_cbranch_vccnz .LBB109_62
; %bb.56:                               ;   in Loop: Header=BB109_49 Depth=1
	v_mul_f32_e32 v8, v10, v12
	v_fma_f32 v8, s30, v8, v21
	s_cbranch_execnz .LBB109_58
.LBB109_57:                             ;   in Loop: Header=BB109_49 Depth=1
	v_fmac_f32_e32 v21, v10, v12
	v_mov_b32_e32 v8, v21
.LBB109_58:                             ;   in Loop: Header=BB109_49 Depth=1
	v_and_b32_e32 v10, 0xffff0000, v9
	v_and_b32_e32 v11, 0xffff0000, v11
	s_and_b64 vcc, exec, s[0:1]
	v_and_b32_e32 v12, 0xffff0000, v13
	s_cbranch_vccnz .LBB109_63
; %bb.59:                               ;   in Loop: Header=BB109_49 Depth=1
	v_mul_f32_e32 v9, v11, v12
	v_fma_f32 v9, s30, v9, v10
	s_cbranch_execnz .LBB109_48
	s_branch .LBB109_64
.LBB109_60:                             ;   in Loop: Header=BB109_49 Depth=1
                                        ; implicit-def: $vgpr19
	s_branch .LBB109_51
.LBB109_61:                             ;   in Loop: Header=BB109_49 Depth=1
                                        ; implicit-def: $vgpr20
	s_branch .LBB109_54
.LBB109_62:                             ;   in Loop: Header=BB109_49 Depth=1
                                        ; implicit-def: $vgpr8
	s_branch .LBB109_57
.LBB109_63:                             ;   in Loop: Header=BB109_49 Depth=1
                                        ; implicit-def: $vgpr9
.LBB109_64:                             ;   in Loop: Header=BB109_49 Depth=1
	v_fmac_f32_e32 v10, v11, v12
	v_mov_b32_e32 v9, v10
	s_branch .LBB109_48
.LBB109_65:
	s_endpgm
	.section	.rodata,"a",@progbits
	.p2align	6, 0x0
	.amdhsa_kernel _ZN2at6native12_GLOBAL__N_125multi_tensor_apply_kernelINS1_28TensorListScalarListMetadataIfLi3EEENS1_28PointwiseOpScalarListFunctorIN3c108BFloat16ELi3ELi3ELi0EEEJSt10multipliesIfEEEEvT_T0_DpT1_
		.amdhsa_group_segment_fixed_size 0
		.amdhsa_private_segment_fixed_size 0
		.amdhsa_kernarg_size 3592
		.amdhsa_user_sgpr_count 6
		.amdhsa_user_sgpr_private_segment_buffer 1
		.amdhsa_user_sgpr_dispatch_ptr 0
		.amdhsa_user_sgpr_queue_ptr 0
		.amdhsa_user_sgpr_kernarg_segment_ptr 1
		.amdhsa_user_sgpr_dispatch_id 0
		.amdhsa_user_sgpr_flat_scratch_init 0
		.amdhsa_user_sgpr_kernarg_preload_length 0
		.amdhsa_user_sgpr_kernarg_preload_offset 0
		.amdhsa_user_sgpr_private_segment_size 0
		.amdhsa_uses_dynamic_stack 0
		.amdhsa_system_sgpr_private_segment_wavefront_offset 0
		.amdhsa_system_sgpr_workgroup_id_x 1
		.amdhsa_system_sgpr_workgroup_id_y 0
		.amdhsa_system_sgpr_workgroup_id_z 0
		.amdhsa_system_sgpr_workgroup_info 0
		.amdhsa_system_vgpr_workitem_id 0
		.amdhsa_next_free_vgpr 48
		.amdhsa_next_free_sgpr 36
		.amdhsa_accum_offset 48
		.amdhsa_reserve_vcc 1
		.amdhsa_reserve_flat_scratch 0
		.amdhsa_float_round_mode_32 0
		.amdhsa_float_round_mode_16_64 0
		.amdhsa_float_denorm_mode_32 3
		.amdhsa_float_denorm_mode_16_64 3
		.amdhsa_dx10_clamp 1
		.amdhsa_ieee_mode 1
		.amdhsa_fp16_overflow 0
		.amdhsa_tg_split 0
		.amdhsa_exception_fp_ieee_invalid_op 0
		.amdhsa_exception_fp_denorm_src 0
		.amdhsa_exception_fp_ieee_div_zero 0
		.amdhsa_exception_fp_ieee_overflow 0
		.amdhsa_exception_fp_ieee_underflow 0
		.amdhsa_exception_fp_ieee_inexact 0
		.amdhsa_exception_int_div_zero 0
	.end_amdhsa_kernel
	.section	.text._ZN2at6native12_GLOBAL__N_125multi_tensor_apply_kernelINS1_28TensorListScalarListMetadataIfLi3EEENS1_28PointwiseOpScalarListFunctorIN3c108BFloat16ELi3ELi3ELi0EEEJSt10multipliesIfEEEEvT_T0_DpT1_,"axG",@progbits,_ZN2at6native12_GLOBAL__N_125multi_tensor_apply_kernelINS1_28TensorListScalarListMetadataIfLi3EEENS1_28PointwiseOpScalarListFunctorIN3c108BFloat16ELi3ELi3ELi0EEEJSt10multipliesIfEEEEvT_T0_DpT1_,comdat
.Lfunc_end109:
	.size	_ZN2at6native12_GLOBAL__N_125multi_tensor_apply_kernelINS1_28TensorListScalarListMetadataIfLi3EEENS1_28PointwiseOpScalarListFunctorIN3c108BFloat16ELi3ELi3ELi0EEEJSt10multipliesIfEEEEvT_T0_DpT1_, .Lfunc_end109-_ZN2at6native12_GLOBAL__N_125multi_tensor_apply_kernelINS1_28TensorListScalarListMetadataIfLi3EEENS1_28PointwiseOpScalarListFunctorIN3c108BFloat16ELi3ELi3ELi0EEEJSt10multipliesIfEEEEvT_T0_DpT1_
                                        ; -- End function
	.section	.AMDGPU.csdata,"",@progbits
; Kernel info:
; codeLenInByte = 2296
; NumSgprs: 40
; NumVgprs: 48
; NumAgprs: 0
; TotalNumVgprs: 48
; ScratchSize: 0
; MemoryBound: 0
; FloatMode: 240
; IeeeMode: 1
; LDSByteSize: 0 bytes/workgroup (compile time only)
; SGPRBlocks: 4
; VGPRBlocks: 5
; NumSGPRsForWavesPerEU: 40
; NumVGPRsForWavesPerEU: 48
; AccumOffset: 48
; Occupancy: 8
; WaveLimiterHint : 0
; COMPUTE_PGM_RSRC2:SCRATCH_EN: 0
; COMPUTE_PGM_RSRC2:USER_SGPR: 6
; COMPUTE_PGM_RSRC2:TRAP_HANDLER: 0
; COMPUTE_PGM_RSRC2:TGID_X_EN: 1
; COMPUTE_PGM_RSRC2:TGID_Y_EN: 0
; COMPUTE_PGM_RSRC2:TGID_Z_EN: 0
; COMPUTE_PGM_RSRC2:TIDIG_COMP_CNT: 0
; COMPUTE_PGM_RSRC3_GFX90A:ACCUM_OFFSET: 11
; COMPUTE_PGM_RSRC3_GFX90A:TG_SPLIT: 0
	.section	.text._ZN2at6native12_GLOBAL__N_125multi_tensor_apply_kernelINS1_28TensorListScalarListMetadataIhLi4EEENS1_28PointwiseOpScalarListFunctorIhLi4ELi3ELi3EEEJSt7dividesIhEEEEvT_T0_DpT1_,"axG",@progbits,_ZN2at6native12_GLOBAL__N_125multi_tensor_apply_kernelINS1_28TensorListScalarListMetadataIhLi4EEENS1_28PointwiseOpScalarListFunctorIhLi4ELi3ELi3EEEJSt7dividesIhEEEEvT_T0_DpT1_,comdat
	.globl	_ZN2at6native12_GLOBAL__N_125multi_tensor_apply_kernelINS1_28TensorListScalarListMetadataIhLi4EEENS1_28PointwiseOpScalarListFunctorIhLi4ELi3ELi3EEEJSt7dividesIhEEEEvT_T0_DpT1_ ; -- Begin function _ZN2at6native12_GLOBAL__N_125multi_tensor_apply_kernelINS1_28TensorListScalarListMetadataIhLi4EEENS1_28PointwiseOpScalarListFunctorIhLi4ELi3ELi3EEEJSt7dividesIhEEEEvT_T0_DpT1_
	.p2align	8
	.type	_ZN2at6native12_GLOBAL__N_125multi_tensor_apply_kernelINS1_28TensorListScalarListMetadataIhLi4EEENS1_28PointwiseOpScalarListFunctorIhLi4ELi3ELi3EEEJSt7dividesIhEEEEvT_T0_DpT1_,@function
_ZN2at6native12_GLOBAL__N_125multi_tensor_apply_kernelINS1_28TensorListScalarListMetadataIhLi4EEENS1_28PointwiseOpScalarListFunctorIhLi4ELi3ELi3EEEJSt7dividesIhEEEEvT_T0_DpT1_: ; @_ZN2at6native12_GLOBAL__N_125multi_tensor_apply_kernelINS1_28TensorListScalarListMetadataIhLi4EEENS1_28PointwiseOpScalarListFunctorIhLi4ELi3ELi3EEEJSt7dividesIhEEEEvT_T0_DpT1_
; %bb.0:
	v_mov_b32_e32 v1, s6
	global_load_ubyte v1, v1, s[4:5] offset:1476
	s_add_u32 s0, s4, s6
	s_addc_u32 s1, s5, 0
	s_mul_hi_u32 s2, s6, 3
	s_mul_i32 s6, s6, 3
	s_add_u32 s0, s0, s6
	s_addc_u32 s1, s1, s2
	s_load_dword s0, s[0:1], 0x704
	v_mov_b32_e32 v3, s5
	s_mov_b32 s15, 0
	s_waitcnt vmcnt(0)
	v_add_co_u32_e32 v2, vcc, s4, v1
	v_addc_co_u32_e32 v3, vcc, 0, v3, vcc
	global_load_ubyte v2, v[2:3], off offset:1440
	v_readfirstlane_b32 s1, v1
	s_lshl_b32 s10, s1, 3
	s_load_dwordx2 s[18:19], s[4:5], s10 offset:0x480
	s_load_dwordx2 s[6:7], s[4:5], s10 offset:0x0
	s_waitcnt lgkmcnt(0)
	s_ashr_i32 s1, s0, 31
	s_lshl_b64 s[16:17], s[0:1], 16
	s_load_dwordx2 s[8:9], s[4:5], s10 offset:0x120
	s_load_dwordx2 s[2:3], s[4:5], s10 offset:0x240
	;; [unrolled: 1-line block ×3, first 2 shown]
	s_add_u32 s10, s6, s16
	s_addc_u32 s11, s7, s17
	s_waitcnt lgkmcnt(0)
	s_add_u32 s20, s8, s16
	s_addc_u32 s23, s9, s17
	s_and_b32 s14, s20, 3
	s_cmp_eq_u64 s[14:15], 0
	s_cselect_b64 s[12:13], -1, 0
	s_add_u32 s21, s2, s16
	s_addc_u32 s24, s3, s17
	s_add_u32 s22, s0, s16
	s_addc_u32 s25, s1, s17
	s_or_b32 s14, s22, s21
	s_and_b32 s14, s14, 3
	s_cmp_eq_u32 s14, 0
	s_cselect_b64 s[26:27], -1, 0
	s_and_b64 s[26:27], s[26:27], s[12:13]
	s_sub_u32 s12, s18, s16
	s_subb_u32 s13, s19, s17
	s_or_b64 s[18:19], s[18:19], s[10:11]
	s_and_b32 s14, s18, 3
	s_cmp_eq_u64 s[14:15], 0
	s_cselect_b64 s[14:15], -1, 0
	s_and_b64 s[18:19], s[26:27], s[14:15]
	s_mov_b64 s[14:15], -1
	s_and_b64 vcc, exec, s[18:19]
	s_cbranch_vccnz .LBB110_29
; %bb.1:
	v_cmp_lt_i64_e64 s[14:15], s[12:13], 1
	s_and_b64 vcc, exec, s[14:15]
	s_cbranch_vccnz .LBB110_28
; %bb.2:
	s_load_dword s14, s[4:5], 0xc1c
	v_mov_b32_e32 v4, 0x10000
	v_mov_b32_e32 v5, 0
	v_cmp_lt_u64_e32 vcc, s[12:13], v[4:5]
	v_mov_b32_e32 v1, s17
	s_waitcnt lgkmcnt(0)
	s_and_b32 s27, s14, 0xffff
	s_and_b64 s[14:15], vcc, exec
	v_add_co_u32_e32 v30, vcc, s16, v0
	v_addc_co_u32_e32 v31, vcc, 0, v1, vcc
	v_mov_b32_e32 v32, s7
	v_add_co_u32_e32 v1, vcc, s6, v30
	v_addc_co_u32_e32 v3, vcc, v32, v31, vcc
	v_mov_b32_e32 v33, s9
	;; [unrolled: 3-line block ×3, first 2 shown]
	v_add_co_u32_e32 v6, vcc, s2, v30
	s_cselect_b32 s15, s13, 0
	s_cselect_b32 s14, s12, 0x10000
	s_lshl_b32 s28, s27, 1
	s_mul_i32 s18, s27, 3
	s_lshl_b32 s26, s27, 2
	v_addc_co_u32_e32 v7, vcc, v35, v31, vcc
	v_mov_b32_e32 v37, s1
	v_add_co_u32_e32 v8, vcc, s0, v30
	s_add_u32 s1, s16, s18
	v_addc_co_u32_e32 v9, vcc, v37, v31, vcc
	s_addc_u32 s3, s17, 0
	v_mov_b32_e32 v10, s3
	v_add_co_u32_e32 v16, vcc, s1, v0
	v_addc_co_u32_e32 v17, vcc, 0, v10, vcc
	v_add_co_u32_e32 v10, vcc, s6, v16
	v_addc_co_u32_e32 v11, vcc, v32, v17, vcc
	;; [unrolled: 2-line block ×5, first 2 shown]
	s_add_u32 s1, s16, s28
	v_add_co_u32_e32 v18, vcc, s18, v0
	s_addc_u32 s3, s17, 0
	v_addc_co_u32_e64 v19, s[18:19], 0, 0, vcc
	v_mov_b32_e32 v20, s3
	v_add_co_u32_e32 v26, vcc, s1, v0
	v_addc_co_u32_e32 v27, vcc, 0, v20, vcc
	v_add_co_u32_e32 v20, vcc, s6, v26
	v_addc_co_u32_e32 v21, vcc, v32, v27, vcc
	;; [unrolled: 2-line block ×5, first 2 shown]
	v_add_co_u32_e32 v28, vcc, s28, v0
	v_addc_co_u32_e64 v29, s[16:17], 0, 0, vcc
	v_add_co_u32_e32 v36, vcc, s27, v30
	v_addc_co_u32_e32 v38, vcc, 0, v31, vcc
	v_add_co_u32_e32 v30, vcc, s6, v36
	v_addc_co_u32_e32 v31, vcc, v32, v38, vcc
	;; [unrolled: 2-line block ×5, first 2 shown]
	v_add_co_u32_e32 v38, vcc, s27, v0
	v_addc_co_u32_e64 v39, s[0:1], 0, 0, vcc
	s_mov_b64 s[16:17], 0
	s_branch .LBB110_4
.LBB110_3:                              ;   in Loop: Header=BB110_4 Depth=1
	s_or_b64 exec, exec, s[0:1]
	s_add_u32 s16, s16, s26
	s_addc_u32 s17, s17, 0
	s_waitcnt vmcnt(1)
	v_pk_mov_b32 v[40:41], s[12:13], s[12:13] op_sel:[0,1]
	v_cmp_lt_i64_e32 vcc, s[16:17], v[40:41]
	v_mov_b32_e32 v40, 0x10000
	v_mov_b32_e32 v41, 0
	v_cmp_lt_u64_e64 s[0:1], s[16:17], v[40:41]
	s_and_b64 s[0:1], vcc, s[0:1]
	s_and_b64 vcc, exec, s[0:1]
	s_cbranch_vccz .LBB110_28
.LBB110_4:                              ; =>This Inner Loop Header: Depth=1
	v_mov_b32_e32 v41, s17
	v_add_co_u32_e32 v40, vcc, s16, v0
	v_addc_co_u32_e32 v41, vcc, 0, v41, vcc
	v_cmp_gt_u64_e32 vcc, s[14:15], v[40:41]
	v_mov_b32_e32 v41, 0
	s_waitcnt vmcnt(0)
	v_mov_b32_e32 v42, 0
	s_and_saveexec_b64 s[2:3], vcc
	s_cbranch_execz .LBB110_6
; %bb.5:                                ;   in Loop: Header=BB110_4 Depth=1
	v_mov_b32_e32 v40, s17
	v_add_co_u32_e64 v44, s[0:1], s16, v1
	v_addc_co_u32_e64 v45, s[0:1], v3, v40, s[0:1]
	v_add_co_u32_e64 v46, s[0:1], s16, v4
	v_addc_co_u32_e64 v47, s[0:1], v5, v40, s[0:1]
	global_load_ubyte v41, v[44:45], off
	global_load_ubyte v42, v[46:47], off
.LBB110_6:                              ;   in Loop: Header=BB110_4 Depth=1
	s_or_b64 exec, exec, s[2:3]
	v_mov_b32_e32 v40, 0
	v_mov_b32_e32 v44, 0
	s_and_saveexec_b64 s[2:3], vcc
	s_cbranch_execz .LBB110_8
; %bb.7:                                ;   in Loop: Header=BB110_4 Depth=1
	v_mov_b32_e32 v43, s17
	v_add_co_u32_e64 v44, s[0:1], s16, v6
	v_addc_co_u32_e64 v45, s[0:1], v7, v43, s[0:1]
	global_load_ubyte v44, v[44:45], off
.LBB110_8:                              ;   in Loop: Header=BB110_4 Depth=1
	s_or_b64 exec, exec, s[2:3]
	v_mov_b32_e32 v43, s17
	v_add_co_u32_e64 v46, s[0:1], s16, v38
	v_addc_co_u32_e64 v47, s[0:1], v39, v43, s[0:1]
	v_cmp_gt_u64_e64 s[0:1], s[14:15], v[46:47]
	v_mov_b32_e32 v46, 0
	s_and_saveexec_b64 s[6:7], s[0:1]
	s_cbranch_execz .LBB110_10
; %bb.9:                                ;   in Loop: Header=BB110_4 Depth=1
	v_mov_b32_e32 v40, s17
	v_add_co_u32_e64 v48, s[2:3], s16, v32
	v_addc_co_u32_e64 v49, s[2:3], v33, v40, s[2:3]
	v_add_co_u32_e64 v50, s[2:3], s16, v30
	v_addc_co_u32_e64 v51, s[2:3], v31, v40, s[2:3]
	global_load_ubyte v40, v[50:51], off
	global_load_ubyte v46, v[48:49], off
.LBB110_10:                             ;   in Loop: Header=BB110_4 Depth=1
	s_or_b64 exec, exec, s[6:7]
	v_mov_b32_e32 v43, 0
	v_mov_b32_e32 v48, 0
	s_and_saveexec_b64 s[6:7], s[0:1]
	s_cbranch_execz .LBB110_12
; %bb.11:                               ;   in Loop: Header=BB110_4 Depth=1
	v_mov_b32_e32 v45, s17
	v_add_co_u32_e64 v48, s[2:3], s16, v34
	v_addc_co_u32_e64 v49, s[2:3], v35, v45, s[2:3]
	global_load_ubyte v48, v[48:49], off
.LBB110_12:                             ;   in Loop: Header=BB110_4 Depth=1
	s_or_b64 exec, exec, s[6:7]
	v_mov_b32_e32 v45, s17
	v_add_co_u32_e64 v50, s[2:3], s16, v28
	v_addc_co_u32_e64 v51, s[2:3], v29, v45, s[2:3]
	v_cmp_gt_u64_e64 s[2:3], s[14:15], v[50:51]
	v_mov_b32_e32 v47, 0
	s_and_saveexec_b64 s[8:9], s[2:3]
	s_cbranch_execz .LBB110_14
; %bb.13:                               ;   in Loop: Header=BB110_4 Depth=1
	v_mov_b32_e32 v43, s17
	v_add_co_u32_e64 v50, s[6:7], s16, v22
	v_addc_co_u32_e64 v51, s[6:7], v23, v43, s[6:7]
	v_add_co_u32_e64 v52, s[6:7], s16, v20
	v_addc_co_u32_e64 v53, s[6:7], v21, v43, s[6:7]
	global_load_ubyte v43, v[52:53], off
	global_load_ubyte v47, v[50:51], off
.LBB110_14:                             ;   in Loop: Header=BB110_4 Depth=1
	s_or_b64 exec, exec, s[8:9]
	v_mov_b32_e32 v45, 0
	v_mov_b32_e32 v50, 0
	s_and_saveexec_b64 s[8:9], s[2:3]
	s_cbranch_execz .LBB110_16
; %bb.15:                               ;   in Loop: Header=BB110_4 Depth=1
	v_mov_b32_e32 v49, s17
	v_add_co_u32_e64 v50, s[6:7], s16, v24
	v_addc_co_u32_e64 v51, s[6:7], v25, v49, s[6:7]
	global_load_ubyte v50, v[50:51], off
.LBB110_16:                             ;   in Loop: Header=BB110_4 Depth=1
	s_or_b64 exec, exec, s[8:9]
	v_mov_b32_e32 v49, s17
	v_add_co_u32_e64 v52, s[6:7], s16, v18
	v_addc_co_u32_e64 v53, s[6:7], v19, v49, s[6:7]
	v_cmp_gt_u64_e64 s[6:7], s[14:15], v[52:53]
	v_mov_b32_e32 v49, 0
	s_and_saveexec_b64 s[18:19], s[6:7]
	s_cbranch_execnz .LBB110_22
; %bb.17:                               ;   in Loop: Header=BB110_4 Depth=1
	s_or_b64 exec, exec, s[18:19]
	v_mov_b32_e32 v51, 0
	s_and_saveexec_b64 s[18:19], s[6:7]
	s_cbranch_execnz .LBB110_23
.LBB110_18:                             ;   in Loop: Header=BB110_4 Depth=1
	s_or_b64 exec, exec, s[18:19]
	s_and_saveexec_b64 s[8:9], vcc
	s_cbranch_execnz .LBB110_24
.LBB110_19:                             ;   in Loop: Header=BB110_4 Depth=1
	s_or_b64 exec, exec, s[8:9]
	s_and_saveexec_b64 s[8:9], s[0:1]
	s_cbranch_execnz .LBB110_25
.LBB110_20:                             ;   in Loop: Header=BB110_4 Depth=1
	s_or_b64 exec, exec, s[8:9]
	s_and_saveexec_b64 s[0:1], s[2:3]
	s_cbranch_execnz .LBB110_26
.LBB110_21:                             ;   in Loop: Header=BB110_4 Depth=1
	s_or_b64 exec, exec, s[0:1]
	s_and_saveexec_b64 s[0:1], s[6:7]
	s_cbranch_execz .LBB110_3
	s_branch .LBB110_27
.LBB110_22:                             ;   in Loop: Header=BB110_4 Depth=1
	v_mov_b32_e32 v45, s17
	v_add_co_u32_e64 v52, s[8:9], s16, v12
	v_addc_co_u32_e64 v53, s[8:9], v13, v45, s[8:9]
	v_add_co_u32_e64 v54, s[8:9], s16, v10
	v_addc_co_u32_e64 v55, s[8:9], v11, v45, s[8:9]
	global_load_ubyte v45, v[54:55], off
	global_load_ubyte v49, v[52:53], off
	s_or_b64 exec, exec, s[18:19]
	v_mov_b32_e32 v51, 0
	s_and_saveexec_b64 s[18:19], s[6:7]
	s_cbranch_execz .LBB110_18
.LBB110_23:                             ;   in Loop: Header=BB110_4 Depth=1
	v_mov_b32_e32 v51, s17
	v_add_co_u32_e64 v52, s[8:9], s16, v14
	v_addc_co_u32_e64 v53, s[8:9], v15, v51, s[8:9]
	global_load_ubyte v51, v[52:53], off
	s_or_b64 exec, exec, s[18:19]
	s_and_saveexec_b64 s[8:9], vcc
	s_cbranch_execz .LBB110_19
.LBB110_24:                             ;   in Loop: Header=BB110_4 Depth=1
	s_waitcnt vmcnt(0)
	v_cvt_f32_ubyte0_e32 v44, v44
	v_rcp_iflag_f32_e32 v54, v44
	v_cvt_f32_ubyte0_e32 v42, v42
	v_mov_b32_e32 v53, s17
	v_add_co_u32_e32 v52, vcc, s16, v8
	v_mul_f32_e32 v54, v42, v54
	v_trunc_f32_e32 v54, v54
	v_cvt_u32_f32_e32 v55, v54
	v_addc_co_u32_e32 v53, vcc, v9, v53, vcc
	v_mad_f32 v42, -v54, v44, v42
	v_cmp_ge_f32_e64 vcc, |v42|, v44
	v_addc_co_u32_e32 v42, vcc, 0, v55, vcc
	v_mad_legacy_u16 v41, v42, v2, v41
	global_store_byte v[52:53], v41, off
	s_or_b64 exec, exec, s[8:9]
	s_and_saveexec_b64 s[8:9], s[0:1]
	s_cbranch_execz .LBB110_20
.LBB110_25:                             ;   in Loop: Header=BB110_4 Depth=1
	s_waitcnt vmcnt(0)
	v_cvt_f32_ubyte0_e32 v41, v48
	v_rcp_iflag_f32_e32 v42, v41
	v_cvt_f32_ubyte0_e32 v44, v46
	v_mov_b32_e32 v46, s17
	v_mul_f32_e32 v42, v44, v42
	v_trunc_f32_e32 v42, v42
	v_cvt_u32_f32_e32 v48, v42
	v_mad_f32 v42, -v42, v41, v44
	v_cmp_ge_f32_e64 vcc, |v42|, v41
	v_addc_co_u32_e32 v41, vcc, 0, v48, vcc
	v_mad_legacy_u16 v42, v41, v2, v40
	v_add_co_u32_e32 v40, vcc, s16, v36
	v_addc_co_u32_e32 v41, vcc, v37, v46, vcc
	global_store_byte v[40:41], v42, off
	s_or_b64 exec, exec, s[8:9]
	s_and_saveexec_b64 s[0:1], s[2:3]
	s_cbranch_execz .LBB110_21
.LBB110_26:                             ;   in Loop: Header=BB110_4 Depth=1
	s_waitcnt vmcnt(0)
	v_cvt_f32_ubyte0_e32 v40, v50
	v_rcp_iflag_f32_e32 v41, v40
	v_cvt_f32_ubyte0_e32 v42, v47
	v_mov_b32_e32 v44, s17
	v_mul_f32_e32 v41, v42, v41
	v_trunc_f32_e32 v41, v41
	v_cvt_u32_f32_e32 v46, v41
	v_mad_f32 v41, -v41, v40, v42
	v_cmp_ge_f32_e64 vcc, |v41|, v40
	v_addc_co_u32_e32 v40, vcc, 0, v46, vcc
	v_mad_legacy_u16 v42, v40, v2, v43
	v_add_co_u32_e32 v40, vcc, s16, v26
	v_addc_co_u32_e32 v41, vcc, v27, v44, vcc
	global_store_byte v[40:41], v42, off
	s_or_b64 exec, exec, s[0:1]
	s_and_saveexec_b64 s[0:1], s[6:7]
	s_cbranch_execz .LBB110_3
.LBB110_27:                             ;   in Loop: Header=BB110_4 Depth=1
	s_waitcnt vmcnt(0)
	v_cvt_f32_ubyte0_e32 v40, v51
	v_rcp_iflag_f32_e32 v41, v40
	v_cvt_f32_ubyte0_e32 v42, v49
	v_mov_b32_e32 v43, s17
	v_mul_f32_e32 v41, v42, v41
	v_trunc_f32_e32 v41, v41
	v_cvt_u32_f32_e32 v44, v41
	v_mad_f32 v41, -v41, v40, v42
	v_cmp_ge_f32_e64 vcc, |v41|, v40
	v_addc_co_u32_e32 v40, vcc, 0, v44, vcc
	v_mad_legacy_u16 v42, v40, v2, v45
	v_add_co_u32_e32 v40, vcc, s16, v16
	v_addc_co_u32_e32 v41, vcc, v17, v43, vcc
	global_store_byte v[40:41], v42, off
	s_branch .LBB110_3
.LBB110_28:
	s_mov_b64 s[14:15], 0
.LBB110_29:
	s_andn2_b64 vcc, exec, s[14:15]
	s_cbranch_vccnz .LBB110_33
; %bb.30:
	v_lshlrev_b32_e32 v0, 2, v0
	v_mov_b32_e32 v1, 0
	v_cmp_gt_i64_e32 vcc, s[12:13], v[0:1]
	s_and_saveexec_b64 s[0:1], vcc
	s_cbranch_execz .LBB110_33
; %bb.31:
	s_load_dword s0, s[4:5], 0xc1c
	s_mov_b32 s1, 0
	s_mov_b64 s[6:7], 0
	v_mov_b32_e32 v3, s11
	v_mov_b32_e32 v4, s23
	s_waitcnt lgkmcnt(0)
	s_and_b32 s0, s0, 0xffff
	s_lshl_b32 s11, s0, 2
	v_mov_b32_e32 v5, s24
	s_mov_b32 s14, 0x6050400
	v_mov_b32_e32 v6, s25
	v_mov_b32_e32 v7, s1
	s_mov_b64 s[8:9], 0xffff
.LBB110_32:                             ; =>This Inner Loop Header: Depth=1
	v_add_co_u32_e32 v8, vcc, s10, v0
	v_addc_co_u32_e32 v9, vcc, v3, v1, vcc
	v_add_co_u32_e32 v10, vcc, s20, v0
	v_addc_co_u32_e32 v11, vcc, v4, v1, vcc
	;; [unrolled: 2-line block ×3, first 2 shown]
	global_load_dword v14, v[10:11], off
	global_load_dword v15, v[12:13], off
	;; [unrolled: 1-line block ×3, first 2 shown]
	v_add_co_u32_e32 v8, vcc, s22, v0
	v_addc_co_u32_e32 v9, vcc, v6, v1, vcc
	v_add_co_u32_e32 v0, vcc, s11, v0
	v_addc_co_u32_e32 v1, vcc, v7, v1, vcc
	v_cmp_le_i64_e32 vcc, s[12:13], v[0:1]
	v_cmp_lt_u64_e64 s[0:1], s[8:9], v[0:1]
	s_or_b64 s[0:1], vcc, s[0:1]
	s_and_b64 s[0:1], exec, s[0:1]
	s_or_b64 s[6:7], s[0:1], s[6:7]
	s_waitcnt vmcnt(2)
	v_cvt_f32_ubyte1_e32 v13, v14
	s_waitcnt vmcnt(1)
	v_cvt_f32_ubyte1_e32 v17, v15
	v_cvt_f32_ubyte2_e32 v20, v15
	v_cvt_f32_ubyte0_e32 v11, v15
	v_cvt_f32_ubyte3_e32 v15, v15
	v_rcp_iflag_f32_e32 v23, v17
	v_rcp_iflag_f32_e32 v24, v20
	;; [unrolled: 1-line block ×4, first 2 shown]
	v_cvt_f32_ubyte2_e32 v19, v14
	v_cvt_f32_ubyte0_e32 v10, v14
	v_cvt_f32_ubyte3_e32 v14, v14
	v_mul_f32_e32 v23, v13, v23
	v_mul_f32_e32 v24, v19, v24
	;; [unrolled: 1-line block ×4, first 2 shown]
	v_trunc_f32_e32 v23, v23
	v_trunc_f32_e32 v24, v24
	;; [unrolled: 1-line block ×4, first 2 shown]
	v_mad_f32 v13, -v23, v17, v13
	v_cvt_u32_f32_e32 v23, v23
	v_mad_f32 v19, -v24, v20, v19
	v_cvt_u32_f32_e32 v24, v24
	;; [unrolled: 2-line block ×4, first 2 shown]
	v_cmp_ge_f32_e64 vcc, |v13|, v17
	v_cmp_ge_f32_e64 s[0:1], |v19|, v20
	s_waitcnt vmcnt(0)
	v_lshrrev_b32_e32 v12, 8, v16
	v_lshrrev_b32_e32 v18, 16, v16
	v_cmp_ge_f32_e64 s[2:3], |v14|, v15
	v_cmp_ge_f32_e64 s[4:5], |v10|, v11
	v_addc_co_u32_e32 v11, vcc, 0, v23, vcc
	v_addc_co_u32_e64 v13, vcc, 0, v24, s[0:1]
	v_lshrrev_b32_e32 v21, 24, v16
	v_addc_co_u32_e64 v10, s[4:5], 0, v22, s[4:5]
	v_addc_co_u32_e64 v14, vcc, 0, v25, s[2:3]
	v_mad_legacy_u16 v11, v11, v2, v12
	v_mad_legacy_u16 v12, v13, v2, v18
	;; [unrolled: 1-line block ×4, first 2 shown]
	v_and_b32_e32 v11, 0xff, v11
	v_and_b32_e32 v12, 0xff, v12
	v_lshlrev_b32_e32 v13, 24, v13
	v_perm_b32 v10, v11, v10, s14
	v_lshlrev_b32_e32 v11, 16, v12
	v_or3_b32 v10, v10, v11, v13
	global_store_dword v[8:9], v10, off
	s_andn2_b64 exec, exec, s[6:7]
	s_cbranch_execnz .LBB110_32
.LBB110_33:
	s_endpgm
	.section	.rodata,"a",@progbits
	.p2align	6, 0x0
	.amdhsa_kernel _ZN2at6native12_GLOBAL__N_125multi_tensor_apply_kernelINS1_28TensorListScalarListMetadataIhLi4EEENS1_28PointwiseOpScalarListFunctorIhLi4ELi3ELi3EEEJSt7dividesIhEEEEvT_T0_DpT1_
		.amdhsa_group_segment_fixed_size 0
		.amdhsa_private_segment_fixed_size 0
		.amdhsa_kernarg_size 3344
		.amdhsa_user_sgpr_count 6
		.amdhsa_user_sgpr_private_segment_buffer 1
		.amdhsa_user_sgpr_dispatch_ptr 0
		.amdhsa_user_sgpr_queue_ptr 0
		.amdhsa_user_sgpr_kernarg_segment_ptr 1
		.amdhsa_user_sgpr_dispatch_id 0
		.amdhsa_user_sgpr_flat_scratch_init 0
		.amdhsa_user_sgpr_kernarg_preload_length 0
		.amdhsa_user_sgpr_kernarg_preload_offset 0
		.amdhsa_user_sgpr_private_segment_size 0
		.amdhsa_uses_dynamic_stack 0
		.amdhsa_system_sgpr_private_segment_wavefront_offset 0
		.amdhsa_system_sgpr_workgroup_id_x 1
		.amdhsa_system_sgpr_workgroup_id_y 0
		.amdhsa_system_sgpr_workgroup_id_z 0
		.amdhsa_system_sgpr_workgroup_info 0
		.amdhsa_system_vgpr_workitem_id 0
		.amdhsa_next_free_vgpr 56
		.amdhsa_next_free_sgpr 29
		.amdhsa_accum_offset 56
		.amdhsa_reserve_vcc 1
		.amdhsa_reserve_flat_scratch 0
		.amdhsa_float_round_mode_32 0
		.amdhsa_float_round_mode_16_64 0
		.amdhsa_float_denorm_mode_32 3
		.amdhsa_float_denorm_mode_16_64 3
		.amdhsa_dx10_clamp 1
		.amdhsa_ieee_mode 1
		.amdhsa_fp16_overflow 0
		.amdhsa_tg_split 0
		.amdhsa_exception_fp_ieee_invalid_op 0
		.amdhsa_exception_fp_denorm_src 0
		.amdhsa_exception_fp_ieee_div_zero 0
		.amdhsa_exception_fp_ieee_overflow 0
		.amdhsa_exception_fp_ieee_underflow 0
		.amdhsa_exception_fp_ieee_inexact 0
		.amdhsa_exception_int_div_zero 0
	.end_amdhsa_kernel
	.section	.text._ZN2at6native12_GLOBAL__N_125multi_tensor_apply_kernelINS1_28TensorListScalarListMetadataIhLi4EEENS1_28PointwiseOpScalarListFunctorIhLi4ELi3ELi3EEEJSt7dividesIhEEEEvT_T0_DpT1_,"axG",@progbits,_ZN2at6native12_GLOBAL__N_125multi_tensor_apply_kernelINS1_28TensorListScalarListMetadataIhLi4EEENS1_28PointwiseOpScalarListFunctorIhLi4ELi3ELi3EEEJSt7dividesIhEEEEvT_T0_DpT1_,comdat
.Lfunc_end110:
	.size	_ZN2at6native12_GLOBAL__N_125multi_tensor_apply_kernelINS1_28TensorListScalarListMetadataIhLi4EEENS1_28PointwiseOpScalarListFunctorIhLi4ELi3ELi3EEEJSt7dividesIhEEEEvT_T0_DpT1_, .Lfunc_end110-_ZN2at6native12_GLOBAL__N_125multi_tensor_apply_kernelINS1_28TensorListScalarListMetadataIhLi4EEENS1_28PointwiseOpScalarListFunctorIhLi4ELi3ELi3EEEJSt7dividesIhEEEEvT_T0_DpT1_
                                        ; -- End function
	.section	.AMDGPU.csdata,"",@progbits
; Kernel info:
; codeLenInByte = 2108
; NumSgprs: 33
; NumVgprs: 56
; NumAgprs: 0
; TotalNumVgprs: 56
; ScratchSize: 0
; MemoryBound: 0
; FloatMode: 240
; IeeeMode: 1
; LDSByteSize: 0 bytes/workgroup (compile time only)
; SGPRBlocks: 4
; VGPRBlocks: 6
; NumSGPRsForWavesPerEU: 33
; NumVGPRsForWavesPerEU: 56
; AccumOffset: 56
; Occupancy: 8
; WaveLimiterHint : 0
; COMPUTE_PGM_RSRC2:SCRATCH_EN: 0
; COMPUTE_PGM_RSRC2:USER_SGPR: 6
; COMPUTE_PGM_RSRC2:TRAP_HANDLER: 0
; COMPUTE_PGM_RSRC2:TGID_X_EN: 1
; COMPUTE_PGM_RSRC2:TGID_Y_EN: 0
; COMPUTE_PGM_RSRC2:TGID_Z_EN: 0
; COMPUTE_PGM_RSRC2:TIDIG_COMP_CNT: 0
; COMPUTE_PGM_RSRC3_GFX90A:ACCUM_OFFSET: 13
; COMPUTE_PGM_RSRC3_GFX90A:TG_SPLIT: 0
	.section	.text._ZN2at6native12_GLOBAL__N_125multi_tensor_apply_kernelINS1_28TensorListScalarListMetadataIaLi4EEENS1_28PointwiseOpScalarListFunctorIaLi4ELi3ELi3EEEJSt7dividesIaEEEEvT_T0_DpT1_,"axG",@progbits,_ZN2at6native12_GLOBAL__N_125multi_tensor_apply_kernelINS1_28TensorListScalarListMetadataIaLi4EEENS1_28PointwiseOpScalarListFunctorIaLi4ELi3ELi3EEEJSt7dividesIaEEEEvT_T0_DpT1_,comdat
	.globl	_ZN2at6native12_GLOBAL__N_125multi_tensor_apply_kernelINS1_28TensorListScalarListMetadataIaLi4EEENS1_28PointwiseOpScalarListFunctorIaLi4ELi3ELi3EEEJSt7dividesIaEEEEvT_T0_DpT1_ ; -- Begin function _ZN2at6native12_GLOBAL__N_125multi_tensor_apply_kernelINS1_28TensorListScalarListMetadataIaLi4EEENS1_28PointwiseOpScalarListFunctorIaLi4ELi3ELi3EEEJSt7dividesIaEEEEvT_T0_DpT1_
	.p2align	8
	.type	_ZN2at6native12_GLOBAL__N_125multi_tensor_apply_kernelINS1_28TensorListScalarListMetadataIaLi4EEENS1_28PointwiseOpScalarListFunctorIaLi4ELi3ELi3EEEJSt7dividesIaEEEEvT_T0_DpT1_,@function
_ZN2at6native12_GLOBAL__N_125multi_tensor_apply_kernelINS1_28TensorListScalarListMetadataIaLi4EEENS1_28PointwiseOpScalarListFunctorIaLi4ELi3ELi3EEEJSt7dividesIaEEEEvT_T0_DpT1_: ; @_ZN2at6native12_GLOBAL__N_125multi_tensor_apply_kernelINS1_28TensorListScalarListMetadataIaLi4EEENS1_28PointwiseOpScalarListFunctorIaLi4ELi3ELi3EEEJSt7dividesIaEEEEvT_T0_DpT1_
; %bb.0:
	v_mov_b32_e32 v1, s6
	global_load_ubyte v1, v1, s[4:5] offset:1476
	s_add_u32 s0, s4, s6
	s_addc_u32 s1, s5, 0
	s_mul_hi_u32 s2, s6, 3
	s_mul_i32 s6, s6, 3
	s_add_u32 s0, s0, s6
	s_addc_u32 s1, s1, s2
	s_load_dword s0, s[0:1], 0x704
	v_mov_b32_e32 v3, s5
	s_mov_b32 s15, 0
	s_waitcnt vmcnt(0)
	v_add_co_u32_e32 v2, vcc, s4, v1
	v_addc_co_u32_e32 v3, vcc, 0, v3, vcc
	global_load_ubyte v2, v[2:3], off offset:1440
	v_readfirstlane_b32 s1, v1
	s_lshl_b32 s10, s1, 3
	s_load_dwordx2 s[18:19], s[4:5], s10 offset:0x480
	s_load_dwordx2 s[6:7], s[4:5], s10 offset:0x0
	s_waitcnt lgkmcnt(0)
	s_ashr_i32 s1, s0, 31
	s_lshl_b64 s[16:17], s[0:1], 16
	s_load_dwordx2 s[8:9], s[4:5], s10 offset:0x120
	s_load_dwordx2 s[2:3], s[4:5], s10 offset:0x240
	;; [unrolled: 1-line block ×3, first 2 shown]
	s_add_u32 s10, s6, s16
	s_addc_u32 s11, s7, s17
	s_waitcnt lgkmcnt(0)
	s_add_u32 s20, s8, s16
	s_addc_u32 s23, s9, s17
	s_and_b32 s14, s20, 3
	s_cmp_eq_u64 s[14:15], 0
	s_cselect_b64 s[12:13], -1, 0
	s_add_u32 s21, s2, s16
	s_addc_u32 s24, s3, s17
	s_add_u32 s22, s0, s16
	s_addc_u32 s25, s1, s17
	s_or_b32 s14, s22, s21
	s_and_b32 s14, s14, 3
	s_cmp_eq_u32 s14, 0
	s_cselect_b64 s[26:27], -1, 0
	s_and_b64 s[26:27], s[26:27], s[12:13]
	s_sub_u32 s12, s18, s16
	s_subb_u32 s13, s19, s17
	s_or_b64 s[18:19], s[18:19], s[10:11]
	s_and_b32 s14, s18, 3
	s_cmp_eq_u64 s[14:15], 0
	s_cselect_b64 s[14:15], -1, 0
	s_and_b64 s[18:19], s[26:27], s[14:15]
	s_mov_b64 s[14:15], -1
	s_and_b64 vcc, exec, s[18:19]
	s_cbranch_vccnz .LBB111_29
; %bb.1:
	v_cmp_lt_i64_e64 s[14:15], s[12:13], 1
	s_and_b64 vcc, exec, s[14:15]
	s_cbranch_vccnz .LBB111_28
; %bb.2:
	s_load_dword s14, s[4:5], 0xc1c
	v_mov_b32_e32 v4, 0x10000
	v_mov_b32_e32 v5, 0
	v_cmp_lt_u64_e32 vcc, s[12:13], v[4:5]
	v_mov_b32_e32 v1, s17
	s_waitcnt lgkmcnt(0)
	s_and_b32 s27, s14, 0xffff
	s_and_b64 s[14:15], vcc, exec
	v_add_co_u32_e32 v30, vcc, s16, v0
	v_addc_co_u32_e32 v31, vcc, 0, v1, vcc
	v_mov_b32_e32 v32, s7
	v_add_co_u32_e32 v1, vcc, s6, v30
	v_addc_co_u32_e32 v3, vcc, v32, v31, vcc
	v_mov_b32_e32 v33, s9
	v_add_co_u32_e32 v4, vcc, s8, v30
	v_addc_co_u32_e32 v5, vcc, v33, v31, vcc
	v_mov_b32_e32 v35, s3
	v_add_co_u32_e32 v6, vcc, s2, v30
	s_cselect_b32 s15, s13, 0
	s_cselect_b32 s14, s12, 0x10000
	s_lshl_b32 s28, s27, 1
	s_mul_i32 s18, s27, 3
	s_lshl_b32 s26, s27, 2
	v_addc_co_u32_e32 v7, vcc, v35, v31, vcc
	v_mov_b32_e32 v37, s1
	v_add_co_u32_e32 v8, vcc, s0, v30
	s_add_u32 s1, s16, s18
	v_addc_co_u32_e32 v9, vcc, v37, v31, vcc
	s_addc_u32 s3, s17, 0
	v_mov_b32_e32 v10, s3
	v_add_co_u32_e32 v16, vcc, s1, v0
	v_addc_co_u32_e32 v17, vcc, 0, v10, vcc
	v_add_co_u32_e32 v10, vcc, s6, v16
	v_addc_co_u32_e32 v11, vcc, v32, v17, vcc
	;; [unrolled: 2-line block ×5, first 2 shown]
	s_add_u32 s1, s16, s28
	v_add_co_u32_e32 v18, vcc, s18, v0
	s_addc_u32 s3, s17, 0
	v_addc_co_u32_e64 v19, s[18:19], 0, 0, vcc
	v_mov_b32_e32 v20, s3
	v_add_co_u32_e32 v26, vcc, s1, v0
	v_addc_co_u32_e32 v27, vcc, 0, v20, vcc
	v_add_co_u32_e32 v20, vcc, s6, v26
	v_addc_co_u32_e32 v21, vcc, v32, v27, vcc
	;; [unrolled: 2-line block ×5, first 2 shown]
	v_add_co_u32_e32 v28, vcc, s28, v0
	v_addc_co_u32_e64 v29, s[16:17], 0, 0, vcc
	v_add_co_u32_e32 v36, vcc, s27, v30
	v_addc_co_u32_e32 v38, vcc, 0, v31, vcc
	v_add_co_u32_e32 v30, vcc, s6, v36
	v_addc_co_u32_e32 v31, vcc, v32, v38, vcc
	v_add_co_u32_e32 v32, vcc, s8, v36
	v_addc_co_u32_e32 v33, vcc, v33, v38, vcc
	v_add_co_u32_e32 v34, vcc, s2, v36
	v_addc_co_u32_e32 v35, vcc, v35, v38, vcc
	v_add_co_u32_e32 v36, vcc, s0, v36
	v_addc_co_u32_e32 v37, vcc, v37, v38, vcc
	v_add_co_u32_e32 v38, vcc, s27, v0
	v_addc_co_u32_e64 v39, s[0:1], 0, 0, vcc
	s_mov_b64 s[16:17], 0
	s_branch .LBB111_4
.LBB111_3:                              ;   in Loop: Header=BB111_4 Depth=1
	s_or_b64 exec, exec, s[0:1]
	s_add_u32 s16, s16, s26
	s_addc_u32 s17, s17, 0
	s_waitcnt vmcnt(1)
	v_pk_mov_b32 v[40:41], s[12:13], s[12:13] op_sel:[0,1]
	v_cmp_lt_i64_e32 vcc, s[16:17], v[40:41]
	v_mov_b32_e32 v40, 0x10000
	v_mov_b32_e32 v41, 0
	v_cmp_lt_u64_e64 s[0:1], s[16:17], v[40:41]
	s_and_b64 s[0:1], vcc, s[0:1]
	s_and_b64 vcc, exec, s[0:1]
	s_cbranch_vccz .LBB111_28
.LBB111_4:                              ; =>This Inner Loop Header: Depth=1
	v_mov_b32_e32 v41, s17
	v_add_co_u32_e32 v40, vcc, s16, v0
	v_addc_co_u32_e32 v41, vcc, 0, v41, vcc
	v_cmp_gt_u64_e32 vcc, s[14:15], v[40:41]
	v_mov_b32_e32 v41, 0
	s_waitcnt vmcnt(0)
	v_mov_b32_e32 v44, 0
	s_and_saveexec_b64 s[2:3], vcc
	s_cbranch_execz .LBB111_6
; %bb.5:                                ;   in Loop: Header=BB111_4 Depth=1
	v_mov_b32_e32 v40, s17
	v_add_co_u32_e64 v42, s[0:1], s16, v1
	v_addc_co_u32_e64 v43, s[0:1], v3, v40, s[0:1]
	v_add_co_u32_e64 v46, s[0:1], s16, v4
	v_addc_co_u32_e64 v47, s[0:1], v5, v40, s[0:1]
	global_load_ubyte v41, v[42:43], off
	global_load_ubyte v44, v[46:47], off
.LBB111_6:                              ;   in Loop: Header=BB111_4 Depth=1
	s_or_b64 exec, exec, s[2:3]
	v_mov_b32_e32 v40, 0
	v_mov_b32_e32 v46, 0
	s_and_saveexec_b64 s[2:3], vcc
	s_cbranch_execz .LBB111_8
; %bb.7:                                ;   in Loop: Header=BB111_4 Depth=1
	v_mov_b32_e32 v43, s17
	v_add_co_u32_e64 v42, s[0:1], s16, v6
	v_addc_co_u32_e64 v43, s[0:1], v7, v43, s[0:1]
	global_load_ubyte v46, v[42:43], off
.LBB111_8:                              ;   in Loop: Header=BB111_4 Depth=1
	s_or_b64 exec, exec, s[2:3]
	v_mov_b32_e32 v43, s17
	v_add_co_u32_e64 v42, s[0:1], s16, v38
	v_addc_co_u32_e64 v43, s[0:1], v39, v43, s[0:1]
	v_cmp_gt_u64_e64 s[0:1], s[14:15], v[42:43]
	v_mov_b32_e32 v45, 0
	s_and_saveexec_b64 s[6:7], s[0:1]
	s_cbranch_execz .LBB111_10
; %bb.9:                                ;   in Loop: Header=BB111_4 Depth=1
	v_mov_b32_e32 v40, s17
	v_add_co_u32_e64 v42, s[2:3], s16, v32
	v_addc_co_u32_e64 v43, s[2:3], v33, v40, s[2:3]
	v_add_co_u32_e64 v48, s[2:3], s16, v30
	v_addc_co_u32_e64 v49, s[2:3], v31, v40, s[2:3]
	global_load_ubyte v40, v[48:49], off
	global_load_ubyte v45, v[42:43], off
.LBB111_10:                             ;   in Loop: Header=BB111_4 Depth=1
	s_or_b64 exec, exec, s[6:7]
	v_mov_b32_e32 v42, 0
	v_mov_b32_e32 v48, 0
	s_and_saveexec_b64 s[6:7], s[0:1]
	s_cbranch_execz .LBB111_12
; %bb.11:                               ;   in Loop: Header=BB111_4 Depth=1
	v_mov_b32_e32 v43, s17
	v_add_co_u32_e64 v48, s[2:3], s16, v34
	v_addc_co_u32_e64 v49, s[2:3], v35, v43, s[2:3]
	global_load_ubyte v48, v[48:49], off
.LBB111_12:                             ;   in Loop: Header=BB111_4 Depth=1
	s_or_b64 exec, exec, s[6:7]
	v_mov_b32_e32 v43, s17
	v_add_co_u32_e64 v50, s[2:3], s16, v28
	v_addc_co_u32_e64 v51, s[2:3], v29, v43, s[2:3]
	v_cmp_gt_u64_e64 s[2:3], s[14:15], v[50:51]
	v_mov_b32_e32 v47, 0
	s_and_saveexec_b64 s[8:9], s[2:3]
	s_cbranch_execz .LBB111_14
; %bb.13:                               ;   in Loop: Header=BB111_4 Depth=1
	v_mov_b32_e32 v42, s17
	v_add_co_u32_e64 v50, s[6:7], s16, v22
	v_addc_co_u32_e64 v51, s[6:7], v23, v42, s[6:7]
	v_add_co_u32_e64 v52, s[6:7], s16, v20
	v_addc_co_u32_e64 v53, s[6:7], v21, v42, s[6:7]
	global_load_ubyte v42, v[52:53], off
	global_load_ubyte v47, v[50:51], off
.LBB111_14:                             ;   in Loop: Header=BB111_4 Depth=1
	s_or_b64 exec, exec, s[8:9]
	v_mov_b32_e32 v43, 0
	v_mov_b32_e32 v50, 0
	s_and_saveexec_b64 s[8:9], s[2:3]
	s_cbranch_execz .LBB111_16
; %bb.15:                               ;   in Loop: Header=BB111_4 Depth=1
	v_mov_b32_e32 v49, s17
	v_add_co_u32_e64 v50, s[6:7], s16, v24
	v_addc_co_u32_e64 v51, s[6:7], v25, v49, s[6:7]
	global_load_ubyte v50, v[50:51], off
.LBB111_16:                             ;   in Loop: Header=BB111_4 Depth=1
	s_or_b64 exec, exec, s[8:9]
	v_mov_b32_e32 v49, s17
	v_add_co_u32_e64 v52, s[6:7], s16, v18
	v_addc_co_u32_e64 v53, s[6:7], v19, v49, s[6:7]
	v_cmp_gt_u64_e64 s[6:7], s[14:15], v[52:53]
	v_mov_b32_e32 v49, 0
	s_and_saveexec_b64 s[18:19], s[6:7]
	s_cbranch_execnz .LBB111_22
; %bb.17:                               ;   in Loop: Header=BB111_4 Depth=1
	s_or_b64 exec, exec, s[18:19]
	v_mov_b32_e32 v51, 0
	s_and_saveexec_b64 s[18:19], s[6:7]
	s_cbranch_execnz .LBB111_23
.LBB111_18:                             ;   in Loop: Header=BB111_4 Depth=1
	s_or_b64 exec, exec, s[18:19]
	s_and_saveexec_b64 s[8:9], vcc
	s_cbranch_execnz .LBB111_24
.LBB111_19:                             ;   in Loop: Header=BB111_4 Depth=1
	s_or_b64 exec, exec, s[8:9]
	s_and_saveexec_b64 s[8:9], s[0:1]
	s_cbranch_execnz .LBB111_25
.LBB111_20:                             ;   in Loop: Header=BB111_4 Depth=1
	s_or_b64 exec, exec, s[8:9]
	s_and_saveexec_b64 s[0:1], s[2:3]
	s_cbranch_execnz .LBB111_26
.LBB111_21:                             ;   in Loop: Header=BB111_4 Depth=1
	s_or_b64 exec, exec, s[0:1]
	s_and_saveexec_b64 s[0:1], s[6:7]
	s_cbranch_execz .LBB111_3
	s_branch .LBB111_27
.LBB111_22:                             ;   in Loop: Header=BB111_4 Depth=1
	v_mov_b32_e32 v43, s17
	v_add_co_u32_e64 v52, s[8:9], s16, v12
	v_addc_co_u32_e64 v53, s[8:9], v13, v43, s[8:9]
	v_add_co_u32_e64 v54, s[8:9], s16, v10
	v_addc_co_u32_e64 v55, s[8:9], v11, v43, s[8:9]
	global_load_ubyte v43, v[54:55], off
	global_load_ubyte v49, v[52:53], off
	s_or_b64 exec, exec, s[18:19]
	v_mov_b32_e32 v51, 0
	s_and_saveexec_b64 s[18:19], s[6:7]
	s_cbranch_execz .LBB111_18
.LBB111_23:                             ;   in Loop: Header=BB111_4 Depth=1
	v_mov_b32_e32 v51, s17
	v_add_co_u32_e64 v52, s[8:9], s16, v14
	v_addc_co_u32_e64 v53, s[8:9], v15, v51, s[8:9]
	global_load_ubyte v51, v[52:53], off
	s_or_b64 exec, exec, s[18:19]
	s_and_saveexec_b64 s[8:9], vcc
	s_cbranch_execz .LBB111_19
.LBB111_24:                             ;   in Loop: Header=BB111_4 Depth=1
	s_waitcnt vmcnt(0)
	v_cvt_f32_i32_sdwa v52, sext(v46) dst_sel:DWORD dst_unused:UNUSED_PAD src0_sel:BYTE_0
	v_xor_b32_sdwa v46, sext(v44), sext(v46) dst_sel:DWORD dst_unused:UNUSED_PAD src0_sel:BYTE_0 src1_sel:BYTE_0
	v_cvt_f32_i32_sdwa v44, sext(v44) dst_sel:DWORD dst_unused:UNUSED_PAD src0_sel:BYTE_0
	v_ashrrev_i32_e32 v46, 30, v46
	v_rcp_iflag_f32_e32 v53, v52
	v_or_b32_e32 v46, 1, v46
	v_mov_b32_e32 v54, s17
	v_mul_f32_e32 v53, v44, v53
	v_trunc_f32_e32 v53, v53
	v_cvt_i32_f32_e32 v55, v53
	v_mad_f32 v44, -v53, v52, v44
	v_cmp_ge_f32_e64 vcc, |v44|, |v52|
	v_cndmask_b32_e32 v44, 0, v46, vcc
	v_add_u32_e32 v44, v55, v44
	v_add_co_u32_e32 v52, vcc, s16, v8
	v_mad_legacy_u16 v41, v2, v44, v41
	v_addc_co_u32_e32 v53, vcc, v9, v54, vcc
	global_store_byte v[52:53], v41, off
	s_or_b64 exec, exec, s[8:9]
	s_and_saveexec_b64 s[8:9], s[0:1]
	s_cbranch_execz .LBB111_20
.LBB111_25:                             ;   in Loop: Header=BB111_4 Depth=1
	s_waitcnt vmcnt(0)
	v_cvt_f32_i32_sdwa v41, sext(v48) dst_sel:DWORD dst_unused:UNUSED_PAD src0_sel:BYTE_0
	v_xor_b32_sdwa v44, sext(v45), sext(v48) dst_sel:DWORD dst_unused:UNUSED_PAD src0_sel:BYTE_0 src1_sel:BYTE_0
	v_cvt_f32_i32_sdwa v45, sext(v45) dst_sel:DWORD dst_unused:UNUSED_PAD src0_sel:BYTE_0
	v_ashrrev_i32_e32 v44, 30, v44
	v_rcp_iflag_f32_e32 v46, v41
	v_or_b32_e32 v44, 1, v44
	v_mov_b32_e32 v48, s17
	v_mul_f32_e32 v46, v45, v46
	v_trunc_f32_e32 v46, v46
	v_cvt_i32_f32_e32 v52, v46
	v_mad_f32 v45, -v46, v41, v45
	v_cmp_ge_f32_e64 vcc, |v45|, |v41|
	v_cndmask_b32_e32 v41, 0, v44, vcc
	v_add_u32_e32 v41, v52, v41
	v_mad_legacy_u16 v44, v2, v41, v40
	v_add_co_u32_e32 v40, vcc, s16, v36
	v_addc_co_u32_e32 v41, vcc, v37, v48, vcc
	global_store_byte v[40:41], v44, off
	s_or_b64 exec, exec, s[8:9]
	s_and_saveexec_b64 s[0:1], s[2:3]
	s_cbranch_execz .LBB111_21
.LBB111_26:                             ;   in Loop: Header=BB111_4 Depth=1
	s_waitcnt vmcnt(0)
	v_cvt_f32_i32_sdwa v40, sext(v50) dst_sel:DWORD dst_unused:UNUSED_PAD src0_sel:BYTE_0
	v_cvt_f32_i32_sdwa v44, sext(v47) dst_sel:DWORD dst_unused:UNUSED_PAD src0_sel:BYTE_0
	v_xor_b32_sdwa v41, sext(v47), sext(v50) dst_sel:DWORD dst_unused:UNUSED_PAD src0_sel:BYTE_0 src1_sel:BYTE_0
	v_ashrrev_i32_e32 v41, 30, v41
	v_rcp_iflag_f32_e32 v45, v40
	v_or_b32_e32 v41, 1, v41
	v_mov_b32_e32 v46, s17
	v_mul_f32_e32 v45, v44, v45
	v_trunc_f32_e32 v45, v45
	v_cvt_i32_f32_e32 v47, v45
	v_mad_f32 v44, -v45, v40, v44
	v_cmp_ge_f32_e64 vcc, |v44|, |v40|
	v_cndmask_b32_e32 v40, 0, v41, vcc
	v_add_u32_e32 v40, v47, v40
	v_mad_legacy_u16 v42, v2, v40, v42
	v_add_co_u32_e32 v40, vcc, s16, v26
	v_addc_co_u32_e32 v41, vcc, v27, v46, vcc
	global_store_byte v[40:41], v42, off
	s_or_b64 exec, exec, s[0:1]
	s_and_saveexec_b64 s[0:1], s[6:7]
	s_cbranch_execz .LBB111_3
.LBB111_27:                             ;   in Loop: Header=BB111_4 Depth=1
	s_waitcnt vmcnt(0)
	v_cvt_f32_i32_sdwa v40, sext(v51) dst_sel:DWORD dst_unused:UNUSED_PAD src0_sel:BYTE_0
	v_cvt_f32_i32_sdwa v42, sext(v49) dst_sel:DWORD dst_unused:UNUSED_PAD src0_sel:BYTE_0
	v_xor_b32_sdwa v41, sext(v49), sext(v51) dst_sel:DWORD dst_unused:UNUSED_PAD src0_sel:BYTE_0 src1_sel:BYTE_0
	v_ashrrev_i32_e32 v41, 30, v41
	v_rcp_iflag_f32_e32 v44, v40
	v_or_b32_e32 v41, 1, v41
	v_mov_b32_e32 v45, s17
	v_mul_f32_e32 v44, v42, v44
	v_trunc_f32_e32 v44, v44
	v_cvt_i32_f32_e32 v46, v44
	v_mad_f32 v42, -v44, v40, v42
	v_cmp_ge_f32_e64 vcc, |v42|, |v40|
	v_cndmask_b32_e32 v40, 0, v41, vcc
	v_add_u32_e32 v40, v46, v40
	v_mad_legacy_u16 v42, v2, v40, v43
	v_add_co_u32_e32 v40, vcc, s16, v16
	v_addc_co_u32_e32 v41, vcc, v17, v45, vcc
	global_store_byte v[40:41], v42, off
	s_branch .LBB111_3
.LBB111_28:
	s_mov_b64 s[14:15], 0
.LBB111_29:
	s_andn2_b64 vcc, exec, s[14:15]
	s_cbranch_vccnz .LBB111_33
; %bb.30:
	v_lshlrev_b32_e32 v0, 2, v0
	v_mov_b32_e32 v1, 0
	v_cmp_gt_i64_e32 vcc, s[12:13], v[0:1]
	s_and_saveexec_b64 s[0:1], vcc
	s_cbranch_execz .LBB111_33
; %bb.31:
	s_load_dword s0, s[4:5], 0xc1c
	s_mov_b32 s1, 0
	s_mov_b64 s[2:3], 0
	v_mov_b32_e32 v3, s11
	v_mov_b32_e32 v4, s23
	s_waitcnt lgkmcnt(0)
	s_and_b32 s0, s0, 0xffff
	s_lshl_b32 s6, s0, 2
	v_mov_b32_e32 v5, s24
	s_mov_b32 s7, 0x6050400
	v_mov_b32_e32 v6, s25
	v_mov_b32_e32 v7, s1
	s_mov_b64 s[4:5], 0xffff
.LBB111_32:                             ; =>This Inner Loop Header: Depth=1
	v_add_co_u32_e32 v8, vcc, s10, v0
	v_addc_co_u32_e32 v9, vcc, v3, v1, vcc
	v_add_co_u32_e32 v10, vcc, s20, v0
	v_addc_co_u32_e32 v11, vcc, v4, v1, vcc
	;; [unrolled: 2-line block ×3, first 2 shown]
	global_load_dword v14, v[10:11], off
	global_load_dword v15, v[12:13], off
	;; [unrolled: 1-line block ×3, first 2 shown]
	v_add_co_u32_e32 v8, vcc, s22, v0
	v_addc_co_u32_e32 v9, vcc, v6, v1, vcc
	v_add_co_u32_e32 v0, vcc, s6, v0
	v_addc_co_u32_e32 v1, vcc, v7, v1, vcc
	v_cmp_le_i64_e32 vcc, s[12:13], v[0:1]
	v_cmp_lt_u64_e64 s[0:1], s[4:5], v[0:1]
	s_or_b64 s[0:1], vcc, s[0:1]
	s_and_b64 s[0:1], exec, s[0:1]
	s_or_b64 s[2:3], s[0:1], s[2:3]
	s_waitcnt vmcnt(2)
	v_cvt_f32_i32_sdwa v11, sext(v14) dst_sel:DWORD dst_unused:UNUSED_PAD src0_sel:BYTE_0
	s_waitcnt vmcnt(1)
	v_cvt_f32_i32_sdwa v12, sext(v15) dst_sel:DWORD dst_unused:UNUSED_PAD src0_sel:BYTE_0
	v_cvt_f32_i32_sdwa v19, sext(v15) dst_sel:DWORD dst_unused:UNUSED_PAD src0_sel:BYTE_1
	v_cvt_f32_i32_sdwa v23, sext(v15) dst_sel:DWORD dst_unused:UNUSED_PAD src0_sel:BYTE_2
	v_xor_b32_sdwa v10, sext(v14), sext(v15) dst_sel:DWORD dst_unused:UNUSED_PAD src0_sel:BYTE_0 src1_sel:BYTE_0
	v_xor_b32_sdwa v17, sext(v14), sext(v15) dst_sel:DWORD dst_unused:UNUSED_PAD src0_sel:BYTE_1 src1_sel:BYTE_1
	v_xor_b32_sdwa v21, sext(v14), sext(v15) dst_sel:DWORD dst_unused:UNUSED_PAD src0_sel:BYTE_2 src1_sel:BYTE_2
	v_xor_b32_sdwa v25, sext(v14), sext(v15) dst_sel:DWORD dst_unused:UNUSED_PAD src0_sel:BYTE_3 src1_sel:BYTE_3
	v_cvt_f32_i32_sdwa v15, sext(v15) dst_sel:DWORD dst_unused:UNUSED_PAD src0_sel:BYTE_3
	v_rcp_iflag_f32_e32 v26, v12
	v_cvt_f32_i32_sdwa v18, sext(v14) dst_sel:DWORD dst_unused:UNUSED_PAD src0_sel:BYTE_1
	v_cvt_f32_i32_sdwa v22, sext(v14) dst_sel:DWORD dst_unused:UNUSED_PAD src0_sel:BYTE_2
	v_rcp_iflag_f32_e32 v27, v19
	v_rcp_iflag_f32_e32 v28, v23
	v_cvt_f32_i32_sdwa v14, sext(v14) dst_sel:DWORD dst_unused:UNUSED_PAD src0_sel:BYTE_3
	v_rcp_iflag_f32_e32 v29, v15
	v_mul_f32_e32 v26, v11, v26
	v_mul_f32_e32 v27, v18, v27
	v_mul_f32_e32 v28, v22, v28
	v_trunc_f32_e32 v26, v26
	v_ashrrev_i32_e32 v10, 30, v10
	v_mul_f32_e32 v29, v14, v29
	v_trunc_f32_e32 v27, v27
	v_trunc_f32_e32 v28, v28
	v_mad_f32 v11, -v26, v12, v11
	v_ashrrev_i32_e32 v17, 30, v17
	v_or_b32_e32 v10, 1, v10
	v_trunc_f32_e32 v29, v29
	v_mad_f32 v18, -v27, v19, v18
	v_cvt_i32_f32_e32 v27, v27
	v_mad_f32 v22, -v28, v23, v22
	v_cvt_i32_f32_e32 v28, v28
	v_cmp_ge_f32_e64 vcc, |v11|, |v12|
	v_ashrrev_i32_e32 v21, 30, v21
	v_or_b32_e32 v17, 1, v17
	v_cvt_i32_f32_e32 v26, v26
	v_mad_f32 v14, -v29, v15, v14
	v_cvt_i32_f32_e32 v29, v29
	v_cndmask_b32_e32 v10, 0, v10, vcc
	v_cmp_ge_f32_e64 vcc, |v18|, |v19|
	v_ashrrev_i32_e32 v25, 30, v25
	v_or_b32_e32 v21, 1, v21
	v_cndmask_b32_e32 v11, 0, v17, vcc
	v_cmp_ge_f32_e64 vcc, |v22|, |v23|
	v_or_b32_e32 v25, 1, v25
	v_cndmask_b32_e32 v12, 0, v21, vcc
	v_cmp_ge_f32_e64 vcc, |v14|, |v15|
	s_waitcnt vmcnt(0)
	v_lshrrev_b32_e32 v13, 8, v16
	v_lshrrev_b32_e32 v20, 16, v16
	v_cndmask_b32_e32 v14, 0, v25, vcc
	v_add_u32_e32 v11, v27, v11
	v_add_u32_e32 v12, v28, v12
	v_lshrrev_b32_e32 v24, 24, v16
	v_add_u32_e32 v10, v26, v10
	v_add_u32_e32 v14, v29, v14
	v_mad_legacy_u16 v11, v2, v11, v13
	v_mad_legacy_u16 v12, v2, v12, v20
	;; [unrolled: 1-line block ×4, first 2 shown]
	v_and_b32_e32 v11, 0xff, v11
	v_and_b32_e32 v12, 0xff, v12
	v_lshlrev_b32_e32 v13, 24, v13
	v_perm_b32 v10, v11, v10, s7
	v_lshlrev_b32_e32 v11, 16, v12
	v_or3_b32 v10, v10, v11, v13
	global_store_dword v[8:9], v10, off
	s_andn2_b64 exec, exec, s[2:3]
	s_cbranch_execnz .LBB111_32
.LBB111_33:
	s_endpgm
	.section	.rodata,"a",@progbits
	.p2align	6, 0x0
	.amdhsa_kernel _ZN2at6native12_GLOBAL__N_125multi_tensor_apply_kernelINS1_28TensorListScalarListMetadataIaLi4EEENS1_28PointwiseOpScalarListFunctorIaLi4ELi3ELi3EEEJSt7dividesIaEEEEvT_T0_DpT1_
		.amdhsa_group_segment_fixed_size 0
		.amdhsa_private_segment_fixed_size 0
		.amdhsa_kernarg_size 3344
		.amdhsa_user_sgpr_count 6
		.amdhsa_user_sgpr_private_segment_buffer 1
		.amdhsa_user_sgpr_dispatch_ptr 0
		.amdhsa_user_sgpr_queue_ptr 0
		.amdhsa_user_sgpr_kernarg_segment_ptr 1
		.amdhsa_user_sgpr_dispatch_id 0
		.amdhsa_user_sgpr_flat_scratch_init 0
		.amdhsa_user_sgpr_kernarg_preload_length 0
		.amdhsa_user_sgpr_kernarg_preload_offset 0
		.amdhsa_user_sgpr_private_segment_size 0
		.amdhsa_uses_dynamic_stack 0
		.amdhsa_system_sgpr_private_segment_wavefront_offset 0
		.amdhsa_system_sgpr_workgroup_id_x 1
		.amdhsa_system_sgpr_workgroup_id_y 0
		.amdhsa_system_sgpr_workgroup_id_z 0
		.amdhsa_system_sgpr_workgroup_info 0
		.amdhsa_system_vgpr_workitem_id 0
		.amdhsa_next_free_vgpr 56
		.amdhsa_next_free_sgpr 29
		.amdhsa_accum_offset 56
		.amdhsa_reserve_vcc 1
		.amdhsa_reserve_flat_scratch 0
		.amdhsa_float_round_mode_32 0
		.amdhsa_float_round_mode_16_64 0
		.amdhsa_float_denorm_mode_32 3
		.amdhsa_float_denorm_mode_16_64 3
		.amdhsa_dx10_clamp 1
		.amdhsa_ieee_mode 1
		.amdhsa_fp16_overflow 0
		.amdhsa_tg_split 0
		.amdhsa_exception_fp_ieee_invalid_op 0
		.amdhsa_exception_fp_denorm_src 0
		.amdhsa_exception_fp_ieee_div_zero 0
		.amdhsa_exception_fp_ieee_overflow 0
		.amdhsa_exception_fp_ieee_underflow 0
		.amdhsa_exception_fp_ieee_inexact 0
		.amdhsa_exception_int_div_zero 0
	.end_amdhsa_kernel
	.section	.text._ZN2at6native12_GLOBAL__N_125multi_tensor_apply_kernelINS1_28TensorListScalarListMetadataIaLi4EEENS1_28PointwiseOpScalarListFunctorIaLi4ELi3ELi3EEEJSt7dividesIaEEEEvT_T0_DpT1_,"axG",@progbits,_ZN2at6native12_GLOBAL__N_125multi_tensor_apply_kernelINS1_28TensorListScalarListMetadataIaLi4EEENS1_28PointwiseOpScalarListFunctorIaLi4ELi3ELi3EEEJSt7dividesIaEEEEvT_T0_DpT1_,comdat
.Lfunc_end111:
	.size	_ZN2at6native12_GLOBAL__N_125multi_tensor_apply_kernelINS1_28TensorListScalarListMetadataIaLi4EEENS1_28PointwiseOpScalarListFunctorIaLi4ELi3ELi3EEEJSt7dividesIaEEEEvT_T0_DpT1_, .Lfunc_end111-_ZN2at6native12_GLOBAL__N_125multi_tensor_apply_kernelINS1_28TensorListScalarListMetadataIaLi4EEENS1_28PointwiseOpScalarListFunctorIaLi4ELi3ELi3EEEJSt7dividesIaEEEEvT_T0_DpT1_
                                        ; -- End function
	.section	.AMDGPU.csdata,"",@progbits
; Kernel info:
; codeLenInByte = 2320
; NumSgprs: 33
; NumVgprs: 56
; NumAgprs: 0
; TotalNumVgprs: 56
; ScratchSize: 0
; MemoryBound: 0
; FloatMode: 240
; IeeeMode: 1
; LDSByteSize: 0 bytes/workgroup (compile time only)
; SGPRBlocks: 4
; VGPRBlocks: 6
; NumSGPRsForWavesPerEU: 33
; NumVGPRsForWavesPerEU: 56
; AccumOffset: 56
; Occupancy: 8
; WaveLimiterHint : 0
; COMPUTE_PGM_RSRC2:SCRATCH_EN: 0
; COMPUTE_PGM_RSRC2:USER_SGPR: 6
; COMPUTE_PGM_RSRC2:TRAP_HANDLER: 0
; COMPUTE_PGM_RSRC2:TGID_X_EN: 1
; COMPUTE_PGM_RSRC2:TGID_Y_EN: 0
; COMPUTE_PGM_RSRC2:TGID_Z_EN: 0
; COMPUTE_PGM_RSRC2:TIDIG_COMP_CNT: 0
; COMPUTE_PGM_RSRC3_GFX90A:ACCUM_OFFSET: 13
; COMPUTE_PGM_RSRC3_GFX90A:TG_SPLIT: 0
	.section	.text._ZN2at6native12_GLOBAL__N_125multi_tensor_apply_kernelINS1_28TensorListScalarListMetadataIiLi4EEENS1_28PointwiseOpScalarListFunctorIiLi4ELi3ELi3EEEJSt7dividesIiEEEEvT_T0_DpT1_,"axG",@progbits,_ZN2at6native12_GLOBAL__N_125multi_tensor_apply_kernelINS1_28TensorListScalarListMetadataIiLi4EEENS1_28PointwiseOpScalarListFunctorIiLi4ELi3ELi3EEEJSt7dividesIiEEEEvT_T0_DpT1_,comdat
	.globl	_ZN2at6native12_GLOBAL__N_125multi_tensor_apply_kernelINS1_28TensorListScalarListMetadataIiLi4EEENS1_28PointwiseOpScalarListFunctorIiLi4ELi3ELi3EEEJSt7dividesIiEEEEvT_T0_DpT1_ ; -- Begin function _ZN2at6native12_GLOBAL__N_125multi_tensor_apply_kernelINS1_28TensorListScalarListMetadataIiLi4EEENS1_28PointwiseOpScalarListFunctorIiLi4ELi3ELi3EEEJSt7dividesIiEEEEvT_T0_DpT1_
	.p2align	8
	.type	_ZN2at6native12_GLOBAL__N_125multi_tensor_apply_kernelINS1_28TensorListScalarListMetadataIiLi4EEENS1_28PointwiseOpScalarListFunctorIiLi4ELi3ELi3EEEJSt7dividesIiEEEEvT_T0_DpT1_,@function
_ZN2at6native12_GLOBAL__N_125multi_tensor_apply_kernelINS1_28TensorListScalarListMetadataIiLi4EEENS1_28PointwiseOpScalarListFunctorIiLi4ELi3ELi3EEEJSt7dividesIiEEEEvT_T0_DpT1_: ; @_ZN2at6native12_GLOBAL__N_125multi_tensor_apply_kernelINS1_28TensorListScalarListMetadataIiLi4EEENS1_28PointwiseOpScalarListFunctorIiLi4ELi3ELi3EEEJSt7dividesIiEEEEvT_T0_DpT1_
; %bb.0:
	v_mov_b32_e32 v1, s6
	global_load_ubyte v1, v1, s[4:5] offset:1584
	s_add_u32 s0, s4, s6
	s_mul_i32 s1, s6, 3
	s_addc_u32 s2, s5, 0
	s_mul_hi_u32 s3, s6, 3
	s_add_u32 s0, s0, s1
	s_addc_u32 s1, s2, s3
	s_load_dword s0, s[0:1], 0x770
	s_mov_b32 s3, 0
	s_waitcnt vmcnt(0)
	v_readfirstlane_b32 s1, v1
	s_lshl_b32 s2, s1, 3
	s_load_dwordx2 s[6:7], s[4:5], s2 offset:0x480
	s_waitcnt lgkmcnt(0)
	s_ashr_i32 s1, s0, 31
	s_load_dwordx2 s[18:19], s[4:5], s2 offset:0x0
	s_load_dwordx2 s[16:17], s[4:5], s2 offset:0x120
	;; [unrolled: 1-line block ×4, first 2 shown]
	s_add_u32 s2, s4, s2
	v_lshlrev_b32_e32 v1, 2, v1
	s_addc_u32 s8, s5, 0
	s_lshl_b64 s[20:21], s[0:1], 18
	v_mov_b32_e32 v3, s8
	v_sub_co_u32_e32 v2, vcc, s2, v1
	s_waitcnt lgkmcnt(0)
	s_add_u32 s2, s16, s20
	v_subbrev_co_u32_e32 v1, vcc, 0, v3, vcc
	s_and_b32 s22, s18, 15
	s_and_b32 s2, s2, 15
	v_readfirstlane_b32 s8, v2
	v_readfirstlane_b32 s9, v1
	s_cmp_eq_u64 s[2:3], 0
	s_load_dword s28, s[8:9], 0x5a0
	s_cselect_b64 s[8:9], -1, 0
	s_add_u32 s2, s14, s20
	s_or_b32 s2, s10, s2
	s_and_b32 s2, s2, 15
	s_cmp_eq_u32 s2, 0
	s_cselect_b64 s[12:13], -1, 0
	s_lshl_b64 s[0:1], s[0:1], 16
	s_and_b64 s[8:9], s[12:13], s[8:9]
	s_sub_u32 s12, s6, s0
	s_subb_u32 s13, s7, s1
	s_and_b32 s0, s6, 3
	s_or_b32 s2, s22, s0
	s_cmp_eq_u64 s[2:3], 0
	s_cselect_b64 s[0:1], -1, 0
	s_and_b64 s[2:3], s[8:9], s[0:1]
	s_mov_b64 s[0:1], -1
	s_and_b64 vcc, exec, s[2:3]
	s_cbranch_vccnz .LBB112_29
; %bb.1:
	v_cmp_lt_i64_e64 s[0:1], s[12:13], 1
	s_and_b64 vcc, exec, s[0:1]
	s_cbranch_vccnz .LBB112_28
; %bb.2:
	s_load_dword s0, s[4:5], 0xc84
	v_mov_b32_e32 v19, 0
	v_lshlrev_b32_e32 v18, 2, v0
	v_mov_b32_e32 v21, s19
	v_mov_b32_e32 v23, s17
	s_waitcnt lgkmcnt(0)
	s_and_b32 s6, s0, 0xffff
	v_mad_u64_u32 v[16:17], s[2:3], s6, 12, v[18:19]
	v_add_co_u32_e64 v10, s[2:3], s18, v16
	v_addc_co_u32_e64 v5, s[2:3], v21, v17, s[2:3]
	v_add_co_u32_e64 v12, s[2:3], s16, v16
	v_addc_co_u32_e64 v7, s[2:3], v23, v17, s[2:3]
	v_mov_b32_e32 v27, s15
	v_add_co_u32_e64 v14, s[2:3], s14, v16
	v_addc_co_u32_e64 v9, s[2:3], v27, v17, s[2:3]
	v_mov_b32_e32 v2, 0x10000
	v_mov_b32_e32 v31, s11
	v_add_co_u32_e64 v16, s[2:3], s10, v16
	v_mov_b32_e32 v3, 0
	s_mul_i32 s8, s6, 3
	v_addc_co_u32_e64 v11, s[2:3], v31, v17, s[2:3]
	v_cmp_lt_u64_e32 vcc, s[12:13], v[2:3]
	v_add_co_u32_e64 v33, s[2:3], s8, v0
	s_and_b64 s[0:1], vcc, exec
	v_add_co_u32_e32 v2, vcc, s18, v18
	v_addc_co_u32_e64 v35, s[2:3], 0, 0, s[2:3]
	s_cselect_b32 s23, s13, 0
	s_cselect_b32 s22, s12, 0x10000
	v_addc_co_u32_e32 v1, vcc, 0, v21, vcc
	s_lshl_b32 s2, s6, 3
	v_add_co_u32_e32 v4, vcc, s16, v18
	v_add_co_u32_e64 v19, s[2:3], s2, v18
	v_addc_co_u32_e32 v3, vcc, 0, v23, vcc
	v_addc_co_u32_e64 v25, s[2:3], 0, 0, s[2:3]
	v_add_co_u32_e32 v6, vcc, s14, v18
	v_add_co_u32_e64 v8, s[0:1], s10, v18
	v_add_co_u32_e64 v18, s[2:3], s18, v19
	v_addc_co_u32_e64 v13, s[2:3], v21, v25, s[2:3]
	v_add_co_u32_e64 v20, s[2:3], s16, v19
	v_addc_co_u32_e64 v15, s[2:3], v23, v25, s[2:3]
	;; [unrolled: 2-line block ×3, first 2 shown]
	v_add_co_u32_e64 v24, s[2:3], s10, v19
	s_lshl_b32 s7, s6, 1
	v_addc_co_u32_e64 v19, s[2:3], v31, v25, s[2:3]
	v_add_co_u32_e64 v37, s[2:3], s7, v0
	v_addc_co_u32_e64 v39, s[2:3], 0, 0, s[2:3]
	v_add_co_u32_e64 v41, s[2:3], s6, v0
	v_addc_co_u32_e64 v42, s[2:3], 0, 0, s[2:3]
	v_lshlrev_b32_e32 v29, 2, v41
	v_addc_co_u32_e32 v25, vcc, 0, v27, vcc
	v_add_co_u32_e64 v26, s[2:3], s18, v29
	v_add_co_u32_e32 v30, vcc, s14, v29
	v_addc_co_u32_e64 v21, s[2:3], 0, v21, s[2:3]
	v_addc_co_u32_e32 v27, vcc, 0, v27, vcc
	v_add_co_u32_e64 v28, s[2:3], s16, v29
	v_add_co_u32_e32 v32, vcc, s10, v29
	s_mov_b32 s29, 0
	s_lshl_b32 s30, s6, 2
	s_lshl_b32 s31, s6, 4
	s_mov_b64 s[24:25], 0
	v_addc_co_u32_e64 v23, s[2:3], 0, v23, s[2:3]
	v_addc_co_u32_e64 v29, s[0:1], 0, v31, s[0:1]
	v_addc_co_u32_e32 v31, vcc, 0, v31, vcc
	s_branch .LBB112_4
.LBB112_3:                              ;   in Loop: Header=BB112_4 Depth=1
	s_or_b64 exec, exec, s[0:1]
	s_waitcnt vmcnt(1)
	v_mov_b32_e32 v34, s29
	v_add_co_u32_e64 v2, s[2:3], s31, v2
	v_addc_co_u32_e64 v1, s[2:3], v1, v34, s[2:3]
	v_add_co_u32_e64 v4, s[2:3], s31, v4
	v_addc_co_u32_e64 v3, s[2:3], v3, v34, s[2:3]
	;; [unrolled: 2-line block ×12, first 2 shown]
	v_add_co_u32_e64 v26, s[2:3], s31, v26
	s_add_u32 s24, s24, s30
	v_addc_co_u32_e64 v21, s[2:3], v21, v34, s[2:3]
	s_addc_u32 s25, s25, 0
	s_waitcnt vmcnt(0)
	v_pk_mov_b32 v[44:45], s[12:13], s[12:13] op_sel:[0,1]
	v_add_co_u32_e64 v28, s[2:3], s31, v28
	v_cmp_lt_i64_e32 vcc, s[24:25], v[44:45]
	v_mov_b32_e32 v44, 0x10000
	v_addc_co_u32_e64 v23, s[2:3], v23, v34, s[2:3]
	v_mov_b32_e32 v45, 0
	v_add_co_u32_e64 v30, s[2:3], s31, v30
	v_cmp_lt_u64_e64 s[0:1], s[24:25], v[44:45]
	v_addc_co_u32_e64 v27, s[2:3], v27, v34, s[2:3]
	v_add_co_u32_e64 v32, s[2:3], s31, v32
	s_and_b64 s[0:1], vcc, s[0:1]
	v_addc_co_u32_e64 v31, s[2:3], v31, v34, s[2:3]
	s_and_b64 vcc, exec, s[0:1]
	s_cbranch_vccz .LBB112_28
.LBB112_4:                              ; =>This Inner Loop Header: Depth=1
	v_mov_b32_e32 v34, s25
	v_add_co_u32_e32 v44, vcc, s24, v0
	v_addc_co_u32_e32 v45, vcc, 0, v34, vcc
	v_cmp_gt_u64_e32 vcc, s[22:23], v[44:45]
	v_mov_b32_e32 v40, 0
	v_mov_b32_e32 v43, 0
	s_and_saveexec_b64 s[2:3], vcc
	s_cbranch_execz .LBB112_6
; %bb.5:                                ;   in Loop: Header=BB112_4 Depth=1
	v_mov_b32_e32 v34, s21
	v_add_co_u32_e64 v44, s[0:1], s20, v2
	v_addc_co_u32_e64 v45, s[0:1], v1, v34, s[0:1]
	v_add_co_u32_e64 v46, s[0:1], s20, v4
	v_addc_co_u32_e64 v47, s[0:1], v3, v34, s[0:1]
	global_load_dword v40, v[44:45], off
	global_load_dword v43, v[46:47], off
.LBB112_6:                              ;   in Loop: Header=BB112_4 Depth=1
	s_or_b64 exec, exec, s[2:3]
	v_mov_b32_e32 v34, 0
	v_mov_b32_e32 v47, 0
	s_and_saveexec_b64 s[2:3], vcc
	s_cbranch_execz .LBB112_8
; %bb.7:                                ;   in Loop: Header=BB112_4 Depth=1
	v_mov_b32_e32 v36, s21
	v_add_co_u32_e64 v44, s[0:1], s20, v6
	v_addc_co_u32_e64 v45, s[0:1], v25, v36, s[0:1]
	global_load_dword v47, v[44:45], off
.LBB112_8:                              ;   in Loop: Header=BB112_4 Depth=1
	s_or_b64 exec, exec, s[2:3]
	v_mov_b32_e32 v36, s25
	v_add_co_u32_e64 v44, s[0:1], s24, v41
	v_addc_co_u32_e64 v45, s[0:1], v42, v36, s[0:1]
	v_cmp_gt_u64_e64 s[0:1], s[22:23], v[44:45]
	v_mov_b32_e32 v44, 0
	s_and_saveexec_b64 s[6:7], s[0:1]
	s_cbranch_execz .LBB112_10
; %bb.9:                                ;   in Loop: Header=BB112_4 Depth=1
	v_mov_b32_e32 v34, s21
	v_add_co_u32_e64 v48, s[2:3], s20, v26
	v_addc_co_u32_e64 v49, s[2:3], v21, v34, s[2:3]
	v_add_co_u32_e64 v50, s[2:3], s20, v28
	v_addc_co_u32_e64 v51, s[2:3], v23, v34, s[2:3]
	global_load_dword v34, v[48:49], off
	global_load_dword v44, v[50:51], off
.LBB112_10:                             ;   in Loop: Header=BB112_4 Depth=1
	s_or_b64 exec, exec, s[6:7]
	v_mov_b32_e32 v36, 0
	v_mov_b32_e32 v48, 0
	s_and_saveexec_b64 s[6:7], s[0:1]
	s_cbranch_execz .LBB112_12
; %bb.11:                               ;   in Loop: Header=BB112_4 Depth=1
	v_mov_b32_e32 v38, s21
	v_add_co_u32_e64 v48, s[2:3], s20, v30
	v_addc_co_u32_e64 v49, s[2:3], v27, v38, s[2:3]
	global_load_dword v48, v[48:49], off
.LBB112_12:                             ;   in Loop: Header=BB112_4 Depth=1
	s_or_b64 exec, exec, s[6:7]
	v_mov_b32_e32 v38, s25
	v_add_co_u32_e64 v50, s[2:3], s24, v37
	v_addc_co_u32_e64 v51, s[2:3], v39, v38, s[2:3]
	v_cmp_gt_u64_e64 s[2:3], s[22:23], v[50:51]
	v_mov_b32_e32 v45, 0
	s_and_saveexec_b64 s[8:9], s[2:3]
	s_cbranch_execz .LBB112_14
; %bb.13:                               ;   in Loop: Header=BB112_4 Depth=1
	v_mov_b32_e32 v36, s21
	v_add_co_u32_e64 v50, s[6:7], s20, v18
	v_addc_co_u32_e64 v51, s[6:7], v13, v36, s[6:7]
	v_add_co_u32_e64 v52, s[6:7], s20, v20
	v_addc_co_u32_e64 v53, s[6:7], v15, v36, s[6:7]
	global_load_dword v36, v[50:51], off
	global_load_dword v45, v[52:53], off
.LBB112_14:                             ;   in Loop: Header=BB112_4 Depth=1
	s_or_b64 exec, exec, s[8:9]
	v_mov_b32_e32 v38, 0
	v_mov_b32_e32 v49, 0
	s_and_saveexec_b64 s[8:9], s[2:3]
	s_cbranch_execz .LBB112_16
; %bb.15:                               ;   in Loop: Header=BB112_4 Depth=1
	v_mov_b32_e32 v46, s21
	v_add_co_u32_e64 v50, s[6:7], s20, v22
	v_addc_co_u32_e64 v51, s[6:7], v17, v46, s[6:7]
	global_load_dword v49, v[50:51], off
.LBB112_16:                             ;   in Loop: Header=BB112_4 Depth=1
	s_or_b64 exec, exec, s[8:9]
	v_mov_b32_e32 v46, s25
	v_add_co_u32_e64 v50, s[6:7], s24, v33
	v_addc_co_u32_e64 v51, s[6:7], v35, v46, s[6:7]
	v_cmp_gt_u64_e64 s[6:7], s[22:23], v[50:51]
	v_mov_b32_e32 v46, 0
	s_and_saveexec_b64 s[26:27], s[6:7]
	s_cbranch_execnz .LBB112_22
; %bb.17:                               ;   in Loop: Header=BB112_4 Depth=1
	s_or_b64 exec, exec, s[26:27]
	v_mov_b32_e32 v50, 0
	s_and_saveexec_b64 s[26:27], s[6:7]
	s_cbranch_execnz .LBB112_23
.LBB112_18:                             ;   in Loop: Header=BB112_4 Depth=1
	s_or_b64 exec, exec, s[26:27]
	s_and_saveexec_b64 s[8:9], vcc
	s_cbranch_execnz .LBB112_24
.LBB112_19:                             ;   in Loop: Header=BB112_4 Depth=1
	s_or_b64 exec, exec, s[8:9]
	s_and_saveexec_b64 s[8:9], s[0:1]
	s_cbranch_execnz .LBB112_25
.LBB112_20:                             ;   in Loop: Header=BB112_4 Depth=1
	s_or_b64 exec, exec, s[8:9]
	s_and_saveexec_b64 s[0:1], s[2:3]
	s_cbranch_execnz .LBB112_26
.LBB112_21:                             ;   in Loop: Header=BB112_4 Depth=1
	s_or_b64 exec, exec, s[0:1]
	s_and_saveexec_b64 s[0:1], s[6:7]
	s_cbranch_execz .LBB112_3
	s_branch .LBB112_27
.LBB112_22:                             ;   in Loop: Header=BB112_4 Depth=1
	v_mov_b32_e32 v38, s21
	v_add_co_u32_e64 v50, s[8:9], s20, v10
	v_addc_co_u32_e64 v51, s[8:9], v5, v38, s[8:9]
	v_add_co_u32_e64 v52, s[8:9], s20, v12
	v_addc_co_u32_e64 v53, s[8:9], v7, v38, s[8:9]
	global_load_dword v38, v[50:51], off
	global_load_dword v46, v[52:53], off
	s_or_b64 exec, exec, s[26:27]
	v_mov_b32_e32 v50, 0
	s_and_saveexec_b64 s[26:27], s[6:7]
	s_cbranch_execz .LBB112_18
.LBB112_23:                             ;   in Loop: Header=BB112_4 Depth=1
	v_mov_b32_e32 v51, s21
	v_add_co_u32_e64 v50, s[8:9], s20, v14
	v_addc_co_u32_e64 v51, s[8:9], v9, v51, s[8:9]
	global_load_dword v50, v[50:51], off
	s_or_b64 exec, exec, s[26:27]
	s_and_saveexec_b64 s[8:9], vcc
	s_cbranch_execz .LBB112_19
.LBB112_24:                             ;   in Loop: Header=BB112_4 Depth=1
	s_waitcnt vmcnt(0)
	v_sub_u32_e32 v51, 0, v47
	v_max_i32_e32 v51, v47, v51
	v_cvt_f32_u32_e32 v52, v51
	v_sub_u32_e32 v55, 0, v43
	v_xor_b32_e32 v47, v43, v47
	v_max_i32_e32 v43, v43, v55
	v_rcp_iflag_f32_e32 v54, v52
	v_sub_u32_e32 v55, 0, v51
	v_mov_b32_e32 v53, s21
	v_add_co_u32_e32 v52, vcc, s20, v8
	v_mul_f32_e32 v54, 0x4f7ffffe, v54
	v_cvt_u32_f32_e32 v54, v54
	v_addc_co_u32_e32 v53, vcc, v29, v53, vcc
	v_ashrrev_i32_e32 v47, 31, v47
	v_mul_lo_u32 v55, v55, v54
	v_mul_hi_u32 v55, v54, v55
	v_add_u32_e32 v54, v54, v55
	v_mul_hi_u32 v54, v43, v54
	v_mul_lo_u32 v55, v54, v51
	v_sub_u32_e32 v43, v43, v55
	v_add_u32_e32 v55, 1, v54
	v_cmp_ge_u32_e32 vcc, v43, v51
	v_cndmask_b32_e32 v54, v54, v55, vcc
	v_sub_u32_e32 v55, v43, v51
	v_cndmask_b32_e32 v43, v43, v55, vcc
	v_add_u32_e32 v55, 1, v54
	v_cmp_ge_u32_e32 vcc, v43, v51
	v_cndmask_b32_e32 v43, v54, v55, vcc
	v_xor_b32_e32 v43, v43, v47
	v_sub_u32_e32 v43, v43, v47
	v_mad_u64_u32 v[54:55], s[26:27], v43, s28, v[40:41]
	global_store_dword v[52:53], v54, off
	s_or_b64 exec, exec, s[8:9]
	s_and_saveexec_b64 s[8:9], s[0:1]
	s_cbranch_execz .LBB112_20
.LBB112_25:                             ;   in Loop: Header=BB112_4 Depth=1
	s_waitcnt vmcnt(0)
	v_sub_u32_e32 v40, 0, v48
	v_max_i32_e32 v40, v48, v40
	v_cvt_f32_u32_e32 v43, v40
	v_xor_b32_e32 v47, v44, v48
	v_sub_u32_e32 v48, 0, v44
	v_max_i32_e32 v44, v44, v48
	v_rcp_iflag_f32_e32 v43, v43
	v_sub_u32_e32 v48, 0, v40
	v_ashrrev_i32_e32 v47, 31, v47
	v_mul_f32_e32 v43, 0x4f7ffffe, v43
	v_cvt_u32_f32_e32 v43, v43
	v_mul_lo_u32 v48, v48, v43
	v_mul_hi_u32 v48, v43, v48
	v_add_u32_e32 v43, v43, v48
	v_mul_hi_u32 v43, v44, v43
	v_mul_lo_u32 v48, v43, v40
	v_sub_u32_e32 v44, v44, v48
	v_add_u32_e32 v51, 1, v43
	v_cmp_ge_u32_e32 vcc, v44, v40
	v_sub_u32_e32 v48, v44, v40
	v_cndmask_b32_e32 v43, v43, v51, vcc
	v_cndmask_b32_e32 v44, v44, v48, vcc
	v_add_u32_e32 v48, 1, v43
	v_cmp_ge_u32_e32 vcc, v44, v40
	v_cndmask_b32_e32 v40, v43, v48, vcc
	v_xor_b32_e32 v40, v40, v47
	v_sub_u32_e32 v40, v40, v47
	v_mad_u64_u32 v[52:53], s[0:1], v40, s28, v[34:35]
	v_mov_b32_e32 v34, s21
	v_add_co_u32_e32 v54, vcc, s20, v32
	v_addc_co_u32_e32 v55, vcc, v31, v34, vcc
	global_store_dword v[54:55], v52, off
	s_or_b64 exec, exec, s[8:9]
	s_and_saveexec_b64 s[0:1], s[2:3]
	s_cbranch_execz .LBB112_21
.LBB112_26:                             ;   in Loop: Header=BB112_4 Depth=1
	s_waitcnt vmcnt(0)
	v_sub_u32_e32 v34, 0, v49
	v_max_i32_e32 v34, v49, v34
	v_cvt_f32_u32_e32 v40, v34
	v_sub_u32_e32 v44, 0, v45
	v_xor_b32_e32 v43, v45, v49
	v_max_i32_e32 v44, v45, v44
	v_rcp_iflag_f32_e32 v40, v40
	v_sub_u32_e32 v45, 0, v34
	v_ashrrev_i32_e32 v43, 31, v43
	v_mul_f32_e32 v40, 0x4f7ffffe, v40
	v_cvt_u32_f32_e32 v40, v40
	v_mul_lo_u32 v45, v45, v40
	v_mul_hi_u32 v45, v40, v45
	v_add_u32_e32 v40, v40, v45
	v_mul_hi_u32 v40, v44, v40
	v_mul_lo_u32 v45, v40, v34
	v_sub_u32_e32 v44, v44, v45
	v_add_u32_e32 v47, 1, v40
	v_cmp_ge_u32_e32 vcc, v44, v34
	v_sub_u32_e32 v45, v44, v34
	v_cndmask_b32_e32 v40, v40, v47, vcc
	v_cndmask_b32_e32 v44, v44, v45, vcc
	v_add_u32_e32 v45, 1, v40
	v_cmp_ge_u32_e32 vcc, v44, v34
	v_cndmask_b32_e32 v34, v40, v45, vcc
	v_xor_b32_e32 v34, v34, v43
	v_sub_u32_e32 v34, v34, v43
	v_mad_u64_u32 v[44:45], s[2:3], v34, s28, v[36:37]
	v_mov_b32_e32 v34, s21
	v_add_co_u32_e32 v48, vcc, s20, v24
	v_addc_co_u32_e32 v49, vcc, v19, v34, vcc
	global_store_dword v[48:49], v44, off
	s_or_b64 exec, exec, s[0:1]
	s_and_saveexec_b64 s[0:1], s[6:7]
	s_cbranch_execz .LBB112_3
.LBB112_27:                             ;   in Loop: Header=BB112_4 Depth=1
	s_waitcnt vmcnt(0)
	v_sub_u32_e32 v34, 0, v50
	v_max_i32_e32 v34, v50, v34
	v_cvt_f32_u32_e32 v36, v34
	v_sub_u32_e32 v44, 0, v34
	v_sub_u32_e32 v43, 0, v46
	v_max_i32_e32 v43, v46, v43
	v_rcp_iflag_f32_e32 v36, v36
	v_xor_b32_e32 v40, v46, v50
	v_ashrrev_i32_e32 v40, 31, v40
	v_mul_f32_e32 v36, 0x4f7ffffe, v36
	v_cvt_u32_f32_e32 v36, v36
	v_mul_lo_u32 v44, v44, v36
	v_mul_hi_u32 v44, v36, v44
	v_add_u32_e32 v36, v36, v44
	v_mul_hi_u32 v36, v43, v36
	v_mul_lo_u32 v44, v36, v34
	v_sub_u32_e32 v43, v43, v44
	v_add_u32_e32 v45, 1, v36
	v_cmp_ge_u32_e32 vcc, v43, v34
	v_sub_u32_e32 v44, v43, v34
	v_cndmask_b32_e32 v36, v36, v45, vcc
	v_cndmask_b32_e32 v43, v43, v44, vcc
	v_add_u32_e32 v44, 1, v36
	v_cmp_ge_u32_e32 vcc, v43, v34
	v_cndmask_b32_e32 v34, v36, v44, vcc
	v_xor_b32_e32 v34, v34, v40
	v_sub_u32_e32 v34, v34, v40
	v_mad_u64_u32 v[44:45], s[2:3], v34, s28, v[38:39]
	v_mov_b32_e32 v34, s21
	v_add_co_u32_e32 v46, vcc, s20, v16
	v_addc_co_u32_e32 v47, vcc, v11, v34, vcc
	global_store_dword v[46:47], v44, off
	s_branch .LBB112_3
.LBB112_28:
	s_mov_b64 s[0:1], 0
.LBB112_29:
	s_andn2_b64 vcc, exec, s[0:1]
	s_cbranch_vccnz .LBB112_33
; %bb.30:
	v_mov_b32_e32 v3, 0
	v_lshlrev_b32_e32 v2, 2, v0
	s_mov_b32 s0, 0
	v_cmp_gt_i64_e32 vcc, s[12:13], v[2:3]
	s_and_saveexec_b64 s[2:3], vcc
	s_cbranch_execz .LBB112_33
; %bb.31:
	s_load_dword s1, s[4:5], 0xc84
	v_mov_b32_e32 v4, s21
	v_lshlrev_b32_e32 v1, 4, v0
	s_waitcnt lgkmcnt(0)
	s_mov_b32 s22, s28
	s_mov_b64 s[6:7], 0
	s_and_b32 s1, s1, 0xffff
	s_lshl_b32 s21, s1, 2
	s_add_u32 s18, s18, 8
	s_addc_u32 s2, s19, 0
	s_lshl_b32 s19, s1, 4
	s_add_u32 s16, s16, 8
	s_addc_u32 s3, s17, 0
	s_add_u32 s14, s14, 8
	v_add_lshl_u32 v2, v0, s1, 2
	v_add_co_u32_e32 v0, vcc, s20, v1
	s_addc_u32 s4, s15, 0
	v_addc_co_u32_e32 v1, vcc, 0, v4, vcc
	v_mov_b32_e32 v6, s2
	v_mov_b32_e32 v7, s3
	;; [unrolled: 1-line block ×4, first 2 shown]
	s_mov_b64 s[8:9], 0xffff
	v_mov_b32_e32 v10, s0
	v_mov_b32_e32 v11, s0
.LBB112_32:                             ; =>This Inner Loop Header: Depth=1
	v_add_co_u32_e32 v24, vcc, s18, v0
	v_addc_co_u32_e32 v25, vcc, v6, v1, vcc
	v_add_co_u32_e32 v26, vcc, s16, v0
	v_addc_co_u32_e32 v27, vcc, v7, v1, vcc
	;; [unrolled: 2-line block ×3, first 2 shown]
	global_load_dwordx4 v[12:15], v[26:27], off offset:-8
	global_load_dwordx4 v[16:19], v[28:29], off offset:-8
	;; [unrolled: 1-line block ×3, first 2 shown]
	v_add_co_u32_e32 v4, vcc, s10, v0
	v_addc_co_u32_e32 v5, vcc, v9, v1, vcc
	v_cmp_le_i64_e32 vcc, s[12:13], v[2:3]
	v_cmp_lt_u64_e64 s[0:1], s[8:9], v[2:3]
	v_add_co_u32_e64 v2, s[2:3], s21, v2
	v_addc_co_u32_e64 v3, s[2:3], v3, v10, s[2:3]
	s_or_b64 s[0:1], vcc, s[0:1]
	v_add_co_u32_e64 v0, s[2:3], s19, v0
	s_and_b64 s[0:1], exec, s[0:1]
	v_addc_co_u32_e64 v1, s[2:3], v1, v11, s[2:3]
	s_or_b64 s[6:7], s[0:1], s[6:7]
	s_waitcnt vmcnt(2)
	v_sub_u32_e32 v30, 0, v13
	s_waitcnt vmcnt(1)
	v_sub_u32_e32 v28, 0, v16
	v_xor_b32_e32 v25, v12, v16
	v_sub_u32_e32 v31, 0, v17
	v_max_i32_e32 v16, v16, v28
	v_xor_b32_e32 v29, v13, v17
	v_xor_b32_e32 v32, v14, v18
	v_sub_u32_e32 v34, 0, v18
	v_max_i32_e32 v13, v13, v30
	v_max_i32_e32 v17, v17, v31
	v_cvt_f32_u32_e32 v30, v16
	v_sub_u32_e32 v37, 0, v19
	v_ashrrev_i32_e32 v28, 31, v32
	v_max_i32_e32 v18, v18, v34
	v_cvt_f32_u32_e32 v32, v17
	v_xor_b32_e32 v35, v15, v19
	v_sub_u32_e32 v36, 0, v15
	v_max_i32_e32 v19, v19, v37
	v_cvt_f32_u32_e32 v34, v18
	v_max_i32_e32 v15, v15, v36
	v_cvt_f32_u32_e32 v36, v19
	v_rcp_iflag_f32_e32 v30, v30
	v_rcp_iflag_f32_e32 v32, v32
	;; [unrolled: 1-line block ×4, first 2 shown]
	v_mul_f32_e32 v30, 0x4f7ffffe, v30
	v_mul_f32_e32 v32, 0x4f7ffffe, v32
	v_cvt_u32_f32_e32 v30, v30
	v_mul_f32_e32 v34, 0x4f7ffffe, v34
	v_cvt_u32_f32_e32 v32, v32
	;; [unrolled: 2-line block ×3, first 2 shown]
	v_sub_u32_e32 v33, 0, v14
	v_sub_u32_e32 v31, 0, v16
	v_cvt_u32_f32_e32 v36, v36
	v_sub_u32_e32 v27, 0, v12
	v_max_i32_e32 v14, v14, v33
	v_sub_u32_e32 v33, 0, v17
	v_mul_lo_u32 v31, v31, v30
	v_max_i32_e32 v12, v12, v27
	v_ashrrev_i32_e32 v27, 31, v29
	v_ashrrev_i32_e32 v29, 31, v35
	v_sub_u32_e32 v35, 0, v18
	v_mul_lo_u32 v33, v33, v32
	v_mul_hi_u32 v31, v30, v31
	v_sub_u32_e32 v37, 0, v19
	v_mul_lo_u32 v35, v35, v34
	v_mul_hi_u32 v33, v32, v33
	v_add_u32_e32 v30, v30, v31
	v_mul_lo_u32 v37, v37, v36
	v_mul_hi_u32 v35, v34, v35
	v_add_u32_e32 v31, v32, v33
	v_mul_hi_u32 v30, v12, v30
	v_mul_hi_u32 v37, v36, v37
	v_add_u32_e32 v32, v34, v35
	v_mul_hi_u32 v31, v13, v31
	v_mul_lo_u32 v34, v30, v16
	v_add_u32_e32 v33, v36, v37
	v_mul_hi_u32 v32, v14, v32
	v_mul_lo_u32 v36, v31, v17
	v_sub_u32_e32 v12, v12, v34
	v_mul_hi_u32 v33, v15, v33
	v_add_u32_e32 v35, 1, v30
	v_mul_lo_u32 v38, v32, v18
	v_sub_u32_e32 v13, v13, v36
	v_cmp_ge_u32_e32 vcc, v12, v16
	v_sub_u32_e32 v34, v12, v16
	v_add_u32_e32 v37, 1, v31
	v_mul_lo_u32 v40, v33, v19
	v_sub_u32_e32 v14, v14, v38
	v_cndmask_b32_e32 v30, v30, v35, vcc
	v_cmp_ge_u32_e64 s[0:1], v13, v17
	v_sub_u32_e32 v35, v13, v17
	v_cndmask_b32_e32 v12, v12, v34, vcc
	v_add_u32_e32 v39, 1, v32
	v_sub_u32_e32 v15, v15, v40
	v_cndmask_b32_e64 v31, v31, v37, s[0:1]
	v_cmp_ge_u32_e64 s[2:3], v14, v18
	v_sub_u32_e32 v36, v14, v18
	v_add_u32_e32 v34, 1, v30
	v_cndmask_b32_e64 v13, v13, v35, s[0:1]
	v_cmp_ge_u32_e32 vcc, v12, v16
	v_add_u32_e32 v41, 1, v33
	v_cndmask_b32_e64 v32, v32, v39, s[2:3]
	v_cmp_ge_u32_e64 s[4:5], v15, v19
	v_sub_u32_e32 v37, v15, v19
	v_add_u32_e32 v35, 1, v31
	v_cndmask_b32_e64 v14, v14, v36, s[2:3]
	v_cndmask_b32_e32 v12, v30, v34, vcc
	v_cmp_ge_u32_e32 vcc, v13, v17
	v_cndmask_b32_e64 v33, v33, v41, s[4:5]
	v_add_u32_e32 v36, 1, v32
	v_cndmask_b32_e64 v15, v15, v37, s[4:5]
	v_cndmask_b32_e32 v13, v31, v35, vcc
	v_cmp_ge_u32_e32 vcc, v14, v18
	v_add_u32_e32 v37, 1, v33
	v_cndmask_b32_e32 v14, v32, v36, vcc
	v_cmp_ge_u32_e32 vcc, v15, v19
	v_ashrrev_i32_e32 v25, 31, v25
	v_cndmask_b32_e32 v15, v33, v37, vcc
	v_xor_b32_e32 v12, v12, v25
	v_xor_b32_e32 v13, v13, v27
	;; [unrolled: 1-line block ×4, first 2 shown]
	s_waitcnt vmcnt(0)
	v_mov_b32_e32 v24, v21
	v_mov_b32_e32 v26, v23
	v_sub_u32_e32 v12, v12, v25
	v_sub_u32_e32 v13, v13, v27
	;; [unrolled: 1-line block ×4, first 2 shown]
	v_mad_u64_u32 v[16:17], s[0:1], v13, s22, v[24:25]
	v_mad_u64_u32 v[12:13], s[0:1], v12, s28, v[20:21]
	;; [unrolled: 1-line block ×4, first 2 shown]
	v_mov_b32_e32 v13, v16
	v_mov_b32_e32 v15, v18
	global_store_dwordx4 v[4:5], v[12:15], off
	s_andn2_b64 exec, exec, s[6:7]
	s_cbranch_execnz .LBB112_32
.LBB112_33:
	s_endpgm
	.section	.rodata,"a",@progbits
	.p2align	6, 0x0
	.amdhsa_kernel _ZN2at6native12_GLOBAL__N_125multi_tensor_apply_kernelINS1_28TensorListScalarListMetadataIiLi4EEENS1_28PointwiseOpScalarListFunctorIiLi4ELi3ELi3EEEJSt7dividesIiEEEEvT_T0_DpT1_
		.amdhsa_group_segment_fixed_size 0
		.amdhsa_private_segment_fixed_size 0
		.amdhsa_kernarg_size 3448
		.amdhsa_user_sgpr_count 6
		.amdhsa_user_sgpr_private_segment_buffer 1
		.amdhsa_user_sgpr_dispatch_ptr 0
		.amdhsa_user_sgpr_queue_ptr 0
		.amdhsa_user_sgpr_kernarg_segment_ptr 1
		.amdhsa_user_sgpr_dispatch_id 0
		.amdhsa_user_sgpr_flat_scratch_init 0
		.amdhsa_user_sgpr_kernarg_preload_length 0
		.amdhsa_user_sgpr_kernarg_preload_offset 0
		.amdhsa_user_sgpr_private_segment_size 0
		.amdhsa_uses_dynamic_stack 0
		.amdhsa_system_sgpr_private_segment_wavefront_offset 0
		.amdhsa_system_sgpr_workgroup_id_x 1
		.amdhsa_system_sgpr_workgroup_id_y 0
		.amdhsa_system_sgpr_workgroup_id_z 0
		.amdhsa_system_sgpr_workgroup_info 0
		.amdhsa_system_vgpr_workitem_id 0
		.amdhsa_next_free_vgpr 56
		.amdhsa_next_free_sgpr 32
		.amdhsa_accum_offset 56
		.amdhsa_reserve_vcc 1
		.amdhsa_reserve_flat_scratch 0
		.amdhsa_float_round_mode_32 0
		.amdhsa_float_round_mode_16_64 0
		.amdhsa_float_denorm_mode_32 3
		.amdhsa_float_denorm_mode_16_64 3
		.amdhsa_dx10_clamp 1
		.amdhsa_ieee_mode 1
		.amdhsa_fp16_overflow 0
		.amdhsa_tg_split 0
		.amdhsa_exception_fp_ieee_invalid_op 0
		.amdhsa_exception_fp_denorm_src 0
		.amdhsa_exception_fp_ieee_div_zero 0
		.amdhsa_exception_fp_ieee_overflow 0
		.amdhsa_exception_fp_ieee_underflow 0
		.amdhsa_exception_fp_ieee_inexact 0
		.amdhsa_exception_int_div_zero 0
	.end_amdhsa_kernel
	.section	.text._ZN2at6native12_GLOBAL__N_125multi_tensor_apply_kernelINS1_28TensorListScalarListMetadataIiLi4EEENS1_28PointwiseOpScalarListFunctorIiLi4ELi3ELi3EEEJSt7dividesIiEEEEvT_T0_DpT1_,"axG",@progbits,_ZN2at6native12_GLOBAL__N_125multi_tensor_apply_kernelINS1_28TensorListScalarListMetadataIiLi4EEENS1_28PointwiseOpScalarListFunctorIiLi4ELi3ELi3EEEJSt7dividesIiEEEEvT_T0_DpT1_,comdat
.Lfunc_end112:
	.size	_ZN2at6native12_GLOBAL__N_125multi_tensor_apply_kernelINS1_28TensorListScalarListMetadataIiLi4EEENS1_28PointwiseOpScalarListFunctorIiLi4ELi3ELi3EEEJSt7dividesIiEEEEvT_T0_DpT1_, .Lfunc_end112-_ZN2at6native12_GLOBAL__N_125multi_tensor_apply_kernelINS1_28TensorListScalarListMetadataIiLi4EEENS1_28PointwiseOpScalarListFunctorIiLi4ELi3ELi3EEEJSt7dividesIiEEEEvT_T0_DpT1_
                                        ; -- End function
	.section	.AMDGPU.csdata,"",@progbits
; Kernel info:
; codeLenInByte = 3196
; NumSgprs: 36
; NumVgprs: 56
; NumAgprs: 0
; TotalNumVgprs: 56
; ScratchSize: 0
; MemoryBound: 0
; FloatMode: 240
; IeeeMode: 1
; LDSByteSize: 0 bytes/workgroup (compile time only)
; SGPRBlocks: 4
; VGPRBlocks: 6
; NumSGPRsForWavesPerEU: 36
; NumVGPRsForWavesPerEU: 56
; AccumOffset: 56
; Occupancy: 8
; WaveLimiterHint : 0
; COMPUTE_PGM_RSRC2:SCRATCH_EN: 0
; COMPUTE_PGM_RSRC2:USER_SGPR: 6
; COMPUTE_PGM_RSRC2:TRAP_HANDLER: 0
; COMPUTE_PGM_RSRC2:TGID_X_EN: 1
; COMPUTE_PGM_RSRC2:TGID_Y_EN: 0
; COMPUTE_PGM_RSRC2:TGID_Z_EN: 0
; COMPUTE_PGM_RSRC2:TIDIG_COMP_CNT: 0
; COMPUTE_PGM_RSRC3_GFX90A:ACCUM_OFFSET: 13
; COMPUTE_PGM_RSRC3_GFX90A:TG_SPLIT: 0
	.section	.text._ZN2at6native12_GLOBAL__N_125multi_tensor_apply_kernelINS1_28TensorListScalarListMetadataIlLi4EEENS1_28PointwiseOpScalarListFunctorIlLi4ELi3ELi3EEEJSt7dividesIlEEEEvT_T0_DpT1_,"axG",@progbits,_ZN2at6native12_GLOBAL__N_125multi_tensor_apply_kernelINS1_28TensorListScalarListMetadataIlLi4EEENS1_28PointwiseOpScalarListFunctorIlLi4ELi3ELi3EEEJSt7dividesIlEEEEvT_T0_DpT1_,comdat
	.globl	_ZN2at6native12_GLOBAL__N_125multi_tensor_apply_kernelINS1_28TensorListScalarListMetadataIlLi4EEENS1_28PointwiseOpScalarListFunctorIlLi4ELi3ELi3EEEJSt7dividesIlEEEEvT_T0_DpT1_ ; -- Begin function _ZN2at6native12_GLOBAL__N_125multi_tensor_apply_kernelINS1_28TensorListScalarListMetadataIlLi4EEENS1_28PointwiseOpScalarListFunctorIlLi4ELi3ELi3EEEJSt7dividesIlEEEEvT_T0_DpT1_
	.p2align	8
	.type	_ZN2at6native12_GLOBAL__N_125multi_tensor_apply_kernelINS1_28TensorListScalarListMetadataIlLi4EEENS1_28PointwiseOpScalarListFunctorIlLi4ELi3ELi3EEEJSt7dividesIlEEEEvT_T0_DpT1_,@function
_ZN2at6native12_GLOBAL__N_125multi_tensor_apply_kernelINS1_28TensorListScalarListMetadataIlLi4EEENS1_28PointwiseOpScalarListFunctorIlLi4ELi3ELi3EEEJSt7dividesIlEEEEvT_T0_DpT1_: ; @_ZN2at6native12_GLOBAL__N_125multi_tensor_apply_kernelINS1_28TensorListScalarListMetadataIlLi4EEENS1_28PointwiseOpScalarListFunctorIlLi4ELi3ELi3EEEJSt7dividesIlEEEEvT_T0_DpT1_
; %bb.0:
	v_mov_b32_e32 v1, s6
	global_load_ubyte v1, v1, s[4:5] offset:1728
	s_add_u32 s0, s4, s6
	s_mul_hi_u32 s1, s6, 3
	s_mul_i32 s6, s6, 3
	s_addc_u32 s2, s5, 0
	s_add_u32 s0, s0, s6
	s_addc_u32 s1, s2, s1
	s_load_dword s20, s[0:1], 0x800
	s_mov_b32 s11, 0
	s_mov_b32 s15, s11
	s_mov_b32 s19, s11
	s_waitcnt lgkmcnt(0)
	s_ashr_i32 s21, s20, 31
	s_lshl_b64 s[16:17], s[20:21], 19
	s_waitcnt vmcnt(0)
	v_readfirstlane_b32 s0, v1
	s_lshl_b32 s10, s0, 3
	s_load_dwordx2 s[22:23], s[4:5], s10 offset:0x480
	s_load_dwordx2 s[12:13], s[4:5], s10 offset:0x5a0
	;; [unrolled: 1-line block ×6, first 2 shown]
	s_waitcnt lgkmcnt(0)
	s_add_u32 s24, s8, s16
	s_addc_u32 s25, s9, s17
	s_and_b32 s10, s24, 31
	s_add_u32 s26, s6, s16
	s_addc_u32 s27, s7, s17
	s_and_b32 s14, s26, 31
	s_cmp_eq_u64 s[14:15], 0
	s_cselect_b64 s[14:15], -1, 0
	s_add_u32 s28, s2, s16
	s_addc_u32 s29, s3, s17
	s_add_u32 s30, s0, s16
	s_addc_u32 s31, s1, s17
	s_or_b32 s18, s30, s28
	s_and_b32 s18, s18, 31
	s_cmp_eq_u32 s18, 0
	s_cselect_b64 s[34:35], -1, 0
	s_lshl_b64 s[20:21], s[20:21], 16
	s_and_b64 s[34:35], s[34:35], s[14:15]
	s_sub_u32 s14, s22, s20
	s_subb_u32 s15, s23, s21
	s_and_b32 s18, s22, 3
	s_or_b64 s[10:11], s[10:11], s[18:19]
	s_cmp_eq_u64 s[10:11], 0
	s_cselect_b64 s[10:11], -1, 0
	s_and_b64 s[18:19], s[34:35], s[10:11]
	s_mov_b64 s[10:11], -1
	s_and_b64 vcc, exec, s[18:19]
	s_cbranch_vccnz .LBB113_45
; %bb.1:
	v_cmp_lt_i64_e64 s[10:11], s[14:15], 1
	s_and_b64 vcc, exec, s[10:11]
	s_cbranch_vccnz .LBB113_44
; %bb.2:
	s_load_dword s10, s[4:5], 0xd14
	v_mov_b32_e32 v4, 0x10000
	v_mov_b32_e32 v5, 0
	;; [unrolled: 1-line block ×3, first 2 shown]
	v_cmp_lt_u64_e32 vcc, s[14:15], v[4:5]
	s_waitcnt lgkmcnt(0)
	s_and_b32 s20, s10, 0xffff
	v_lshlrev_b32_e32 v32, 3, v0
	s_and_b64 s[10:11], vcc, exec
	v_mov_b32_e32 v33, v2
	v_mov_b32_e32 v3, s9
	v_add_co_u32_e32 v4, vcc, s8, v32
	v_addc_co_u32_e32 v1, vcc, 0, v3, vcc
	v_mad_u64_u32 v[12:13], s[10:11], s20, 24, v[32:33]
	v_add_co_u32_e32 v6, vcc, s8, v12
	v_addc_co_u32_e32 v5, vcc, v3, v13, vcc
	v_mov_b32_e32 v25, s7
	v_add_co_u32_e32 v8, vcc, s6, v12
	v_addc_co_u32_e32 v7, vcc, v25, v13, vcc
	v_mov_b32_e32 v29, s3
	;; [unrolled: 3-line block ×3, first 2 shown]
	v_add_co_u32_e32 v12, vcc, s0, v12
	s_mul_i32 s22, s20, 3
	v_addc_co_u32_e32 v11, vcc, v36, v13, vcc
	s_cselect_b32 s19, s15, 0
	s_cselect_b32 s18, s14, 0x10000
	v_add_co_u32_e32 v35, vcc, s22, v0
	s_lshl_b32 s1, s20, 4
	v_addc_co_u32_e64 v62, s[10:11], 0, 0, vcc
	v_add_co_u32_e32 v19, vcc, s1, v32
	v_addc_co_u32_e64 v21, s[10:11], 0, 0, vcc
	v_add_co_u32_e32 v14, vcc, s8, v19
	v_addc_co_u32_e32 v13, vcc, v3, v21, vcc
	v_add_co_u32_e32 v16, vcc, s6, v19
	v_addc_co_u32_e32 v15, vcc, v25, v21, vcc
	;; [unrolled: 2-line block ×3, first 2 shown]
	v_add_co_u32_e32 v20, vcc, s0, v19
	s_lshl_b32 s21, s20, 1
	v_addc_co_u32_e32 v19, vcc, v36, v21, vcc
	v_add_co_u32_e32 v63, vcc, s21, v0
	v_addc_co_u32_e64 v64, s[10:11], 0, 0, vcc
	v_add_co_u32_e32 v65, vcc, s20, v0
	v_lshlrev_b32_e32 v33, 3, v65
	v_addc_co_u32_e64 v66, s[10:11], 0, 0, vcc
	v_add_co_u32_e32 v22, vcc, s8, v33
	v_addc_co_u32_e32 v21, vcc, 0, v3, vcc
	v_add_co_u32_e32 v24, vcc, s6, v32
	v_addc_co_u32_e32 v23, vcc, 0, v25, vcc
	;; [unrolled: 2-line block ×6, first 2 shown]
	v_add_co_u32_e32 v34, vcc, s0, v33
	s_mov_b32 s33, 0
	s_lshl_b32 s34, s20, 2
	s_lshl_b32 s35, s20, 5
	s_mov_b64 s[20:21], 0
	v_addc_co_u32_e32 v33, vcc, 0, v36, vcc
	s_branch .LBB113_4
.LBB113_3:                              ;   in Loop: Header=BB113_4 Depth=1
	s_or_b64 exec, exec, s[0:1]
	s_add_u32 s20, s20, s34
	s_addc_u32 s21, s21, 0
	v_pk_mov_b32 v[36:37], s[14:15], s[14:15] op_sel:[0,1]
	v_cmp_lt_i64_e32 vcc, s[20:21], v[36:37]
	v_mov_b32_e32 v36, 0x10000
	v_mov_b32_e32 v37, 0
	v_cmp_lt_u64_e64 s[0:1], s[20:21], v[36:37]
	s_and_b64 s[0:1], vcc, s[0:1]
	v_mov_b32_e32 v3, s33
	v_add_co_u32_e32 v4, vcc, s35, v4
	v_addc_co_u32_e32 v1, vcc, v1, v3, vcc
	v_add_co_u32_e32 v24, vcc, s35, v24
	v_addc_co_u32_e32 v23, vcc, v23, v3, vcc
	;; [unrolled: 2-line block ×16, first 2 shown]
	s_and_b64 vcc, exec, s[0:1]
	s_cbranch_vccz .LBB113_44
.LBB113_4:                              ; =>This Inner Loop Header: Depth=1
	v_mov_b32_e32 v3, s21
	v_add_co_u32_e32 v36, vcc, s20, v0
	v_addc_co_u32_e32 v37, vcc, 0, v3, vcc
	v_pk_mov_b32 v[46:47], 0, 0
	v_cmp_gt_u64_e64 s[8:9], s[18:19], v[36:37]
	v_pk_mov_b32 v[36:37], v[46:47], v[46:47] op_sel:[0,1]
	v_pk_mov_b32 v[42:43], v[46:47], v[46:47] op_sel:[0,1]
	s_and_saveexec_b64 s[0:1], s[8:9]
	s_cbranch_execz .LBB113_6
; %bb.5:                                ;   in Loop: Header=BB113_4 Depth=1
	v_mov_b32_e32 v3, s17
	v_add_co_u32_e32 v38, vcc, s16, v4
	v_addc_co_u32_e32 v39, vcc, v1, v3, vcc
	v_add_co_u32_e32 v40, vcc, s16, v24
	v_addc_co_u32_e32 v41, vcc, v23, v3, vcc
	global_load_dwordx2 v[36:37], v[38:39], off
	global_load_dwordx2 v[42:43], v[40:41], off
.LBB113_6:                              ;   in Loop: Header=BB113_4 Depth=1
	s_or_b64 exec, exec, s[0:1]
	s_and_saveexec_b64 s[0:1], s[8:9]
	s_cbranch_execz .LBB113_8
; %bb.7:                                ;   in Loop: Header=BB113_4 Depth=1
	v_mov_b32_e32 v3, s17
	v_add_co_u32_e32 v38, vcc, s16, v28
	v_addc_co_u32_e32 v39, vcc, v27, v3, vcc
	global_load_dwordx2 v[46:47], v[38:39], off
.LBB113_8:                              ;   in Loop: Header=BB113_4 Depth=1
	s_or_b64 exec, exec, s[0:1]
	v_mov_b32_e32 v3, s21
	v_add_co_u32_e32 v38, vcc, s20, v65
	v_addc_co_u32_e32 v39, vcc, v66, v3, vcc
	v_pk_mov_b32 v[60:61], 0, 0
	v_cmp_gt_u64_e64 s[0:1], s[18:19], v[38:39]
	v_pk_mov_b32 v[38:39], v[60:61], v[60:61] op_sel:[0,1]
	v_pk_mov_b32 v[54:55], v[60:61], v[60:61] op_sel:[0,1]
	s_and_saveexec_b64 s[2:3], s[0:1]
	s_cbranch_execz .LBB113_10
; %bb.9:                                ;   in Loop: Header=BB113_4 Depth=1
	v_mov_b32_e32 v3, s17
	v_add_co_u32_e32 v40, vcc, s16, v22
	v_addc_co_u32_e32 v41, vcc, v21, v3, vcc
	v_add_co_u32_e32 v44, vcc, s16, v26
	v_addc_co_u32_e32 v45, vcc, v25, v3, vcc
	global_load_dwordx2 v[38:39], v[40:41], off
	global_load_dwordx2 v[54:55], v[44:45], off
.LBB113_10:                             ;   in Loop: Header=BB113_4 Depth=1
	s_or_b64 exec, exec, s[2:3]
	s_and_saveexec_b64 s[2:3], s[0:1]
	s_cbranch_execz .LBB113_12
; %bb.11:                               ;   in Loop: Header=BB113_4 Depth=1
	v_mov_b32_e32 v3, s17
	v_add_co_u32_e32 v40, vcc, s16, v30
	v_addc_co_u32_e32 v41, vcc, v29, v3, vcc
	global_load_dwordx2 v[60:61], v[40:41], off
.LBB113_12:                             ;   in Loop: Header=BB113_4 Depth=1
	s_or_b64 exec, exec, s[2:3]
	v_mov_b32_e32 v3, s21
	v_add_co_u32_e32 v40, vcc, s20, v63
	v_addc_co_u32_e32 v41, vcc, v64, v3, vcc
	v_pk_mov_b32 v[58:59], 0, 0
	v_cmp_gt_u64_e64 s[2:3], s[18:19], v[40:41]
	v_pk_mov_b32 v[40:41], v[58:59], v[58:59] op_sel:[0,1]
	v_pk_mov_b32 v[56:57], v[58:59], v[58:59] op_sel:[0,1]
	s_and_saveexec_b64 s[6:7], s[2:3]
	s_cbranch_execz .LBB113_14
; %bb.13:                               ;   in Loop: Header=BB113_4 Depth=1
	v_mov_b32_e32 v3, s17
	v_add_co_u32_e32 v44, vcc, s16, v14
	v_addc_co_u32_e32 v45, vcc, v13, v3, vcc
	v_add_co_u32_e32 v48, vcc, s16, v16
	v_addc_co_u32_e32 v49, vcc, v15, v3, vcc
	global_load_dwordx2 v[40:41], v[44:45], off
	global_load_dwordx2 v[56:57], v[48:49], off
.LBB113_14:                             ;   in Loop: Header=BB113_4 Depth=1
	s_or_b64 exec, exec, s[6:7]
	s_and_saveexec_b64 s[6:7], s[2:3]
	s_cbranch_execz .LBB113_16
; %bb.15:                               ;   in Loop: Header=BB113_4 Depth=1
	v_mov_b32_e32 v3, s17
	v_add_co_u32_e32 v44, vcc, s16, v18
	v_addc_co_u32_e32 v45, vcc, v17, v3, vcc
	global_load_dwordx2 v[58:59], v[44:45], off
.LBB113_16:                             ;   in Loop: Header=BB113_4 Depth=1
	s_or_b64 exec, exec, s[6:7]
	v_mov_b32_e32 v3, s21
	v_add_co_u32_e32 v44, vcc, s20, v35
	v_addc_co_u32_e32 v45, vcc, v62, v3, vcc
	v_pk_mov_b32 v[52:53], 0, 0
	v_cmp_gt_u64_e64 s[6:7], s[18:19], v[44:45]
	v_pk_mov_b32 v[44:45], v[52:53], v[52:53] op_sel:[0,1]
	v_pk_mov_b32 v[50:51], v[52:53], v[52:53] op_sel:[0,1]
	s_and_saveexec_b64 s[10:11], s[6:7]
	s_cbranch_execz .LBB113_18
; %bb.17:                               ;   in Loop: Header=BB113_4 Depth=1
	v_mov_b32_e32 v3, s17
	v_add_co_u32_e32 v48, vcc, s16, v6
	v_addc_co_u32_e32 v49, vcc, v5, v3, vcc
	v_add_co_u32_e32 v68, vcc, s16, v8
	v_addc_co_u32_e32 v69, vcc, v7, v3, vcc
	global_load_dwordx2 v[44:45], v[48:49], off
	global_load_dwordx2 v[50:51], v[68:69], off
.LBB113_18:                             ;   in Loop: Header=BB113_4 Depth=1
	s_or_b64 exec, exec, s[10:11]
	s_and_saveexec_b64 s[10:11], s[6:7]
	s_cbranch_execz .LBB113_20
; %bb.19:                               ;   in Loop: Header=BB113_4 Depth=1
	v_mov_b32_e32 v3, s17
	v_add_co_u32_e32 v48, vcc, s16, v10
	v_addc_co_u32_e32 v49, vcc, v9, v3, vcc
	global_load_dwordx2 v[52:53], v[48:49], off
.LBB113_20:                             ;   in Loop: Header=BB113_4 Depth=1
	s_or_b64 exec, exec, s[10:11]
	s_waitcnt vmcnt(0)
	v_or_b32_e32 v3, v55, v61
	v_cmp_ne_u64_e32 vcc, 0, v[2:3]
                                        ; implicit-def: $vgpr48_vgpr49
	s_and_saveexec_b64 s[10:11], vcc
	s_xor_b64 s[22:23], exec, s[10:11]
	s_cbranch_execz .LBB113_22
; %bb.21:                               ;   in Loop: Header=BB113_4 Depth=1
	v_ashrrev_i32_e32 v3, 31, v61
	v_add_co_u32_e32 v48, vcc, v60, v3
	v_addc_co_u32_e32 v49, vcc, v61, v3, vcc
	v_xor_b32_e32 v67, v49, v3
	v_xor_b32_e32 v72, v48, v3
	v_cvt_f32_u32_e32 v48, v72
	v_cvt_f32_u32_e32 v49, v67
	v_sub_co_u32_e32 v68, vcc, 0, v72
	v_subb_co_u32_e32 v70, vcc, 0, v67, vcc
	v_mac_f32_e32 v48, 0x4f800000, v49
	v_rcp_f32_e32 v48, v48
	v_mul_f32_e32 v48, 0x5f7ffffc, v48
	v_mul_f32_e32 v49, 0x2f800000, v48
	v_trunc_f32_e32 v49, v49
	v_mac_f32_e32 v48, 0xcf800000, v49
	v_cvt_u32_f32_e32 v69, v48
	v_cvt_u32_f32_e32 v71, v49
	v_mul_lo_u32 v60, v70, v69
	v_mad_u64_u32 v[48:49], s[10:11], v68, v69, 0
	v_mul_lo_u32 v61, v68, v71
	v_add3_u32 v49, v49, v61, v60
	v_mad_u64_u32 v[60:61], s[10:11], v69, v49, 0
	v_mul_hi_u32 v73, v69, v48
	v_add_co_u32_e32 v73, vcc, v73, v60
	v_addc_co_u32_e32 v74, vcc, 0, v61, vcc
	v_mad_u64_u32 v[60:61], s[10:11], v71, v49, 0
	v_mad_u64_u32 v[48:49], s[10:11], v71, v48, 0
	v_add_co_u32_e32 v48, vcc, v73, v48
	v_addc_co_u32_e32 v48, vcc, v74, v49, vcc
	v_addc_co_u32_e32 v49, vcc, 0, v61, vcc
	v_add_co_u32_e32 v48, vcc, v48, v60
	v_addc_co_u32_e32 v49, vcc, 0, v49, vcc
	v_add_co_u32_e32 v73, vcc, v69, v48
	v_addc_co_u32_e32 v74, vcc, v71, v49, vcc
	v_mul_lo_u32 v60, v68, v74
	v_mul_lo_u32 v61, v70, v73
	v_mad_u64_u32 v[48:49], s[10:11], v68, v73, 0
	v_add3_u32 v49, v49, v60, v61
	v_mad_u64_u32 v[68:69], s[10:11], v74, v48, 0
	v_mad_u64_u32 v[70:71], s[10:11], v73, v49, 0
	v_mul_hi_u32 v48, v73, v48
	v_add_co_u32_e32 v48, vcc, v48, v70
	v_mad_u64_u32 v[60:61], s[10:11], v74, v49, 0
	v_addc_co_u32_e32 v49, vcc, 0, v71, vcc
	v_add_co_u32_e32 v48, vcc, v48, v68
	v_addc_co_u32_e32 v48, vcc, v49, v69, vcc
	v_addc_co_u32_e32 v49, vcc, 0, v61, vcc
	v_add_co_u32_e32 v48, vcc, v48, v60
	v_addc_co_u32_e32 v49, vcc, 0, v49, vcc
	v_add_co_u32_e32 v60, vcc, v73, v48
	v_addc_co_u32_e32 v61, vcc, v74, v49, vcc
	v_ashrrev_i32_e32 v68, 31, v55
	v_add_co_u32_e32 v48, vcc, v54, v68
	v_addc_co_u32_e32 v49, vcc, v55, v68, vcc
	v_xor_b32_e32 v70, v48, v68
	v_xor_b32_e32 v69, v49, v68
	v_mad_u64_u32 v[48:49], s[10:11], v70, v61, 0
	v_mul_hi_u32 v54, v70, v60
	v_add_co_u32_e32 v71, vcc, v54, v48
	v_addc_co_u32_e32 v73, vcc, 0, v49, vcc
	v_mad_u64_u32 v[54:55], s[10:11], v69, v60, 0
	v_add_co_u32_e32 v54, vcc, v71, v54
	v_mad_u64_u32 v[48:49], s[10:11], v69, v61, 0
	v_addc_co_u32_e32 v54, vcc, v73, v55, vcc
	v_addc_co_u32_e32 v49, vcc, 0, v49, vcc
	v_add_co_u32_e32 v54, vcc, v54, v48
	v_addc_co_u32_e32 v55, vcc, 0, v49, vcc
	v_mul_lo_u32 v60, v67, v54
	v_mul_lo_u32 v61, v72, v55
	v_mad_u64_u32 v[48:49], s[10:11], v72, v54, 0
	v_add3_u32 v49, v49, v61, v60
	v_sub_u32_e32 v60, v69, v49
	v_sub_co_u32_e32 v48, vcc, v70, v48
	v_subb_co_u32_e64 v60, s[10:11], v60, v67, vcc
	v_sub_co_u32_e64 v61, s[10:11], v48, v72
	v_subbrev_co_u32_e64 v60, s[10:11], 0, v60, s[10:11]
	v_cmp_ge_u32_e64 s[10:11], v60, v67
	v_cndmask_b32_e64 v70, 0, -1, s[10:11]
	v_cmp_ge_u32_e64 s[10:11], v61, v72
	v_cndmask_b32_e64 v61, 0, -1, s[10:11]
	v_cmp_eq_u32_e64 s[10:11], v60, v67
	v_cndmask_b32_e64 v60, v70, v61, s[10:11]
	v_add_co_u32_e64 v61, s[10:11], 2, v54
	v_subb_co_u32_e32 v49, vcc, v69, v49, vcc
	v_addc_co_u32_e64 v70, s[10:11], 0, v55, s[10:11]
	v_cmp_ge_u32_e32 vcc, v49, v67
	v_add_co_u32_e64 v71, s[10:11], 1, v54
	v_cndmask_b32_e64 v69, 0, -1, vcc
	v_cmp_ge_u32_e32 vcc, v48, v72
	v_addc_co_u32_e64 v73, s[10:11], 0, v55, s[10:11]
	v_cndmask_b32_e64 v48, 0, -1, vcc
	v_cmp_eq_u32_e32 vcc, v49, v67
	v_cmp_ne_u32_e64 s[10:11], 0, v60
	v_cndmask_b32_e32 v48, v69, v48, vcc
	v_cndmask_b32_e64 v60, v73, v70, s[10:11]
	v_cmp_ne_u32_e32 vcc, 0, v48
	v_cndmask_b32_e64 v49, v71, v61, s[10:11]
	v_cndmask_b32_e32 v48, v55, v60, vcc
	v_cndmask_b32_e32 v49, v54, v49, vcc
	v_xor_b32_e32 v3, v68, v3
	v_xor_b32_e32 v54, v48, v3
	;; [unrolled: 1-line block ×3, first 2 shown]
	v_sub_co_u32_e32 v48, vcc, v48, v3
	v_subb_co_u32_e32 v49, vcc, v54, v3, vcc
                                        ; implicit-def: $vgpr60_vgpr61
                                        ; implicit-def: $vgpr54_vgpr55
.LBB113_22:                             ;   in Loop: Header=BB113_4 Depth=1
	s_andn2_saveexec_b64 s[10:11], s[22:23]
	s_cbranch_execz .LBB113_24
; %bb.23:                               ;   in Loop: Header=BB113_4 Depth=1
	v_cvt_f32_u32_e32 v3, v60
	v_sub_u32_e32 v48, 0, v60
	v_rcp_iflag_f32_e32 v3, v3
	v_mul_f32_e32 v3, 0x4f7ffffe, v3
	v_cvt_u32_f32_e32 v3, v3
	v_mul_lo_u32 v48, v48, v3
	v_mul_hi_u32 v48, v3, v48
	v_add_u32_e32 v3, v3, v48
	v_mul_hi_u32 v3, v54, v3
	v_mul_lo_u32 v48, v3, v60
	v_sub_u32_e32 v48, v54, v48
	v_add_u32_e32 v49, 1, v3
	v_sub_u32_e32 v54, v48, v60
	v_cmp_ge_u32_e32 vcc, v48, v60
	v_cndmask_b32_e32 v48, v48, v54, vcc
	v_cndmask_b32_e32 v3, v3, v49, vcc
	v_add_u32_e32 v49, 1, v3
	v_cmp_ge_u32_e32 vcc, v48, v60
	v_cndmask_b32_e32 v48, v3, v49, vcc
	v_mov_b32_e32 v49, v2
.LBB113_24:                             ;   in Loop: Header=BB113_4 Depth=1
	s_or_b64 exec, exec, s[10:11]
	v_or_b32_e32 v3, v57, v59
	v_cmp_ne_u64_e32 vcc, 0, v[2:3]
                                        ; implicit-def: $vgpr54_vgpr55
	s_and_saveexec_b64 s[10:11], vcc
	s_xor_b64 s[22:23], exec, s[10:11]
	s_cbranch_execz .LBB113_26
; %bb.25:                               ;   in Loop: Header=BB113_4 Depth=1
	v_ashrrev_i32_e32 v3, 31, v59
	v_add_co_u32_e32 v54, vcc, v58, v3
	v_addc_co_u32_e32 v55, vcc, v59, v3, vcc
	v_xor_b32_e32 v67, v55, v3
	v_xor_b32_e32 v70, v54, v3
	v_cvt_f32_u32_e32 v54, v70
	v_cvt_f32_u32_e32 v55, v67
	v_sub_co_u32_e32 v61, vcc, 0, v70
	v_subb_co_u32_e32 v68, vcc, 0, v67, vcc
	v_mac_f32_e32 v54, 0x4f800000, v55
	v_rcp_f32_e32 v54, v54
	v_mul_f32_e32 v54, 0x5f7ffffc, v54
	v_mul_f32_e32 v55, 0x2f800000, v54
	v_trunc_f32_e32 v55, v55
	v_mac_f32_e32 v54, 0xcf800000, v55
	v_cvt_u32_f32_e32 v60, v54
	v_cvt_u32_f32_e32 v69, v55
	v_mul_lo_u32 v58, v68, v60
	v_mad_u64_u32 v[54:55], s[10:11], v61, v60, 0
	v_mul_lo_u32 v59, v61, v69
	v_add3_u32 v55, v55, v59, v58
	v_mad_u64_u32 v[58:59], s[10:11], v60, v55, 0
	v_mul_hi_u32 v71, v60, v54
	v_add_co_u32_e32 v71, vcc, v71, v58
	v_addc_co_u32_e32 v72, vcc, 0, v59, vcc
	v_mad_u64_u32 v[58:59], s[10:11], v69, v55, 0
	v_mad_u64_u32 v[54:55], s[10:11], v69, v54, 0
	v_add_co_u32_e32 v54, vcc, v71, v54
	v_addc_co_u32_e32 v54, vcc, v72, v55, vcc
	v_addc_co_u32_e32 v55, vcc, 0, v59, vcc
	v_add_co_u32_e32 v54, vcc, v54, v58
	v_addc_co_u32_e32 v55, vcc, 0, v55, vcc
	v_add_co_u32_e32 v71, vcc, v60, v54
	v_addc_co_u32_e32 v72, vcc, v69, v55, vcc
	v_mul_lo_u32 v58, v61, v72
	v_mul_lo_u32 v59, v68, v71
	v_mad_u64_u32 v[54:55], s[10:11], v61, v71, 0
	v_add3_u32 v55, v55, v58, v59
	v_mad_u64_u32 v[60:61], s[10:11], v72, v54, 0
	v_mad_u64_u32 v[68:69], s[10:11], v71, v55, 0
	v_mul_hi_u32 v54, v71, v54
	v_add_co_u32_e32 v54, vcc, v54, v68
	v_mad_u64_u32 v[58:59], s[10:11], v72, v55, 0
	v_addc_co_u32_e32 v55, vcc, 0, v69, vcc
	v_add_co_u32_e32 v54, vcc, v54, v60
	v_addc_co_u32_e32 v54, vcc, v55, v61, vcc
	v_addc_co_u32_e32 v55, vcc, 0, v59, vcc
	v_add_co_u32_e32 v54, vcc, v54, v58
	v_addc_co_u32_e32 v55, vcc, 0, v55, vcc
	v_add_co_u32_e32 v58, vcc, v71, v54
	v_addc_co_u32_e32 v59, vcc, v72, v55, vcc
	v_ashrrev_i32_e32 v60, 31, v57
	v_add_co_u32_e32 v54, vcc, v56, v60
	v_addc_co_u32_e32 v55, vcc, v57, v60, vcc
	v_xor_b32_e32 v68, v54, v60
	v_xor_b32_e32 v61, v55, v60
	v_mad_u64_u32 v[54:55], s[10:11], v68, v59, 0
	v_mul_hi_u32 v56, v68, v58
	v_add_co_u32_e32 v69, vcc, v56, v54
	v_addc_co_u32_e32 v71, vcc, 0, v55, vcc
	v_mad_u64_u32 v[56:57], s[10:11], v61, v58, 0
	v_add_co_u32_e32 v56, vcc, v69, v56
	v_mad_u64_u32 v[54:55], s[10:11], v61, v59, 0
	v_addc_co_u32_e32 v56, vcc, v71, v57, vcc
	v_addc_co_u32_e32 v55, vcc, 0, v55, vcc
	v_add_co_u32_e32 v56, vcc, v56, v54
	v_addc_co_u32_e32 v57, vcc, 0, v55, vcc
	v_mul_lo_u32 v58, v67, v56
	v_mul_lo_u32 v59, v70, v57
	v_mad_u64_u32 v[54:55], s[10:11], v70, v56, 0
	v_add3_u32 v55, v55, v59, v58
	v_sub_u32_e32 v58, v61, v55
	v_sub_co_u32_e32 v54, vcc, v68, v54
	v_subb_co_u32_e64 v58, s[10:11], v58, v67, vcc
	v_sub_co_u32_e64 v59, s[10:11], v54, v70
	v_subbrev_co_u32_e64 v58, s[10:11], 0, v58, s[10:11]
	v_cmp_ge_u32_e64 s[10:11], v58, v67
	v_cndmask_b32_e64 v68, 0, -1, s[10:11]
	v_cmp_ge_u32_e64 s[10:11], v59, v70
	v_cndmask_b32_e64 v59, 0, -1, s[10:11]
	v_cmp_eq_u32_e64 s[10:11], v58, v67
	v_cndmask_b32_e64 v58, v68, v59, s[10:11]
	v_add_co_u32_e64 v59, s[10:11], 2, v56
	v_subb_co_u32_e32 v55, vcc, v61, v55, vcc
	v_addc_co_u32_e64 v68, s[10:11], 0, v57, s[10:11]
	v_cmp_ge_u32_e32 vcc, v55, v67
	v_add_co_u32_e64 v69, s[10:11], 1, v56
	v_cndmask_b32_e64 v61, 0, -1, vcc
	v_cmp_ge_u32_e32 vcc, v54, v70
	v_addc_co_u32_e64 v71, s[10:11], 0, v57, s[10:11]
	v_cndmask_b32_e64 v54, 0, -1, vcc
	v_cmp_eq_u32_e32 vcc, v55, v67
	v_cmp_ne_u32_e64 s[10:11], 0, v58
	v_cndmask_b32_e32 v54, v61, v54, vcc
	v_cndmask_b32_e64 v58, v71, v68, s[10:11]
	v_cmp_ne_u32_e32 vcc, 0, v54
	v_cndmask_b32_e64 v55, v69, v59, s[10:11]
	v_cndmask_b32_e32 v54, v57, v58, vcc
	v_cndmask_b32_e32 v55, v56, v55, vcc
	v_xor_b32_e32 v3, v60, v3
	v_xor_b32_e32 v56, v54, v3
	;; [unrolled: 1-line block ×3, first 2 shown]
	v_sub_co_u32_e32 v54, vcc, v54, v3
	v_subb_co_u32_e32 v55, vcc, v56, v3, vcc
                                        ; implicit-def: $vgpr58_vgpr59
                                        ; implicit-def: $vgpr56_vgpr57
.LBB113_26:                             ;   in Loop: Header=BB113_4 Depth=1
	s_andn2_saveexec_b64 s[10:11], s[22:23]
	s_cbranch_execz .LBB113_28
; %bb.27:                               ;   in Loop: Header=BB113_4 Depth=1
	v_cvt_f32_u32_e32 v3, v58
	v_sub_u32_e32 v54, 0, v58
	v_rcp_iflag_f32_e32 v3, v3
	v_mul_f32_e32 v3, 0x4f7ffffe, v3
	v_cvt_u32_f32_e32 v3, v3
	v_mul_lo_u32 v54, v54, v3
	v_mul_hi_u32 v54, v3, v54
	v_add_u32_e32 v3, v3, v54
	v_mul_hi_u32 v3, v56, v3
	v_mul_lo_u32 v54, v3, v58
	v_sub_u32_e32 v54, v56, v54
	v_add_u32_e32 v55, 1, v3
	v_sub_u32_e32 v56, v54, v58
	v_cmp_ge_u32_e32 vcc, v54, v58
	v_cndmask_b32_e32 v54, v54, v56, vcc
	v_cndmask_b32_e32 v3, v3, v55, vcc
	v_add_u32_e32 v55, 1, v3
	v_cmp_ge_u32_e32 vcc, v54, v58
	v_cndmask_b32_e32 v54, v3, v55, vcc
	v_mov_b32_e32 v55, v2
.LBB113_28:                             ;   in Loop: Header=BB113_4 Depth=1
	s_or_b64 exec, exec, s[10:11]
	v_or_b32_e32 v3, v51, v53
	v_cmp_ne_u64_e32 vcc, 0, v[2:3]
                                        ; implicit-def: $vgpr56_vgpr57
	s_and_saveexec_b64 s[10:11], vcc
	s_xor_b64 s[22:23], exec, s[10:11]
	s_cbranch_execnz .LBB113_34
; %bb.29:                               ;   in Loop: Header=BB113_4 Depth=1
	s_andn2_saveexec_b64 s[10:11], s[22:23]
	s_cbranch_execnz .LBB113_35
.LBB113_30:                             ;   in Loop: Header=BB113_4 Depth=1
	s_or_b64 exec, exec, s[10:11]
	s_and_saveexec_b64 s[10:11], s[8:9]
	s_cbranch_execnz .LBB113_36
.LBB113_31:                             ;   in Loop: Header=BB113_4 Depth=1
	s_or_b64 exec, exec, s[10:11]
	s_and_saveexec_b64 s[8:9], s[0:1]
	s_cbranch_execnz .LBB113_41
.LBB113_32:                             ;   in Loop: Header=BB113_4 Depth=1
	s_or_b64 exec, exec, s[8:9]
	s_and_saveexec_b64 s[0:1], s[2:3]
	s_cbranch_execnz .LBB113_42
.LBB113_33:                             ;   in Loop: Header=BB113_4 Depth=1
	s_or_b64 exec, exec, s[0:1]
	s_and_saveexec_b64 s[0:1], s[6:7]
	s_cbranch_execz .LBB113_3
	s_branch .LBB113_43
.LBB113_34:                             ;   in Loop: Header=BB113_4 Depth=1
	v_ashrrev_i32_e32 v3, 31, v53
	v_add_co_u32_e32 v52, vcc, v52, v3
	v_addc_co_u32_e32 v53, vcc, v53, v3, vcc
	v_xor_b32_e32 v67, v53, v3
	v_xor_b32_e32 v68, v52, v3
	v_cvt_f32_u32_e32 v52, v68
	v_cvt_f32_u32_e32 v53, v67
	v_sub_co_u32_e32 v59, vcc, 0, v68
	v_subb_co_u32_e32 v60, vcc, 0, v67, vcc
	v_mac_f32_e32 v52, 0x4f800000, v53
	v_rcp_f32_e32 v52, v52
	v_mul_f32_e32 v52, 0x5f7ffffc, v52
	v_mul_f32_e32 v53, 0x2f800000, v52
	v_trunc_f32_e32 v53, v53
	v_mac_f32_e32 v52, 0xcf800000, v53
	v_cvt_u32_f32_e32 v58, v52
	v_cvt_u32_f32_e32 v61, v53
	v_mul_lo_u32 v56, v60, v58
	v_mad_u64_u32 v[52:53], s[10:11], v59, v58, 0
	v_mul_lo_u32 v57, v59, v61
	v_add3_u32 v53, v53, v57, v56
	v_mad_u64_u32 v[56:57], s[10:11], v58, v53, 0
	v_mul_hi_u32 v69, v58, v52
	v_add_co_u32_e32 v69, vcc, v69, v56
	v_addc_co_u32_e32 v70, vcc, 0, v57, vcc
	v_mad_u64_u32 v[56:57], s[10:11], v61, v53, 0
	v_mad_u64_u32 v[52:53], s[10:11], v61, v52, 0
	v_add_co_u32_e32 v52, vcc, v69, v52
	v_addc_co_u32_e32 v52, vcc, v70, v53, vcc
	v_addc_co_u32_e32 v53, vcc, 0, v57, vcc
	v_add_co_u32_e32 v52, vcc, v52, v56
	v_addc_co_u32_e32 v53, vcc, 0, v53, vcc
	v_add_co_u32_e32 v69, vcc, v58, v52
	v_addc_co_u32_e32 v70, vcc, v61, v53, vcc
	v_mul_lo_u32 v56, v59, v70
	v_mul_lo_u32 v57, v60, v69
	v_mad_u64_u32 v[52:53], s[10:11], v59, v69, 0
	v_add3_u32 v53, v53, v56, v57
	v_mad_u64_u32 v[58:59], s[10:11], v70, v52, 0
	v_mad_u64_u32 v[60:61], s[10:11], v69, v53, 0
	v_mul_hi_u32 v52, v69, v52
	v_add_co_u32_e32 v52, vcc, v52, v60
	v_mad_u64_u32 v[56:57], s[10:11], v70, v53, 0
	v_addc_co_u32_e32 v53, vcc, 0, v61, vcc
	v_add_co_u32_e32 v52, vcc, v52, v58
	v_addc_co_u32_e32 v52, vcc, v53, v59, vcc
	v_addc_co_u32_e32 v53, vcc, 0, v57, vcc
	v_add_co_u32_e32 v52, vcc, v52, v56
	v_addc_co_u32_e32 v53, vcc, 0, v53, vcc
	v_add_co_u32_e32 v52, vcc, v69, v52
	v_addc_co_u32_e32 v53, vcc, v70, v53, vcc
	v_ashrrev_i32_e32 v56, 31, v51
	v_add_co_u32_e32 v50, vcc, v50, v56
	v_addc_co_u32_e32 v51, vcc, v51, v56, vcc
	v_xor_b32_e32 v58, v50, v56
	v_xor_b32_e32 v57, v51, v56
	v_mad_u64_u32 v[50:51], s[10:11], v58, v53, 0
	v_mul_hi_u32 v59, v58, v52
	v_add_co_u32_e32 v59, vcc, v59, v50
	v_addc_co_u32_e32 v60, vcc, 0, v51, vcc
	v_mad_u64_u32 v[50:51], s[10:11], v57, v53, 0
	v_mad_u64_u32 v[52:53], s[10:11], v57, v52, 0
	v_add_co_u32_e32 v52, vcc, v59, v52
	v_addc_co_u32_e32 v52, vcc, v60, v53, vcc
	v_addc_co_u32_e32 v51, vcc, 0, v51, vcc
	v_add_co_u32_e32 v52, vcc, v52, v50
	v_addc_co_u32_e32 v53, vcc, 0, v51, vcc
	v_mul_lo_u32 v59, v67, v52
	v_mul_lo_u32 v60, v68, v53
	v_mad_u64_u32 v[50:51], s[10:11], v68, v52, 0
	v_add3_u32 v51, v51, v60, v59
	v_sub_u32_e32 v59, v57, v51
	v_sub_co_u32_e32 v50, vcc, v58, v50
	v_subb_co_u32_e64 v58, s[10:11], v59, v67, vcc
	v_sub_co_u32_e64 v59, s[10:11], v50, v68
	v_subbrev_co_u32_e64 v58, s[10:11], 0, v58, s[10:11]
	v_cmp_ge_u32_e64 s[10:11], v58, v67
	v_cndmask_b32_e64 v60, 0, -1, s[10:11]
	v_cmp_ge_u32_e64 s[10:11], v59, v68
	v_cndmask_b32_e64 v59, 0, -1, s[10:11]
	v_cmp_eq_u32_e64 s[10:11], v58, v67
	v_cndmask_b32_e64 v58, v60, v59, s[10:11]
	v_add_co_u32_e64 v59, s[10:11], 2, v52
	v_subb_co_u32_e32 v51, vcc, v57, v51, vcc
	v_addc_co_u32_e64 v60, s[10:11], 0, v53, s[10:11]
	v_cmp_ge_u32_e32 vcc, v51, v67
	v_add_co_u32_e64 v61, s[10:11], 1, v52
	v_cndmask_b32_e64 v57, 0, -1, vcc
	v_cmp_ge_u32_e32 vcc, v50, v68
	v_addc_co_u32_e64 v69, s[10:11], 0, v53, s[10:11]
	v_cndmask_b32_e64 v50, 0, -1, vcc
	v_cmp_eq_u32_e32 vcc, v51, v67
	v_cmp_ne_u32_e64 s[10:11], 0, v58
	v_cndmask_b32_e32 v50, v57, v50, vcc
	v_cmp_ne_u32_e32 vcc, 0, v50
	v_cndmask_b32_e64 v51, v61, v59, s[10:11]
	v_cndmask_b32_e64 v58, v69, v60, s[10:11]
	v_cndmask_b32_e32 v51, v52, v51, vcc
	v_xor_b32_e32 v3, v56, v3
	v_cndmask_b32_e32 v50, v53, v58, vcc
	v_xor_b32_e32 v51, v51, v3
	v_xor_b32_e32 v50, v50, v3
	v_sub_co_u32_e32 v56, vcc, v51, v3
	v_subb_co_u32_e32 v57, vcc, v50, v3, vcc
                                        ; implicit-def: $vgpr52_vgpr53
                                        ; implicit-def: $vgpr50_vgpr51
	s_andn2_saveexec_b64 s[10:11], s[22:23]
	s_cbranch_execz .LBB113_30
.LBB113_35:                             ;   in Loop: Header=BB113_4 Depth=1
	v_cvt_f32_u32_e32 v3, v52
	v_sub_u32_e32 v51, 0, v52
	v_mov_b32_e32 v57, v2
	v_rcp_iflag_f32_e32 v3, v3
	v_mul_f32_e32 v3, 0x4f7ffffe, v3
	v_cvt_u32_f32_e32 v3, v3
	v_mul_lo_u32 v51, v51, v3
	v_mul_hi_u32 v51, v3, v51
	v_add_u32_e32 v3, v3, v51
	v_mul_hi_u32 v3, v50, v3
	v_mul_lo_u32 v51, v3, v52
	v_sub_u32_e32 v50, v50, v51
	v_add_u32_e32 v53, 1, v3
	v_sub_u32_e32 v51, v50, v52
	v_cmp_ge_u32_e32 vcc, v50, v52
	v_cndmask_b32_e32 v50, v50, v51, vcc
	v_cndmask_b32_e32 v3, v3, v53, vcc
	v_add_u32_e32 v51, 1, v3
	v_cmp_ge_u32_e32 vcc, v50, v52
	v_cndmask_b32_e32 v56, v3, v51, vcc
	s_or_b64 exec, exec, s[10:11]
	s_and_saveexec_b64 s[10:11], s[8:9]
	s_cbranch_execz .LBB113_31
.LBB113_36:                             ;   in Loop: Header=BB113_4 Depth=1
	v_or_b32_e32 v3, v43, v47
	v_cmp_ne_u64_e32 vcc, 0, v[2:3]
                                        ; implicit-def: $vgpr50_vgpr51
	s_and_saveexec_b64 s[8:9], vcc
	s_xor_b64 s[22:23], exec, s[8:9]
	s_cbranch_execz .LBB113_38
; %bb.37:                               ;   in Loop: Header=BB113_4 Depth=1
	v_ashrrev_i32_e32 v3, 31, v47
	v_add_co_u32_e32 v46, vcc, v46, v3
	v_addc_co_u32_e32 v47, vcc, v47, v3, vcc
	v_xor_b32_e32 v60, v47, v3
	v_xor_b32_e32 v61, v46, v3
	v_cvt_f32_u32_e32 v46, v61
	v_cvt_f32_u32_e32 v47, v60
	v_sub_co_u32_e32 v53, vcc, 0, v61
	v_subb_co_u32_e32 v58, vcc, 0, v60, vcc
	v_mac_f32_e32 v46, 0x4f800000, v47
	v_rcp_f32_e32 v46, v46
	v_mul_f32_e32 v46, 0x5f7ffffc, v46
	v_mul_f32_e32 v47, 0x2f800000, v46
	v_trunc_f32_e32 v47, v47
	v_mac_f32_e32 v46, 0xcf800000, v47
	v_cvt_u32_f32_e32 v52, v46
	v_cvt_u32_f32_e32 v59, v47
	v_mul_lo_u32 v50, v58, v52
	v_mad_u64_u32 v[46:47], s[8:9], v53, v52, 0
	v_mul_lo_u32 v51, v53, v59
	v_add3_u32 v47, v47, v51, v50
	v_mad_u64_u32 v[50:51], s[8:9], v52, v47, 0
	v_mul_hi_u32 v67, v52, v46
	v_add_co_u32_e32 v67, vcc, v67, v50
	v_addc_co_u32_e32 v68, vcc, 0, v51, vcc
	v_mad_u64_u32 v[50:51], s[8:9], v59, v47, 0
	v_mad_u64_u32 v[46:47], s[8:9], v59, v46, 0
	v_add_co_u32_e32 v46, vcc, v67, v46
	v_addc_co_u32_e32 v46, vcc, v68, v47, vcc
	v_addc_co_u32_e32 v47, vcc, 0, v51, vcc
	v_add_co_u32_e32 v46, vcc, v46, v50
	v_addc_co_u32_e32 v47, vcc, 0, v47, vcc
	v_add_co_u32_e32 v67, vcc, v52, v46
	v_addc_co_u32_e32 v68, vcc, v59, v47, vcc
	v_mul_lo_u32 v50, v53, v68
	v_mul_lo_u32 v51, v58, v67
	v_mad_u64_u32 v[46:47], s[8:9], v53, v67, 0
	v_add3_u32 v47, v47, v50, v51
	v_mad_u64_u32 v[52:53], s[8:9], v68, v46, 0
	v_mad_u64_u32 v[58:59], s[8:9], v67, v47, 0
	v_mul_hi_u32 v46, v67, v46
	v_add_co_u32_e32 v46, vcc, v46, v58
	v_mad_u64_u32 v[50:51], s[8:9], v68, v47, 0
	v_addc_co_u32_e32 v47, vcc, 0, v59, vcc
	v_add_co_u32_e32 v46, vcc, v46, v52
	v_addc_co_u32_e32 v46, vcc, v47, v53, vcc
	v_addc_co_u32_e32 v47, vcc, 0, v51, vcc
	v_add_co_u32_e32 v46, vcc, v46, v50
	v_addc_co_u32_e32 v47, vcc, 0, v47, vcc
	v_add_co_u32_e32 v46, vcc, v67, v46
	v_addc_co_u32_e32 v47, vcc, v68, v47, vcc
	v_ashrrev_i32_e32 v50, 31, v43
	v_add_co_u32_e32 v42, vcc, v42, v50
	v_addc_co_u32_e32 v43, vcc, v43, v50, vcc
	v_xor_b32_e32 v52, v42, v50
	v_xor_b32_e32 v51, v43, v50
	v_mad_u64_u32 v[42:43], s[8:9], v52, v47, 0
	v_mul_hi_u32 v53, v52, v46
	v_add_co_u32_e32 v53, vcc, v53, v42
	v_addc_co_u32_e32 v58, vcc, 0, v43, vcc
	v_mad_u64_u32 v[42:43], s[8:9], v51, v47, 0
	v_mad_u64_u32 v[46:47], s[8:9], v51, v46, 0
	v_add_co_u32_e32 v46, vcc, v53, v46
	v_addc_co_u32_e32 v46, vcc, v58, v47, vcc
	v_addc_co_u32_e32 v43, vcc, 0, v43, vcc
	v_add_co_u32_e32 v46, vcc, v46, v42
	v_addc_co_u32_e32 v47, vcc, 0, v43, vcc
	v_mul_lo_u32 v53, v60, v46
	v_mul_lo_u32 v58, v61, v47
	v_mad_u64_u32 v[42:43], s[8:9], v61, v46, 0
	v_add3_u32 v43, v43, v58, v53
	v_sub_u32_e32 v53, v51, v43
	v_sub_co_u32_e32 v42, vcc, v52, v42
	v_subb_co_u32_e64 v52, s[8:9], v53, v60, vcc
	v_sub_co_u32_e64 v53, s[8:9], v42, v61
	v_subbrev_co_u32_e64 v52, s[8:9], 0, v52, s[8:9]
	v_cmp_ge_u32_e64 s[8:9], v52, v60
	v_cndmask_b32_e64 v58, 0, -1, s[8:9]
	v_cmp_ge_u32_e64 s[8:9], v53, v61
	v_cndmask_b32_e64 v53, 0, -1, s[8:9]
	v_cmp_eq_u32_e64 s[8:9], v52, v60
	v_cndmask_b32_e64 v52, v58, v53, s[8:9]
	v_add_co_u32_e64 v53, s[8:9], 2, v46
	v_subb_co_u32_e32 v43, vcc, v51, v43, vcc
	v_addc_co_u32_e64 v58, s[8:9], 0, v47, s[8:9]
	v_cmp_ge_u32_e32 vcc, v43, v60
	v_add_co_u32_e64 v59, s[8:9], 1, v46
	v_cndmask_b32_e64 v51, 0, -1, vcc
	v_cmp_ge_u32_e32 vcc, v42, v61
	v_addc_co_u32_e64 v67, s[8:9], 0, v47, s[8:9]
	v_cndmask_b32_e64 v42, 0, -1, vcc
	v_cmp_eq_u32_e32 vcc, v43, v60
	v_cmp_ne_u32_e64 s[8:9], 0, v52
	v_cndmask_b32_e32 v42, v51, v42, vcc
	v_cmp_ne_u32_e32 vcc, 0, v42
	v_cndmask_b32_e64 v43, v59, v53, s[8:9]
	v_cndmask_b32_e64 v52, v67, v58, s[8:9]
	v_cndmask_b32_e32 v43, v46, v43, vcc
	v_xor_b32_e32 v3, v50, v3
	v_cndmask_b32_e32 v42, v47, v52, vcc
	v_xor_b32_e32 v43, v43, v3
	v_xor_b32_e32 v42, v42, v3
	v_sub_co_u32_e32 v50, vcc, v43, v3
	v_subb_co_u32_e32 v51, vcc, v42, v3, vcc
                                        ; implicit-def: $vgpr46_vgpr47
                                        ; implicit-def: $vgpr42_vgpr43
.LBB113_38:                             ;   in Loop: Header=BB113_4 Depth=1
	s_andn2_saveexec_b64 s[8:9], s[22:23]
	s_cbranch_execz .LBB113_40
; %bb.39:                               ;   in Loop: Header=BB113_4 Depth=1
	v_cvt_f32_u32_e32 v3, v46
	v_sub_u32_e32 v43, 0, v46
	v_mov_b32_e32 v51, v2
	v_rcp_iflag_f32_e32 v3, v3
	v_mul_f32_e32 v3, 0x4f7ffffe, v3
	v_cvt_u32_f32_e32 v3, v3
	v_mul_lo_u32 v43, v43, v3
	v_mul_hi_u32 v43, v3, v43
	v_add_u32_e32 v3, v3, v43
	v_mul_hi_u32 v3, v42, v3
	v_mul_lo_u32 v43, v3, v46
	v_sub_u32_e32 v42, v42, v43
	v_add_u32_e32 v47, 1, v3
	v_sub_u32_e32 v43, v42, v46
	v_cmp_ge_u32_e32 vcc, v42, v46
	v_cndmask_b32_e32 v42, v42, v43, vcc
	v_cndmask_b32_e32 v3, v3, v47, vcc
	v_add_u32_e32 v43, 1, v3
	v_cmp_ge_u32_e32 vcc, v42, v46
	v_cndmask_b32_e32 v50, v3, v43, vcc
.LBB113_40:                             ;   in Loop: Header=BB113_4 Depth=1
	s_or_b64 exec, exec, s[8:9]
	v_mov_b32_e32 v3, s17
	v_add_co_u32_e32 v42, vcc, s16, v32
	v_addc_co_u32_e32 v43, vcc, v31, v3, vcc
	v_mad_u64_u32 v[36:37], s[8:9], v50, s12, v[36:37]
	v_mul_lo_u32 v3, v50, s13
	v_mul_lo_u32 v46, v51, s12
	v_add3_u32 v37, v46, v37, v3
	global_store_dwordx2 v[42:43], v[36:37], off
	s_or_b64 exec, exec, s[10:11]
	s_and_saveexec_b64 s[8:9], s[0:1]
	s_cbranch_execz .LBB113_32
.LBB113_41:                             ;   in Loop: Header=BB113_4 Depth=1
	v_mad_u64_u32 v[36:37], s[0:1], v48, s12, v[38:39]
	v_mul_lo_u32 v3, v48, s13
	v_mul_lo_u32 v38, v49, s12
	v_add3_u32 v37, v38, v37, v3
	v_mov_b32_e32 v3, s17
	v_add_co_u32_e32 v38, vcc, s16, v34
	v_addc_co_u32_e32 v39, vcc, v33, v3, vcc
	global_store_dwordx2 v[38:39], v[36:37], off
	s_or_b64 exec, exec, s[8:9]
	s_and_saveexec_b64 s[0:1], s[2:3]
	s_cbranch_execz .LBB113_33
.LBB113_42:                             ;   in Loop: Header=BB113_4 Depth=1
	v_mad_u64_u32 v[36:37], s[2:3], v54, s12, v[40:41]
	v_mul_lo_u32 v3, v54, s13
	v_mul_lo_u32 v38, v55, s12
	v_add3_u32 v37, v38, v37, v3
	v_mov_b32_e32 v3, s17
	v_add_co_u32_e32 v38, vcc, s16, v20
	v_addc_co_u32_e32 v39, vcc, v19, v3, vcc
	global_store_dwordx2 v[38:39], v[36:37], off
	s_or_b64 exec, exec, s[0:1]
	s_and_saveexec_b64 s[0:1], s[6:7]
	s_cbranch_execz .LBB113_3
.LBB113_43:                             ;   in Loop: Header=BB113_4 Depth=1
	v_mad_u64_u32 v[36:37], s[2:3], v56, s12, v[44:45]
	v_mul_lo_u32 v3, v56, s13
	v_mul_lo_u32 v38, v57, s12
	v_add3_u32 v37, v38, v37, v3
	v_mov_b32_e32 v3, s17
	v_add_co_u32_e32 v38, vcc, s16, v12
	v_addc_co_u32_e32 v39, vcc, v11, v3, vcc
	global_store_dwordx2 v[38:39], v[36:37], off
	s_branch .LBB113_3
.LBB113_44:
	s_mov_b64 s[10:11], 0
.LBB113_45:
	s_andn2_b64 vcc, exec, s[10:11]
	s_cbranch_vccnz .LBB113_65
; %bb.46:
	v_mov_b32_e32 v24, 0
	v_lshlrev_b32_e32 v2, 2, v0
	v_mov_b32_e32 v3, v24
	s_mov_b32 s8, 0
	v_cmp_gt_i64_e32 vcc, s[14:15], v[2:3]
	s_and_saveexec_b64 s[0:1], vcc
	s_cbranch_execz .LBB113_65
; %bb.47:
	s_load_dword s0, s[4:5], 0xd14
	v_mov_b32_e32 v27, v24
	v_lshlrev_b32_e32 v28, 5, v0
	s_mov_b64 s[2:3], 0
	s_mov_b64 s[4:5], 0xffff
	s_waitcnt lgkmcnt(0)
	s_and_b32 s0, s0, 0xffff
	v_add_lshl_u32 v26, v0, s0, 2
	s_lshl_b32 s9, s0, 2
	s_lshl_b32 s10, s0, 5
	s_branch .LBB113_49
.LBB113_48:                             ;   in Loop: Header=BB113_49 Depth=1
	s_or_b64 exec, exec, s[0:1]
	v_mul_lo_u32 v10, v18, s13
	v_mul_lo_u32 v11, v19, s12
	s_waitcnt vmcnt(1)
	v_mad_u64_u32 v[0:1], s[0:1], v18, s12, v[0:1]
	v_add3_u32 v1, v11, v1, v10
	v_mul_lo_u32 v10, v16, s13
	v_mul_lo_u32 v11, v17, s12
	s_waitcnt vmcnt(0)
	v_mad_u64_u32 v[6:7], s[0:1], v16, s12, v[6:7]
	v_add3_u32 v7, v11, v7, v10
	v_mul_lo_u32 v10, v30, s13
	v_mul_lo_u32 v11, v31, s12
	v_mad_u64_u32 v[4:5], s[0:1], v30, s12, v[4:5]
	v_add3_u32 v5, v11, v5, v10
	v_mul_lo_u32 v10, v8, s13
	v_mul_lo_u32 v9, v9, s12
	v_mad_u64_u32 v[2:3], s[0:1], v8, s12, v[2:3]
	v_add3_u32 v3, v9, v3, v10
	v_mov_b32_e32 v9, s31
	v_add_co_u32_e32 v8, vcc, s30, v28
	v_addc_co_u32_e32 v9, vcc, 0, v9, vcc
	v_cmp_le_i64_e32 vcc, s[14:15], v[26:27]
	v_cmp_lt_u64_e64 s[0:1], s[4:5], v[26:27]
	s_or_b64 s[0:1], vcc, s[0:1]
	s_add_u32 s24, s24, s10
	s_addc_u32 s25, s25, 0
	s_add_u32 s30, s30, s10
	s_addc_u32 s31, s31, 0
	;; [unrolled: 2-line block ×4, first 2 shown]
	global_store_dwordx4 v[8:9], v[4:7], off
	global_store_dwordx4 v[8:9], v[0:3], off offset:16
	s_and_b64 s[0:1], exec, s[0:1]
	v_mov_b32_e32 v0, s8
	v_add_co_u32_e32 v26, vcc, s9, v26
	s_or_b64 s[2:3], s[0:1], s[2:3]
	v_addc_co_u32_e32 v27, vcc, v27, v0, vcc
	s_andn2_b64 exec, exec, s[2:3]
	s_cbranch_execz .LBB113_65
.LBB113_49:                             ; =>This Inner Loop Header: Depth=1
	v_mov_b32_e32 v0, s25
	v_add_co_u32_e32 v30, vcc, s24, v28
	v_addc_co_u32_e32 v31, vcc, 0, v0, vcc
	v_mov_b32_e32 v1, s27
	v_add_co_u32_e32 v0, vcc, s26, v28
	v_addc_co_u32_e32 v1, vcc, 0, v1, vcc
	global_load_dwordx4 v[8:11], v[0:1], off offset:16
	global_load_dwordx4 v[16:19], v[0:1], off
	v_mov_b32_e32 v0, s29
	v_add_co_u32_e32 v32, vcc, s28, v28
	v_addc_co_u32_e32 v33, vcc, 0, v0, vcc
	global_load_dwordx4 v[12:15], v[32:33], off offset:16
	global_load_dwordx4 v[20:23], v[32:33], off
	global_load_dwordx4 v[0:3], v[30:31], off offset:16
	global_load_dwordx4 v[4:7], v[30:31], off
                                        ; implicit-def: $vgpr30_vgpr31
	s_waitcnt vmcnt(2)
	v_or_b32_e32 v25, v17, v21
	v_cmp_ne_u64_e32 vcc, 0, v[24:25]
	s_and_saveexec_b64 s[0:1], vcc
	s_xor_b64 s[6:7], exec, s[0:1]
	s_cbranch_execz .LBB113_51
; %bb.50:                               ;   in Loop: Header=BB113_49 Depth=1
	v_ashrrev_i32_e32 v25, 31, v21
	v_add_co_u32_e32 v29, vcc, v20, v25
	v_addc_co_u32_e32 v21, vcc, v21, v25, vcc
	v_xor_b32_e32 v21, v21, v25
	v_xor_b32_e32 v29, v29, v25
	v_cvt_f32_u32_e32 v30, v29
	v_cvt_f32_u32_e32 v31, v21
	v_sub_co_u32_e32 v35, vcc, 0, v29
	v_subb_co_u32_e32 v36, vcc, 0, v21, vcc
	v_mac_f32_e32 v30, 0x4f800000, v31
	v_rcp_f32_e32 v30, v30
	v_mul_f32_e32 v30, 0x5f7ffffc, v30
	v_mul_f32_e32 v31, 0x2f800000, v30
	v_trunc_f32_e32 v31, v31
	v_mac_f32_e32 v30, 0xcf800000, v31
	v_cvt_u32_f32_e32 v34, v30
	v_cvt_u32_f32_e32 v37, v31
	v_mul_lo_u32 v32, v36, v34
	v_mad_u64_u32 v[30:31], s[0:1], v35, v34, 0
	v_mul_lo_u32 v33, v35, v37
	v_add3_u32 v31, v31, v33, v32
	v_mad_u64_u32 v[32:33], s[0:1], v34, v31, 0
	v_mul_hi_u32 v38, v34, v30
	v_add_co_u32_e32 v38, vcc, v38, v32
	v_addc_co_u32_e32 v39, vcc, 0, v33, vcc
	v_mad_u64_u32 v[32:33], s[0:1], v37, v31, 0
	v_mad_u64_u32 v[30:31], s[0:1], v37, v30, 0
	v_add_co_u32_e32 v30, vcc, v38, v30
	v_addc_co_u32_e32 v30, vcc, v39, v31, vcc
	v_addc_co_u32_e32 v31, vcc, 0, v33, vcc
	v_add_co_u32_e32 v30, vcc, v30, v32
	v_addc_co_u32_e32 v31, vcc, 0, v31, vcc
	v_add_co_u32_e32 v38, vcc, v34, v30
	v_addc_co_u32_e32 v39, vcc, v37, v31, vcc
	v_mul_lo_u32 v32, v35, v39
	v_mul_lo_u32 v33, v36, v38
	v_mad_u64_u32 v[30:31], s[0:1], v35, v38, 0
	v_add3_u32 v31, v31, v32, v33
	v_mad_u64_u32 v[34:35], s[0:1], v39, v30, 0
	v_mad_u64_u32 v[36:37], s[0:1], v38, v31, 0
	v_mul_hi_u32 v30, v38, v30
	v_add_co_u32_e32 v30, vcc, v30, v36
	v_mad_u64_u32 v[32:33], s[0:1], v39, v31, 0
	v_addc_co_u32_e32 v31, vcc, 0, v37, vcc
	v_add_co_u32_e32 v30, vcc, v30, v34
	v_addc_co_u32_e32 v30, vcc, v31, v35, vcc
	v_addc_co_u32_e32 v31, vcc, 0, v33, vcc
	v_add_co_u32_e32 v30, vcc, v30, v32
	v_addc_co_u32_e32 v31, vcc, 0, v31, vcc
	v_add_co_u32_e32 v32, vcc, v38, v30
	v_addc_co_u32_e32 v33, vcc, v39, v31, vcc
	v_ashrrev_i32_e32 v34, 31, v17
	v_add_co_u32_e32 v30, vcc, v16, v34
	v_xor_b32_e32 v35, v30, v34
	v_addc_co_u32_e32 v17, vcc, v17, v34, vcc
	v_mad_u64_u32 v[30:31], s[0:1], v35, v33, 0
	v_mul_hi_u32 v36, v35, v32
	v_xor_b32_e32 v17, v17, v34
	v_add_co_u32_e32 v36, vcc, v36, v30
	v_addc_co_u32_e32 v37, vcc, 0, v31, vcc
	v_mad_u64_u32 v[30:31], s[0:1], v17, v33, 0
	v_mad_u64_u32 v[32:33], s[0:1], v17, v32, 0
	v_add_co_u32_e32 v32, vcc, v36, v32
	v_addc_co_u32_e32 v32, vcc, v37, v33, vcc
	v_addc_co_u32_e32 v31, vcc, 0, v31, vcc
	v_add_co_u32_e32 v32, vcc, v32, v30
	v_addc_co_u32_e32 v33, vcc, 0, v31, vcc
	v_mul_lo_u32 v36, v21, v32
	v_mul_lo_u32 v37, v29, v33
	v_mad_u64_u32 v[30:31], s[0:1], v29, v32, 0
	v_add3_u32 v31, v31, v37, v36
	v_sub_u32_e32 v36, v17, v31
	v_sub_co_u32_e32 v30, vcc, v35, v30
	v_subb_co_u32_e64 v35, s[0:1], v36, v21, vcc
	v_sub_co_u32_e64 v36, s[0:1], v30, v29
	v_subbrev_co_u32_e64 v35, s[0:1], 0, v35, s[0:1]
	v_cmp_ge_u32_e64 s[0:1], v35, v21
	v_cndmask_b32_e64 v37, 0, -1, s[0:1]
	v_cmp_ge_u32_e64 s[0:1], v36, v29
	v_cndmask_b32_e64 v36, 0, -1, s[0:1]
	v_cmp_eq_u32_e64 s[0:1], v35, v21
	v_cndmask_b32_e64 v35, v37, v36, s[0:1]
	v_add_co_u32_e64 v36, s[0:1], 2, v32
	v_subb_co_u32_e32 v17, vcc, v17, v31, vcc
	v_addc_co_u32_e64 v37, s[0:1], 0, v33, s[0:1]
	v_cmp_ge_u32_e32 vcc, v17, v21
	v_add_co_u32_e64 v38, s[0:1], 1, v32
	v_cndmask_b32_e64 v31, 0, -1, vcc
	v_cmp_ge_u32_e32 vcc, v30, v29
	v_addc_co_u32_e64 v39, s[0:1], 0, v33, s[0:1]
	v_cndmask_b32_e64 v29, 0, -1, vcc
	v_cmp_eq_u32_e32 vcc, v17, v21
	v_cmp_ne_u32_e64 s[0:1], 0, v35
	v_cndmask_b32_e32 v17, v31, v29, vcc
	v_cmp_ne_u32_e32 vcc, 0, v17
	v_cndmask_b32_e64 v21, v38, v36, s[0:1]
	v_cndmask_b32_e64 v35, v39, v37, s[0:1]
	v_cndmask_b32_e32 v21, v32, v21, vcc
	v_xor_b32_e32 v25, v34, v25
	v_cndmask_b32_e32 v17, v33, v35, vcc
	v_xor_b32_e32 v21, v21, v25
	v_xor_b32_e32 v17, v17, v25
	v_sub_co_u32_e32 v30, vcc, v21, v25
	v_subb_co_u32_e32 v31, vcc, v17, v25, vcc
.LBB113_51:                             ;   in Loop: Header=BB113_49 Depth=1
	s_andn2_saveexec_b64 s[0:1], s[6:7]
	s_cbranch_execz .LBB113_53
; %bb.52:                               ;   in Loop: Header=BB113_49 Depth=1
	v_cvt_f32_u32_e32 v17, v20
	v_sub_u32_e32 v21, 0, v20
	v_mov_b32_e32 v31, v24
	v_rcp_iflag_f32_e32 v17, v17
	v_mul_f32_e32 v17, 0x4f7ffffe, v17
	v_cvt_u32_f32_e32 v17, v17
	v_mul_lo_u32 v21, v21, v17
	v_mul_hi_u32 v21, v17, v21
	v_add_u32_e32 v17, v17, v21
	v_mul_hi_u32 v17, v16, v17
	v_mul_lo_u32 v21, v17, v20
	v_sub_u32_e32 v16, v16, v21
	v_add_u32_e32 v25, 1, v17
	v_sub_u32_e32 v21, v16, v20
	v_cmp_ge_u32_e32 vcc, v16, v20
	v_cndmask_b32_e32 v16, v16, v21, vcc
	v_cndmask_b32_e32 v17, v17, v25, vcc
	v_add_u32_e32 v21, 1, v17
	v_cmp_ge_u32_e32 vcc, v16, v20
	v_cndmask_b32_e32 v30, v17, v21, vcc
.LBB113_53:                             ;   in Loop: Header=BB113_49 Depth=1
	s_or_b64 exec, exec, s[0:1]
	v_or_b32_e32 v25, v19, v23
	v_cmp_ne_u64_e32 vcc, 0, v[24:25]
                                        ; implicit-def: $vgpr16_vgpr17
	s_and_saveexec_b64 s[0:1], vcc
	s_xor_b64 s[6:7], exec, s[0:1]
	s_cbranch_execz .LBB113_55
; %bb.54:                               ;   in Loop: Header=BB113_49 Depth=1
	v_ashrrev_i32_e32 v25, 31, v23
	v_add_co_u32_e32 v16, vcc, v22, v25
	v_addc_co_u32_e32 v17, vcc, v23, v25, vcc
	v_xor_b32_e32 v29, v17, v25
	v_xor_b32_e32 v34, v16, v25
	v_cvt_f32_u32_e32 v16, v34
	v_cvt_f32_u32_e32 v17, v29
	v_sub_co_u32_e32 v23, vcc, 0, v34
	v_subb_co_u32_e32 v32, vcc, 0, v29, vcc
	v_mac_f32_e32 v16, 0x4f800000, v17
	v_rcp_f32_e32 v16, v16
	v_mul_f32_e32 v16, 0x5f7ffffc, v16
	v_mul_f32_e32 v17, 0x2f800000, v16
	v_trunc_f32_e32 v17, v17
	v_mac_f32_e32 v16, 0xcf800000, v17
	v_cvt_u32_f32_e32 v22, v16
	v_cvt_u32_f32_e32 v33, v17
	v_mul_lo_u32 v20, v32, v22
	v_mad_u64_u32 v[16:17], s[0:1], v23, v22, 0
	v_mul_lo_u32 v21, v23, v33
	v_add3_u32 v17, v17, v21, v20
	v_mad_u64_u32 v[20:21], s[0:1], v22, v17, 0
	v_mul_hi_u32 v35, v22, v16
	v_add_co_u32_e32 v35, vcc, v35, v20
	v_addc_co_u32_e32 v36, vcc, 0, v21, vcc
	v_mad_u64_u32 v[20:21], s[0:1], v33, v17, 0
	v_mad_u64_u32 v[16:17], s[0:1], v33, v16, 0
	v_add_co_u32_e32 v16, vcc, v35, v16
	v_addc_co_u32_e32 v16, vcc, v36, v17, vcc
	v_addc_co_u32_e32 v17, vcc, 0, v21, vcc
	v_add_co_u32_e32 v16, vcc, v16, v20
	v_addc_co_u32_e32 v17, vcc, 0, v17, vcc
	v_add_co_u32_e32 v35, vcc, v22, v16
	v_addc_co_u32_e32 v36, vcc, v33, v17, vcc
	v_mul_lo_u32 v20, v23, v36
	v_mul_lo_u32 v21, v32, v35
	v_mad_u64_u32 v[16:17], s[0:1], v23, v35, 0
	v_add3_u32 v17, v17, v20, v21
	v_mad_u64_u32 v[22:23], s[0:1], v36, v16, 0
	v_mad_u64_u32 v[32:33], s[0:1], v35, v17, 0
	v_mul_hi_u32 v16, v35, v16
	v_add_co_u32_e32 v16, vcc, v16, v32
	v_mad_u64_u32 v[20:21], s[0:1], v36, v17, 0
	v_addc_co_u32_e32 v17, vcc, 0, v33, vcc
	v_add_co_u32_e32 v16, vcc, v16, v22
	v_addc_co_u32_e32 v16, vcc, v17, v23, vcc
	v_addc_co_u32_e32 v17, vcc, 0, v21, vcc
	v_add_co_u32_e32 v16, vcc, v16, v20
	v_addc_co_u32_e32 v17, vcc, 0, v17, vcc
	v_add_co_u32_e32 v20, vcc, v35, v16
	v_addc_co_u32_e32 v21, vcc, v36, v17, vcc
	v_ashrrev_i32_e32 v22, 31, v19
	v_add_co_u32_e32 v16, vcc, v18, v22
	v_addc_co_u32_e32 v17, vcc, v19, v22, vcc
	v_xor_b32_e32 v32, v16, v22
	v_xor_b32_e32 v23, v17, v22
	v_mad_u64_u32 v[16:17], s[0:1], v32, v21, 0
	v_mul_hi_u32 v18, v32, v20
	v_add_co_u32_e32 v33, vcc, v18, v16
	v_addc_co_u32_e32 v35, vcc, 0, v17, vcc
	v_mad_u64_u32 v[18:19], s[0:1], v23, v20, 0
	v_add_co_u32_e32 v18, vcc, v33, v18
	v_mad_u64_u32 v[16:17], s[0:1], v23, v21, 0
	v_addc_co_u32_e32 v18, vcc, v35, v19, vcc
	v_addc_co_u32_e32 v17, vcc, 0, v17, vcc
	v_add_co_u32_e32 v18, vcc, v18, v16
	v_addc_co_u32_e32 v19, vcc, 0, v17, vcc
	v_mul_lo_u32 v20, v29, v18
	v_mul_lo_u32 v21, v34, v19
	v_mad_u64_u32 v[16:17], s[0:1], v34, v18, 0
	v_add3_u32 v17, v17, v21, v20
	v_sub_u32_e32 v20, v23, v17
	v_sub_co_u32_e32 v16, vcc, v32, v16
	v_subb_co_u32_e64 v20, s[0:1], v20, v29, vcc
	v_sub_co_u32_e64 v21, s[0:1], v16, v34
	v_subbrev_co_u32_e64 v20, s[0:1], 0, v20, s[0:1]
	v_cmp_ge_u32_e64 s[0:1], v20, v29
	v_cndmask_b32_e64 v32, 0, -1, s[0:1]
	v_cmp_ge_u32_e64 s[0:1], v21, v34
	v_cndmask_b32_e64 v21, 0, -1, s[0:1]
	v_cmp_eq_u32_e64 s[0:1], v20, v29
	v_cndmask_b32_e64 v20, v32, v21, s[0:1]
	v_add_co_u32_e64 v21, s[0:1], 2, v18
	v_subb_co_u32_e32 v17, vcc, v23, v17, vcc
	v_addc_co_u32_e64 v32, s[0:1], 0, v19, s[0:1]
	v_cmp_ge_u32_e32 vcc, v17, v29
	v_add_co_u32_e64 v33, s[0:1], 1, v18
	v_cndmask_b32_e64 v23, 0, -1, vcc
	v_cmp_ge_u32_e32 vcc, v16, v34
	v_addc_co_u32_e64 v35, s[0:1], 0, v19, s[0:1]
	v_cndmask_b32_e64 v16, 0, -1, vcc
	v_cmp_eq_u32_e32 vcc, v17, v29
	v_cmp_ne_u32_e64 s[0:1], 0, v20
	v_cndmask_b32_e32 v16, v23, v16, vcc
	v_cndmask_b32_e64 v20, v35, v32, s[0:1]
	v_cmp_ne_u32_e32 vcc, 0, v16
	v_cndmask_b32_e64 v17, v33, v21, s[0:1]
	v_cndmask_b32_e32 v16, v19, v20, vcc
	v_cndmask_b32_e32 v17, v18, v17, vcc
	v_xor_b32_e32 v18, v22, v25
	v_xor_b32_e32 v19, v16, v18
	;; [unrolled: 1-line block ×3, first 2 shown]
	v_sub_co_u32_e32 v16, vcc, v16, v18
	v_subb_co_u32_e32 v17, vcc, v19, v18, vcc
                                        ; implicit-def: $vgpr22_vgpr23
                                        ; implicit-def: $vgpr18_vgpr19
.LBB113_55:                             ;   in Loop: Header=BB113_49 Depth=1
	s_andn2_saveexec_b64 s[0:1], s[6:7]
	s_cbranch_execz .LBB113_57
; %bb.56:                               ;   in Loop: Header=BB113_49 Depth=1
	v_cvt_f32_u32_e32 v16, v22
	v_sub_u32_e32 v17, 0, v22
	v_rcp_iflag_f32_e32 v16, v16
	v_mul_f32_e32 v16, 0x4f7ffffe, v16
	v_cvt_u32_f32_e32 v16, v16
	v_mul_lo_u32 v17, v17, v16
	v_mul_hi_u32 v17, v16, v17
	v_add_u32_e32 v16, v16, v17
	v_mul_hi_u32 v16, v18, v16
	v_mul_lo_u32 v17, v16, v22
	v_sub_u32_e32 v17, v18, v17
	v_add_u32_e32 v19, 1, v16
	v_sub_u32_e32 v18, v17, v22
	v_cmp_ge_u32_e32 vcc, v17, v22
	v_cndmask_b32_e32 v17, v17, v18, vcc
	v_cndmask_b32_e32 v16, v16, v19, vcc
	v_add_u32_e32 v18, 1, v16
	v_cmp_ge_u32_e32 vcc, v17, v22
	v_cndmask_b32_e32 v16, v16, v18, vcc
	v_mov_b32_e32 v17, v24
.LBB113_57:                             ;   in Loop: Header=BB113_49 Depth=1
	s_or_b64 exec, exec, s[0:1]
	v_or_b32_e32 v25, v9, v13
	v_cmp_ne_u64_e32 vcc, 0, v[24:25]
                                        ; implicit-def: $vgpr18_vgpr19
	s_and_saveexec_b64 s[0:1], vcc
	s_xor_b64 s[6:7], exec, s[0:1]
	s_cbranch_execz .LBB113_59
; %bb.58:                               ;   in Loop: Header=BB113_49 Depth=1
	v_ashrrev_i32_e32 v25, 31, v13
	v_add_co_u32_e32 v18, vcc, v12, v25
	v_addc_co_u32_e32 v13, vcc, v13, v25, vcc
	v_xor_b32_e32 v13, v13, v25
	v_xor_b32_e32 v29, v18, v25
	v_cvt_f32_u32_e32 v18, v29
	v_cvt_f32_u32_e32 v19, v13
	v_sub_co_u32_e32 v23, vcc, 0, v29
	v_subb_co_u32_e32 v32, vcc, 0, v13, vcc
	v_mac_f32_e32 v18, 0x4f800000, v19
	v_rcp_f32_e32 v18, v18
	v_mul_f32_e32 v18, 0x5f7ffffc, v18
	v_mul_f32_e32 v19, 0x2f800000, v18
	v_trunc_f32_e32 v19, v19
	v_mac_f32_e32 v18, 0xcf800000, v19
	v_cvt_u32_f32_e32 v22, v18
	v_cvt_u32_f32_e32 v33, v19
	v_mul_lo_u32 v20, v32, v22
	v_mad_u64_u32 v[18:19], s[0:1], v23, v22, 0
	v_mul_lo_u32 v21, v23, v33
	v_add3_u32 v19, v19, v21, v20
	v_mad_u64_u32 v[20:21], s[0:1], v22, v19, 0
	v_mul_hi_u32 v34, v22, v18
	v_add_co_u32_e32 v34, vcc, v34, v20
	v_addc_co_u32_e32 v35, vcc, 0, v21, vcc
	v_mad_u64_u32 v[20:21], s[0:1], v33, v19, 0
	v_mad_u64_u32 v[18:19], s[0:1], v33, v18, 0
	v_add_co_u32_e32 v18, vcc, v34, v18
	v_addc_co_u32_e32 v18, vcc, v35, v19, vcc
	v_addc_co_u32_e32 v19, vcc, 0, v21, vcc
	v_add_co_u32_e32 v18, vcc, v18, v20
	v_addc_co_u32_e32 v19, vcc, 0, v19, vcc
	v_add_co_u32_e32 v34, vcc, v22, v18
	v_addc_co_u32_e32 v35, vcc, v33, v19, vcc
	v_mul_lo_u32 v20, v23, v35
	v_mul_lo_u32 v21, v32, v34
	v_mad_u64_u32 v[18:19], s[0:1], v23, v34, 0
	v_add3_u32 v19, v19, v20, v21
	v_mad_u64_u32 v[22:23], s[0:1], v35, v18, 0
	v_mad_u64_u32 v[32:33], s[0:1], v34, v19, 0
	v_mul_hi_u32 v18, v34, v18
	v_add_co_u32_e32 v18, vcc, v18, v32
	v_mad_u64_u32 v[20:21], s[0:1], v35, v19, 0
	v_addc_co_u32_e32 v19, vcc, 0, v33, vcc
	v_add_co_u32_e32 v18, vcc, v18, v22
	v_addc_co_u32_e32 v18, vcc, v19, v23, vcc
	v_addc_co_u32_e32 v19, vcc, 0, v21, vcc
	v_add_co_u32_e32 v18, vcc, v18, v20
	v_addc_co_u32_e32 v19, vcc, 0, v19, vcc
	v_add_co_u32_e32 v20, vcc, v34, v18
	v_addc_co_u32_e32 v21, vcc, v35, v19, vcc
	v_ashrrev_i32_e32 v22, 31, v9
	v_add_co_u32_e32 v18, vcc, v8, v22
	v_xor_b32_e32 v23, v18, v22
	v_addc_co_u32_e32 v9, vcc, v9, v22, vcc
	v_mad_u64_u32 v[18:19], s[0:1], v23, v21, 0
	v_mul_hi_u32 v32, v23, v20
	v_xor_b32_e32 v9, v9, v22
	v_add_co_u32_e32 v32, vcc, v32, v18
	v_addc_co_u32_e32 v33, vcc, 0, v19, vcc
	v_mad_u64_u32 v[18:19], s[0:1], v9, v21, 0
	v_mad_u64_u32 v[20:21], s[0:1], v9, v20, 0
	v_add_co_u32_e32 v20, vcc, v32, v20
	v_addc_co_u32_e32 v20, vcc, v33, v21, vcc
	v_addc_co_u32_e32 v19, vcc, 0, v19, vcc
	v_add_co_u32_e32 v20, vcc, v20, v18
	v_addc_co_u32_e32 v21, vcc, 0, v19, vcc
	v_mul_lo_u32 v32, v13, v20
	v_mul_lo_u32 v33, v29, v21
	v_mad_u64_u32 v[18:19], s[0:1], v29, v20, 0
	v_add3_u32 v19, v19, v33, v32
	v_sub_u32_e32 v32, v9, v19
	v_sub_co_u32_e32 v18, vcc, v23, v18
	v_subb_co_u32_e64 v23, s[0:1], v32, v13, vcc
	v_sub_co_u32_e64 v32, s[0:1], v18, v29
	v_subbrev_co_u32_e64 v23, s[0:1], 0, v23, s[0:1]
	v_cmp_ge_u32_e64 s[0:1], v23, v13
	v_cndmask_b32_e64 v33, 0, -1, s[0:1]
	v_cmp_ge_u32_e64 s[0:1], v32, v29
	v_cndmask_b32_e64 v32, 0, -1, s[0:1]
	v_cmp_eq_u32_e64 s[0:1], v23, v13
	v_cndmask_b32_e64 v23, v33, v32, s[0:1]
	v_add_co_u32_e64 v32, s[0:1], 2, v20
	v_subb_co_u32_e32 v9, vcc, v9, v19, vcc
	v_addc_co_u32_e64 v33, s[0:1], 0, v21, s[0:1]
	v_cmp_ge_u32_e32 vcc, v9, v13
	v_add_co_u32_e64 v34, s[0:1], 1, v20
	v_cndmask_b32_e64 v19, 0, -1, vcc
	v_cmp_ge_u32_e32 vcc, v18, v29
	v_addc_co_u32_e64 v35, s[0:1], 0, v21, s[0:1]
	v_cndmask_b32_e64 v18, 0, -1, vcc
	v_cmp_eq_u32_e32 vcc, v9, v13
	v_cmp_ne_u32_e64 s[0:1], 0, v23
	v_cndmask_b32_e32 v9, v19, v18, vcc
	v_cmp_ne_u32_e32 vcc, 0, v9
	v_cndmask_b32_e64 v13, v34, v32, s[0:1]
	v_cndmask_b32_e64 v23, v35, v33, s[0:1]
	v_cndmask_b32_e32 v13, v20, v13, vcc
	v_xor_b32_e32 v19, v22, v25
	v_cndmask_b32_e32 v9, v21, v23, vcc
	v_xor_b32_e32 v13, v13, v19
	v_xor_b32_e32 v9, v9, v19
	v_sub_co_u32_e32 v18, vcc, v13, v19
	v_subb_co_u32_e32 v19, vcc, v9, v19, vcc
.LBB113_59:                             ;   in Loop: Header=BB113_49 Depth=1
	s_andn2_saveexec_b64 s[0:1], s[6:7]
	s_cbranch_execz .LBB113_61
; %bb.60:                               ;   in Loop: Header=BB113_49 Depth=1
	v_cvt_f32_u32_e32 v9, v12
	v_sub_u32_e32 v13, 0, v12
	v_mov_b32_e32 v19, v24
	v_rcp_iflag_f32_e32 v9, v9
	v_mul_f32_e32 v9, 0x4f7ffffe, v9
	v_cvt_u32_f32_e32 v9, v9
	v_mul_lo_u32 v13, v13, v9
	v_mul_hi_u32 v13, v9, v13
	v_add_u32_e32 v9, v9, v13
	v_mul_hi_u32 v9, v8, v9
	v_mul_lo_u32 v13, v9, v12
	v_sub_u32_e32 v8, v8, v13
	v_add_u32_e32 v18, 1, v9
	v_sub_u32_e32 v13, v8, v12
	v_cmp_ge_u32_e32 vcc, v8, v12
	v_cndmask_b32_e32 v8, v8, v13, vcc
	v_cndmask_b32_e32 v9, v9, v18, vcc
	v_add_u32_e32 v13, 1, v9
	v_cmp_ge_u32_e32 vcc, v8, v12
	v_cndmask_b32_e32 v18, v9, v13, vcc
.LBB113_61:                             ;   in Loop: Header=BB113_49 Depth=1
	s_or_b64 exec, exec, s[0:1]
	v_or_b32_e32 v25, v11, v15
	v_cmp_ne_u64_e32 vcc, 0, v[24:25]
                                        ; implicit-def: $vgpr8_vgpr9
	s_and_saveexec_b64 s[0:1], vcc
	s_xor_b64 s[6:7], exec, s[0:1]
	s_cbranch_execz .LBB113_63
; %bb.62:                               ;   in Loop: Header=BB113_49 Depth=1
	v_ashrrev_i32_e32 v22, 31, v15
	v_add_co_u32_e32 v8, vcc, v14, v22
	v_addc_co_u32_e32 v9, vcc, v15, v22, vcc
	v_xor_b32_e32 v23, v9, v22
	v_xor_b32_e32 v25, v8, v22
	v_cvt_f32_u32_e32 v8, v25
	v_cvt_f32_u32_e32 v9, v23
	v_sub_co_u32_e32 v15, vcc, 0, v25
	v_subb_co_u32_e32 v20, vcc, 0, v23, vcc
	v_mac_f32_e32 v8, 0x4f800000, v9
	v_rcp_f32_e32 v8, v8
	v_mul_f32_e32 v8, 0x5f7ffffc, v8
	v_mul_f32_e32 v9, 0x2f800000, v8
	v_trunc_f32_e32 v9, v9
	v_mac_f32_e32 v8, 0xcf800000, v9
	v_cvt_u32_f32_e32 v14, v8
	v_cvt_u32_f32_e32 v21, v9
	v_mul_lo_u32 v12, v20, v14
	v_mad_u64_u32 v[8:9], s[0:1], v15, v14, 0
	v_mul_lo_u32 v13, v15, v21
	v_add3_u32 v9, v9, v13, v12
	v_mad_u64_u32 v[12:13], s[0:1], v14, v9, 0
	v_mul_hi_u32 v29, v14, v8
	v_add_co_u32_e32 v29, vcc, v29, v12
	v_addc_co_u32_e32 v32, vcc, 0, v13, vcc
	v_mad_u64_u32 v[12:13], s[0:1], v21, v9, 0
	v_mad_u64_u32 v[8:9], s[0:1], v21, v8, 0
	v_add_co_u32_e32 v8, vcc, v29, v8
	v_addc_co_u32_e32 v8, vcc, v32, v9, vcc
	v_addc_co_u32_e32 v9, vcc, 0, v13, vcc
	v_add_co_u32_e32 v8, vcc, v8, v12
	v_addc_co_u32_e32 v9, vcc, 0, v9, vcc
	v_add_co_u32_e32 v29, vcc, v14, v8
	v_addc_co_u32_e32 v32, vcc, v21, v9, vcc
	v_mul_lo_u32 v12, v15, v32
	v_mul_lo_u32 v13, v20, v29
	v_mad_u64_u32 v[8:9], s[0:1], v15, v29, 0
	v_add3_u32 v9, v9, v12, v13
	v_mad_u64_u32 v[14:15], s[0:1], v32, v8, 0
	v_mad_u64_u32 v[20:21], s[0:1], v29, v9, 0
	v_mul_hi_u32 v8, v29, v8
	v_add_co_u32_e32 v8, vcc, v8, v20
	v_mad_u64_u32 v[12:13], s[0:1], v32, v9, 0
	v_addc_co_u32_e32 v9, vcc, 0, v21, vcc
	v_add_co_u32_e32 v8, vcc, v8, v14
	v_addc_co_u32_e32 v8, vcc, v9, v15, vcc
	v_addc_co_u32_e32 v9, vcc, 0, v13, vcc
	v_add_co_u32_e32 v8, vcc, v8, v12
	v_addc_co_u32_e32 v9, vcc, 0, v9, vcc
	v_add_co_u32_e32 v12, vcc, v29, v8
	v_addc_co_u32_e32 v13, vcc, v32, v9, vcc
	v_ashrrev_i32_e32 v14, 31, v11
	v_add_co_u32_e32 v8, vcc, v10, v14
	v_addc_co_u32_e32 v9, vcc, v11, v14, vcc
	v_xor_b32_e32 v20, v8, v14
	v_xor_b32_e32 v15, v9, v14
	v_mad_u64_u32 v[8:9], s[0:1], v20, v13, 0
	v_mul_hi_u32 v10, v20, v12
	v_add_co_u32_e32 v21, vcc, v10, v8
	v_addc_co_u32_e32 v29, vcc, 0, v9, vcc
	v_mad_u64_u32 v[10:11], s[0:1], v15, v12, 0
	v_add_co_u32_e32 v10, vcc, v21, v10
	v_mad_u64_u32 v[8:9], s[0:1], v15, v13, 0
	v_addc_co_u32_e32 v10, vcc, v29, v11, vcc
	v_addc_co_u32_e32 v9, vcc, 0, v9, vcc
	v_add_co_u32_e32 v10, vcc, v10, v8
	v_addc_co_u32_e32 v11, vcc, 0, v9, vcc
	v_mul_lo_u32 v12, v23, v10
	v_mul_lo_u32 v13, v25, v11
	v_mad_u64_u32 v[8:9], s[0:1], v25, v10, 0
	v_add3_u32 v9, v9, v13, v12
	v_sub_u32_e32 v12, v15, v9
	v_sub_co_u32_e32 v8, vcc, v20, v8
	v_subb_co_u32_e64 v12, s[0:1], v12, v23, vcc
	v_sub_co_u32_e64 v13, s[0:1], v8, v25
	v_subbrev_co_u32_e64 v12, s[0:1], 0, v12, s[0:1]
	v_cmp_ge_u32_e64 s[0:1], v12, v23
	v_cndmask_b32_e64 v20, 0, -1, s[0:1]
	v_cmp_ge_u32_e64 s[0:1], v13, v25
	v_cndmask_b32_e64 v13, 0, -1, s[0:1]
	v_cmp_eq_u32_e64 s[0:1], v12, v23
	v_cndmask_b32_e64 v12, v20, v13, s[0:1]
	v_add_co_u32_e64 v13, s[0:1], 2, v10
	v_subb_co_u32_e32 v9, vcc, v15, v9, vcc
	v_addc_co_u32_e64 v20, s[0:1], 0, v11, s[0:1]
	v_cmp_ge_u32_e32 vcc, v9, v23
	v_add_co_u32_e64 v21, s[0:1], 1, v10
	v_cndmask_b32_e64 v15, 0, -1, vcc
	v_cmp_ge_u32_e32 vcc, v8, v25
	v_addc_co_u32_e64 v29, s[0:1], 0, v11, s[0:1]
	v_cndmask_b32_e64 v8, 0, -1, vcc
	v_cmp_eq_u32_e32 vcc, v9, v23
	v_cmp_ne_u32_e64 s[0:1], 0, v12
	v_cndmask_b32_e32 v8, v15, v8, vcc
	v_cndmask_b32_e64 v12, v29, v20, s[0:1]
	v_cmp_ne_u32_e32 vcc, 0, v8
	v_cndmask_b32_e64 v9, v21, v13, s[0:1]
	v_cndmask_b32_e32 v8, v11, v12, vcc
	v_cndmask_b32_e32 v9, v10, v9, vcc
	v_xor_b32_e32 v10, v14, v22
	v_xor_b32_e32 v11, v8, v10
	;; [unrolled: 1-line block ×3, first 2 shown]
	v_sub_co_u32_e32 v8, vcc, v8, v10
	v_subb_co_u32_e32 v9, vcc, v11, v10, vcc
                                        ; implicit-def: $vgpr14_vgpr15
                                        ; implicit-def: $vgpr10_vgpr11
.LBB113_63:                             ;   in Loop: Header=BB113_49 Depth=1
	s_andn2_saveexec_b64 s[0:1], s[6:7]
	s_cbranch_execz .LBB113_48
; %bb.64:                               ;   in Loop: Header=BB113_49 Depth=1
	v_cvt_f32_u32_e32 v8, v14
	v_sub_u32_e32 v9, 0, v14
	v_rcp_iflag_f32_e32 v8, v8
	v_mul_f32_e32 v8, 0x4f7ffffe, v8
	v_cvt_u32_f32_e32 v8, v8
	v_mul_lo_u32 v9, v9, v8
	v_mul_hi_u32 v9, v8, v9
	v_add_u32_e32 v8, v8, v9
	v_mul_hi_u32 v8, v10, v8
	v_mul_lo_u32 v9, v8, v14
	v_sub_u32_e32 v9, v10, v9
	v_add_u32_e32 v11, 1, v8
	v_sub_u32_e32 v10, v9, v14
	v_cmp_ge_u32_e32 vcc, v9, v14
	v_cndmask_b32_e32 v9, v9, v10, vcc
	v_cndmask_b32_e32 v8, v8, v11, vcc
	v_add_u32_e32 v10, 1, v8
	v_cmp_ge_u32_e32 vcc, v9, v14
	v_cndmask_b32_e32 v8, v8, v10, vcc
	v_mov_b32_e32 v9, v24
	s_branch .LBB113_48
.LBB113_65:
	s_endpgm
	.section	.rodata,"a",@progbits
	.p2align	6, 0x0
	.amdhsa_kernel _ZN2at6native12_GLOBAL__N_125multi_tensor_apply_kernelINS1_28TensorListScalarListMetadataIlLi4EEENS1_28PointwiseOpScalarListFunctorIlLi4ELi3ELi3EEEJSt7dividesIlEEEEvT_T0_DpT1_
		.amdhsa_group_segment_fixed_size 0
		.amdhsa_private_segment_fixed_size 0
		.amdhsa_kernarg_size 3592
		.amdhsa_user_sgpr_count 6
		.amdhsa_user_sgpr_private_segment_buffer 1
		.amdhsa_user_sgpr_dispatch_ptr 0
		.amdhsa_user_sgpr_queue_ptr 0
		.amdhsa_user_sgpr_kernarg_segment_ptr 1
		.amdhsa_user_sgpr_dispatch_id 0
		.amdhsa_user_sgpr_flat_scratch_init 0
		.amdhsa_user_sgpr_kernarg_preload_length 0
		.amdhsa_user_sgpr_kernarg_preload_offset 0
		.amdhsa_user_sgpr_private_segment_size 0
		.amdhsa_uses_dynamic_stack 0
		.amdhsa_system_sgpr_private_segment_wavefront_offset 0
		.amdhsa_system_sgpr_workgroup_id_x 1
		.amdhsa_system_sgpr_workgroup_id_y 0
		.amdhsa_system_sgpr_workgroup_id_z 0
		.amdhsa_system_sgpr_workgroup_info 0
		.amdhsa_system_vgpr_workitem_id 0
		.amdhsa_next_free_vgpr 75
		.amdhsa_next_free_sgpr 36
		.amdhsa_accum_offset 76
		.amdhsa_reserve_vcc 1
		.amdhsa_reserve_flat_scratch 0
		.amdhsa_float_round_mode_32 0
		.amdhsa_float_round_mode_16_64 0
		.amdhsa_float_denorm_mode_32 3
		.amdhsa_float_denorm_mode_16_64 3
		.amdhsa_dx10_clamp 1
		.amdhsa_ieee_mode 1
		.amdhsa_fp16_overflow 0
		.amdhsa_tg_split 0
		.amdhsa_exception_fp_ieee_invalid_op 0
		.amdhsa_exception_fp_denorm_src 0
		.amdhsa_exception_fp_ieee_div_zero 0
		.amdhsa_exception_fp_ieee_overflow 0
		.amdhsa_exception_fp_ieee_underflow 0
		.amdhsa_exception_fp_ieee_inexact 0
		.amdhsa_exception_int_div_zero 0
	.end_amdhsa_kernel
	.section	.text._ZN2at6native12_GLOBAL__N_125multi_tensor_apply_kernelINS1_28TensorListScalarListMetadataIlLi4EEENS1_28PointwiseOpScalarListFunctorIlLi4ELi3ELi3EEEJSt7dividesIlEEEEvT_T0_DpT1_,"axG",@progbits,_ZN2at6native12_GLOBAL__N_125multi_tensor_apply_kernelINS1_28TensorListScalarListMetadataIlLi4EEENS1_28PointwiseOpScalarListFunctorIlLi4ELi3ELi3EEEJSt7dividesIlEEEEvT_T0_DpT1_,comdat
.Lfunc_end113:
	.size	_ZN2at6native12_GLOBAL__N_125multi_tensor_apply_kernelINS1_28TensorListScalarListMetadataIlLi4EEENS1_28PointwiseOpScalarListFunctorIlLi4ELi3ELi3EEEJSt7dividesIlEEEEvT_T0_DpT1_, .Lfunc_end113-_ZN2at6native12_GLOBAL__N_125multi_tensor_apply_kernelINS1_28TensorListScalarListMetadataIlLi4EEENS1_28PointwiseOpScalarListFunctorIlLi4ELi3ELi3EEEJSt7dividesIlEEEEvT_T0_DpT1_
                                        ; -- End function
	.section	.AMDGPU.csdata,"",@progbits
; Kernel info:
; codeLenInByte = 7856
; NumSgprs: 40
; NumVgprs: 75
; NumAgprs: 0
; TotalNumVgprs: 75
; ScratchSize: 0
; MemoryBound: 1
; FloatMode: 240
; IeeeMode: 1
; LDSByteSize: 0 bytes/workgroup (compile time only)
; SGPRBlocks: 4
; VGPRBlocks: 9
; NumSGPRsForWavesPerEU: 40
; NumVGPRsForWavesPerEU: 75
; AccumOffset: 76
; Occupancy: 6
; WaveLimiterHint : 1
; COMPUTE_PGM_RSRC2:SCRATCH_EN: 0
; COMPUTE_PGM_RSRC2:USER_SGPR: 6
; COMPUTE_PGM_RSRC2:TRAP_HANDLER: 0
; COMPUTE_PGM_RSRC2:TGID_X_EN: 1
; COMPUTE_PGM_RSRC2:TGID_Y_EN: 0
; COMPUTE_PGM_RSRC2:TGID_Z_EN: 0
; COMPUTE_PGM_RSRC2:TIDIG_COMP_CNT: 0
; COMPUTE_PGM_RSRC3_GFX90A:ACCUM_OFFSET: 18
; COMPUTE_PGM_RSRC3_GFX90A:TG_SPLIT: 0
	.section	.text._ZN2at6native12_GLOBAL__N_125multi_tensor_apply_kernelINS1_28TensorListScalarListMetadataIsLi4EEENS1_28PointwiseOpScalarListFunctorIsLi4ELi3ELi3EEEJSt7dividesIsEEEEvT_T0_DpT1_,"axG",@progbits,_ZN2at6native12_GLOBAL__N_125multi_tensor_apply_kernelINS1_28TensorListScalarListMetadataIsLi4EEENS1_28PointwiseOpScalarListFunctorIsLi4ELi3ELi3EEEJSt7dividesIsEEEEvT_T0_DpT1_,comdat
	.globl	_ZN2at6native12_GLOBAL__N_125multi_tensor_apply_kernelINS1_28TensorListScalarListMetadataIsLi4EEENS1_28PointwiseOpScalarListFunctorIsLi4ELi3ELi3EEEJSt7dividesIsEEEEvT_T0_DpT1_ ; -- Begin function _ZN2at6native12_GLOBAL__N_125multi_tensor_apply_kernelINS1_28TensorListScalarListMetadataIsLi4EEENS1_28PointwiseOpScalarListFunctorIsLi4ELi3ELi3EEEJSt7dividesIsEEEEvT_T0_DpT1_
	.p2align	8
	.type	_ZN2at6native12_GLOBAL__N_125multi_tensor_apply_kernelINS1_28TensorListScalarListMetadataIsLi4EEENS1_28PointwiseOpScalarListFunctorIsLi4ELi3ELi3EEEJSt7dividesIsEEEEvT_T0_DpT1_,@function
_ZN2at6native12_GLOBAL__N_125multi_tensor_apply_kernelINS1_28TensorListScalarListMetadataIsLi4EEENS1_28PointwiseOpScalarListFunctorIsLi4ELi3ELi3EEEJSt7dividesIsEEEEvT_T0_DpT1_: ; @_ZN2at6native12_GLOBAL__N_125multi_tensor_apply_kernelINS1_28TensorListScalarListMetadataIsLi4EEENS1_28PointwiseOpScalarListFunctorIsLi4ELi3ELi3EEEJSt7dividesIsEEEEvT_T0_DpT1_
; %bb.0:
	v_mov_b32_e32 v1, s6
	global_load_ubyte v1, v1, s[4:5] offset:1512
	s_add_u32 s0, s4, s6
	s_mul_i32 s1, s6, 3
	s_addc_u32 s2, s5, 0
	s_mul_hi_u32 s3, s6, 3
	s_add_u32 s0, s0, s1
	s_addc_u32 s1, s2, s3
	s_load_dword s0, s[0:1], 0x728
	s_waitcnt lgkmcnt(0)
	s_ashr_i32 s1, s0, 31
	s_waitcnt vmcnt(0)
	v_readfirstlane_b32 s2, v1
	s_lshl_b32 s6, s2, 3
	s_add_u32 s7, s4, s6
	v_mul_hi_i32 v3, v1, -6
	v_mul_lo_u32 v1, v1, -6
	s_addc_u32 s8, s5, 0
	v_mov_b32_e32 v4, s8
	v_add_co_u32_e32 v2, vcc, s7, v1
	v_addc_co_u32_e32 v3, vcc, v4, v3, vcc
	s_load_dwordx2 s[2:3], s[4:5], s6 offset:0x480
	global_load_ushort v33, v[2:3], off offset:1440
	s_load_dwordx2 s[10:11], s[4:5], s6 offset:0x0
	s_load_dwordx2 s[12:13], s[4:5], s6 offset:0x120
	s_lshl_b64 s[20:21], s[0:1], 17
	s_load_dwordx2 s[14:15], s[4:5], s6 offset:0x240
	s_load_dwordx2 s[16:17], s[4:5], s6 offset:0x360
	s_mov_b32 s7, 0
	s_waitcnt lgkmcnt(0)
	s_and_b32 s22, s10, 7
	s_add_u32 s6, s12, s20
	s_and_b32 s6, s6, 7
	s_cmp_eq_u64 s[6:7], 0
	s_cselect_b64 s[8:9], -1, 0
	s_add_u32 s6, s14, s20
	s_or_b32 s6, s16, s6
	s_and_b32 s6, s6, 7
	s_cmp_eq_u32 s6, 0
	s_cselect_b64 s[18:19], -1, 0
	s_and_b64 s[8:9], s[18:19], s[8:9]
	s_lshl_b64 s[0:1], s[0:1], 16
	s_sub_u32 s18, s2, s0
	s_subb_u32 s19, s3, s1
	s_and_b32 s0, s2, 3
	s_or_b32 s6, s22, s0
	s_cmp_eq_u64 s[6:7], 0
	s_cselect_b64 s[0:1], -1, 0
	s_and_b64 s[2:3], s[8:9], s[0:1]
	s_mov_b64 s[0:1], -1
	s_and_b64 vcc, exec, s[2:3]
	s_cbranch_vccnz .LBB114_29
; %bb.1:
	v_cmp_lt_i64_e64 s[0:1], s[18:19], 1
	s_and_b64 vcc, exec, s[0:1]
	s_cbranch_vccnz .LBB114_28
; %bb.2:
	s_load_dword s0, s[4:5], 0xc3c
	v_mov_b32_e32 v19, 0
	v_lshlrev_b32_e32 v18, 1, v0
	v_mov_b32_e32 v21, s11
	v_mov_b32_e32 v23, s13
	s_waitcnt lgkmcnt(0)
	s_and_b32 s6, s0, 0xffff
	v_mad_u64_u32 v[16:17], s[2:3], s6, 6, v[18:19]
	v_add_co_u32_e64 v10, s[2:3], s10, v16
	v_addc_co_u32_e64 v5, s[2:3], v21, v17, s[2:3]
	v_add_co_u32_e64 v12, s[2:3], s12, v16
	v_addc_co_u32_e64 v7, s[2:3], v23, v17, s[2:3]
	v_mov_b32_e32 v27, s15
	v_add_co_u32_e64 v14, s[2:3], s14, v16
	v_mov_b32_e32 v2, 0x10000
	v_addc_co_u32_e64 v9, s[2:3], v27, v17, s[2:3]
	v_mov_b32_e32 v3, 0
	v_mov_b32_e32 v31, s17
	v_add_co_u32_e64 v16, s[2:3], s16, v16
	v_cmp_lt_u64_e32 vcc, s[18:19], v[2:3]
	s_mul_i32 s8, s6, 3
	v_addc_co_u32_e64 v11, s[2:3], v31, v17, s[2:3]
	s_and_b64 s[0:1], vcc, exec
	v_add_co_u32_e32 v2, vcc, s10, v18
	v_add_co_u32_e64 v34, s[2:3], s8, v0
	s_cselect_b32 s23, s19, 0
	s_cselect_b32 s22, s18, 0x10000
	s_lshl_b32 s29, s6, 2
	v_addc_co_u32_e32 v1, vcc, 0, v21, vcc
	v_addc_co_u32_e64 v35, s[2:3], 0, 0, s[2:3]
	v_add_co_u32_e32 v4, vcc, s12, v18
	v_add_co_u32_e64 v19, s[2:3], s29, v18
	v_addc_co_u32_e32 v3, vcc, 0, v23, vcc
	v_addc_co_u32_e64 v25, s[2:3], 0, 0, s[2:3]
	v_add_co_u32_e32 v6, vcc, s14, v18
	v_add_co_u32_e64 v8, s[0:1], s16, v18
	v_add_co_u32_e64 v18, s[2:3], s10, v19
	v_addc_co_u32_e64 v13, s[2:3], v21, v25, s[2:3]
	v_add_co_u32_e64 v20, s[2:3], s12, v19
	v_addc_co_u32_e64 v15, s[2:3], v23, v25, s[2:3]
	;; [unrolled: 2-line block ×3, first 2 shown]
	v_add_co_u32_e64 v24, s[2:3], s16, v19
	s_lshl_b32 s7, s6, 1
	v_addc_co_u32_e64 v19, s[2:3], v31, v25, s[2:3]
	v_add_co_u32_e64 v36, s[2:3], s7, v0
	v_addc_co_u32_e64 v37, s[2:3], 0, 0, s[2:3]
	v_add_co_u32_e64 v38, s[2:3], s6, v0
	v_addc_co_u32_e64 v39, s[2:3], 0, 0, s[2:3]
	v_lshlrev_b32_e32 v29, 1, v38
	v_addc_co_u32_e32 v25, vcc, 0, v27, vcc
	v_add_co_u32_e64 v26, s[2:3], s10, v29
	v_add_co_u32_e32 v30, vcc, s14, v29
	v_addc_co_u32_e64 v21, s[2:3], 0, v21, s[2:3]
	v_addc_co_u32_e32 v27, vcc, 0, v27, vcc
	v_add_co_u32_e64 v28, s[2:3], s12, v29
	v_add_co_u32_e32 v32, vcc, s16, v29
	s_mov_b32 s28, 0
	s_lshl_b32 s30, s6, 3
	s_mov_b64 s[24:25], 0
	v_addc_co_u32_e64 v23, s[2:3], 0, v23, s[2:3]
	v_addc_co_u32_e64 v29, s[0:1], 0, v31, s[0:1]
	v_addc_co_u32_e32 v31, vcc, 0, v31, vcc
	s_branch .LBB114_4
.LBB114_3:                              ;   in Loop: Header=BB114_4 Depth=1
	s_or_b64 exec, exec, s[0:1]
	s_add_u32 s24, s24, s29
	s_addc_u32 s25, s25, 0
	s_waitcnt vmcnt(1)
	v_pk_mov_b32 v[40:41], s[18:19], s[18:19] op_sel:[0,1]
	v_cmp_lt_i64_e32 vcc, s[24:25], v[40:41]
	v_mov_b32_e32 v40, 0x10000
	v_mov_b32_e32 v41, 0
	v_cmp_lt_u64_e64 s[0:1], s[24:25], v[40:41]
	v_mov_b32_e32 v40, s28
	v_add_co_u32_e64 v2, s[2:3], s30, v2
	v_addc_co_u32_e64 v1, s[2:3], v1, v40, s[2:3]
	v_add_co_u32_e64 v4, s[2:3], s30, v4
	v_addc_co_u32_e64 v3, s[2:3], v3, v40, s[2:3]
	;; [unrolled: 2-line block ×15, first 2 shown]
	v_add_co_u32_e64 v32, s[2:3], s30, v32
	s_and_b64 s[0:1], vcc, s[0:1]
	v_addc_co_u32_e64 v31, s[2:3], v31, v40, s[2:3]
	s_and_b64 vcc, exec, s[0:1]
	s_cbranch_vccz .LBB114_28
.LBB114_4:                              ; =>This Inner Loop Header: Depth=1
	v_mov_b32_e32 v41, s25
	v_add_co_u32_e32 v40, vcc, s24, v0
	v_addc_co_u32_e32 v41, vcc, 0, v41, vcc
	v_cmp_gt_u64_e32 vcc, s[22:23], v[40:41]
	v_mov_b32_e32 v41, 0
	s_waitcnt vmcnt(0)
	v_mov_b32_e32 v44, 0
	s_and_saveexec_b64 s[2:3], vcc
	s_cbranch_execz .LBB114_6
; %bb.5:                                ;   in Loop: Header=BB114_4 Depth=1
	v_mov_b32_e32 v40, s21
	v_add_co_u32_e64 v42, s[0:1], s20, v2
	v_addc_co_u32_e64 v43, s[0:1], v1, v40, s[0:1]
	v_add_co_u32_e64 v46, s[0:1], s20, v4
	v_addc_co_u32_e64 v47, s[0:1], v3, v40, s[0:1]
	global_load_ushort v41, v[42:43], off
	global_load_ushort v44, v[46:47], off
.LBB114_6:                              ;   in Loop: Header=BB114_4 Depth=1
	s_or_b64 exec, exec, s[2:3]
	v_mov_b32_e32 v40, 0
	v_mov_b32_e32 v46, 0
	s_and_saveexec_b64 s[2:3], vcc
	s_cbranch_execz .LBB114_8
; %bb.7:                                ;   in Loop: Header=BB114_4 Depth=1
	v_mov_b32_e32 v43, s21
	v_add_co_u32_e64 v42, s[0:1], s20, v6
	v_addc_co_u32_e64 v43, s[0:1], v25, v43, s[0:1]
	global_load_ushort v46, v[42:43], off
.LBB114_8:                              ;   in Loop: Header=BB114_4 Depth=1
	s_or_b64 exec, exec, s[2:3]
	v_mov_b32_e32 v43, s25
	v_add_co_u32_e64 v42, s[0:1], s24, v38
	v_addc_co_u32_e64 v43, s[0:1], v39, v43, s[0:1]
	v_cmp_gt_u64_e64 s[0:1], s[22:23], v[42:43]
	v_mov_b32_e32 v45, 0
	s_and_saveexec_b64 s[6:7], s[0:1]
	s_cbranch_execz .LBB114_10
; %bb.9:                                ;   in Loop: Header=BB114_4 Depth=1
	v_mov_b32_e32 v40, s21
	v_add_co_u32_e64 v42, s[2:3], s20, v28
	v_addc_co_u32_e64 v43, s[2:3], v23, v40, s[2:3]
	v_add_co_u32_e64 v48, s[2:3], s20, v26
	v_addc_co_u32_e64 v49, s[2:3], v21, v40, s[2:3]
	global_load_ushort v40, v[48:49], off
	global_load_ushort v45, v[42:43], off
.LBB114_10:                             ;   in Loop: Header=BB114_4 Depth=1
	s_or_b64 exec, exec, s[6:7]
	v_mov_b32_e32 v42, 0
	v_mov_b32_e32 v48, 0
	s_and_saveexec_b64 s[6:7], s[0:1]
	s_cbranch_execz .LBB114_12
; %bb.11:                               ;   in Loop: Header=BB114_4 Depth=1
	v_mov_b32_e32 v43, s21
	v_add_co_u32_e64 v48, s[2:3], s20, v30
	v_addc_co_u32_e64 v49, s[2:3], v27, v43, s[2:3]
	global_load_ushort v48, v[48:49], off
.LBB114_12:                             ;   in Loop: Header=BB114_4 Depth=1
	s_or_b64 exec, exec, s[6:7]
	v_mov_b32_e32 v43, s25
	v_add_co_u32_e64 v50, s[2:3], s24, v36
	v_addc_co_u32_e64 v51, s[2:3], v37, v43, s[2:3]
	v_cmp_gt_u64_e64 s[2:3], s[22:23], v[50:51]
	v_mov_b32_e32 v47, 0
	s_and_saveexec_b64 s[8:9], s[2:3]
	s_cbranch_execz .LBB114_14
; %bb.13:                               ;   in Loop: Header=BB114_4 Depth=1
	v_mov_b32_e32 v42, s21
	v_add_co_u32_e64 v50, s[6:7], s20, v20
	v_addc_co_u32_e64 v51, s[6:7], v15, v42, s[6:7]
	v_add_co_u32_e64 v52, s[6:7], s20, v18
	v_addc_co_u32_e64 v53, s[6:7], v13, v42, s[6:7]
	global_load_ushort v42, v[52:53], off
	global_load_ushort v47, v[50:51], off
.LBB114_14:                             ;   in Loop: Header=BB114_4 Depth=1
	s_or_b64 exec, exec, s[8:9]
	v_mov_b32_e32 v43, 0
	v_mov_b32_e32 v50, 0
	s_and_saveexec_b64 s[8:9], s[2:3]
	s_cbranch_execz .LBB114_16
; %bb.15:                               ;   in Loop: Header=BB114_4 Depth=1
	v_mov_b32_e32 v49, s21
	v_add_co_u32_e64 v50, s[6:7], s20, v22
	v_addc_co_u32_e64 v51, s[6:7], v17, v49, s[6:7]
	global_load_ushort v50, v[50:51], off
.LBB114_16:                             ;   in Loop: Header=BB114_4 Depth=1
	s_or_b64 exec, exec, s[8:9]
	v_mov_b32_e32 v49, s25
	v_add_co_u32_e64 v52, s[6:7], s24, v34
	v_addc_co_u32_e64 v53, s[6:7], v35, v49, s[6:7]
	v_cmp_gt_u64_e64 s[6:7], s[22:23], v[52:53]
	v_mov_b32_e32 v49, 0
	s_and_saveexec_b64 s[26:27], s[6:7]
	s_cbranch_execnz .LBB114_22
; %bb.17:                               ;   in Loop: Header=BB114_4 Depth=1
	s_or_b64 exec, exec, s[26:27]
	v_mov_b32_e32 v51, 0
	s_and_saveexec_b64 s[26:27], s[6:7]
	s_cbranch_execnz .LBB114_23
.LBB114_18:                             ;   in Loop: Header=BB114_4 Depth=1
	s_or_b64 exec, exec, s[26:27]
	s_and_saveexec_b64 s[8:9], vcc
	s_cbranch_execnz .LBB114_24
.LBB114_19:                             ;   in Loop: Header=BB114_4 Depth=1
	s_or_b64 exec, exec, s[8:9]
	s_and_saveexec_b64 s[8:9], s[0:1]
	s_cbranch_execnz .LBB114_25
.LBB114_20:                             ;   in Loop: Header=BB114_4 Depth=1
	s_or_b64 exec, exec, s[8:9]
	s_and_saveexec_b64 s[0:1], s[2:3]
	s_cbranch_execnz .LBB114_26
.LBB114_21:                             ;   in Loop: Header=BB114_4 Depth=1
	s_or_b64 exec, exec, s[0:1]
	s_and_saveexec_b64 s[0:1], s[6:7]
	s_cbranch_execz .LBB114_3
	s_branch .LBB114_27
.LBB114_22:                             ;   in Loop: Header=BB114_4 Depth=1
	v_mov_b32_e32 v43, s21
	v_add_co_u32_e64 v52, s[8:9], s20, v12
	v_addc_co_u32_e64 v53, s[8:9], v7, v43, s[8:9]
	v_add_co_u32_e64 v54, s[8:9], s20, v10
	v_addc_co_u32_e64 v55, s[8:9], v5, v43, s[8:9]
	global_load_ushort v43, v[54:55], off
	global_load_ushort v49, v[52:53], off
	s_or_b64 exec, exec, s[26:27]
	v_mov_b32_e32 v51, 0
	s_and_saveexec_b64 s[26:27], s[6:7]
	s_cbranch_execz .LBB114_18
.LBB114_23:                             ;   in Loop: Header=BB114_4 Depth=1
	v_mov_b32_e32 v51, s21
	v_add_co_u32_e64 v52, s[8:9], s20, v14
	v_addc_co_u32_e64 v53, s[8:9], v9, v51, s[8:9]
	global_load_ushort v51, v[52:53], off
	s_or_b64 exec, exec, s[26:27]
	s_and_saveexec_b64 s[8:9], vcc
	s_cbranch_execz .LBB114_19
.LBB114_24:                             ;   in Loop: Header=BB114_4 Depth=1
	s_waitcnt vmcnt(0)
	v_cvt_f32_i32_sdwa v52, sext(v46) dst_sel:DWORD dst_unused:UNUSED_PAD src0_sel:WORD_0
	v_xor_b32_sdwa v46, sext(v44), sext(v46) dst_sel:DWORD dst_unused:UNUSED_PAD src0_sel:WORD_0 src1_sel:WORD_0
	v_cvt_f32_i32_sdwa v44, sext(v44) dst_sel:DWORD dst_unused:UNUSED_PAD src0_sel:WORD_0
	v_ashrrev_i32_e32 v46, 30, v46
	v_rcp_iflag_f32_e32 v53, v52
	v_or_b32_e32 v46, 1, v46
	v_mov_b32_e32 v54, s21
	v_mul_f32_e32 v53, v44, v53
	v_trunc_f32_e32 v53, v53
	v_cvt_i32_f32_e32 v55, v53
	v_mad_f32 v44, -v53, v52, v44
	v_cmp_ge_f32_e64 vcc, |v44|, |v52|
	v_cndmask_b32_e32 v44, 0, v46, vcc
	v_add_u32_e32 v44, v55, v44
	v_add_co_u32_e32 v52, vcc, s20, v8
	v_mad_legacy_u16 v41, v33, v44, v41
	v_addc_co_u32_e32 v53, vcc, v29, v54, vcc
	global_store_short v[52:53], v41, off
	s_or_b64 exec, exec, s[8:9]
	s_and_saveexec_b64 s[8:9], s[0:1]
	s_cbranch_execz .LBB114_20
.LBB114_25:                             ;   in Loop: Header=BB114_4 Depth=1
	s_waitcnt vmcnt(0)
	v_cvt_f32_i32_sdwa v41, sext(v48) dst_sel:DWORD dst_unused:UNUSED_PAD src0_sel:WORD_0
	v_xor_b32_sdwa v44, sext(v45), sext(v48) dst_sel:DWORD dst_unused:UNUSED_PAD src0_sel:WORD_0 src1_sel:WORD_0
	v_cvt_f32_i32_sdwa v45, sext(v45) dst_sel:DWORD dst_unused:UNUSED_PAD src0_sel:WORD_0
	v_ashrrev_i32_e32 v44, 30, v44
	v_rcp_iflag_f32_e32 v46, v41
	v_or_b32_e32 v44, 1, v44
	v_mov_b32_e32 v48, s21
	v_mul_f32_e32 v46, v45, v46
	v_trunc_f32_e32 v46, v46
	v_cvt_i32_f32_e32 v52, v46
	v_mad_f32 v45, -v46, v41, v45
	v_cmp_ge_f32_e64 vcc, |v45|, |v41|
	v_cndmask_b32_e32 v41, 0, v44, vcc
	v_add_u32_e32 v41, v52, v41
	v_mad_legacy_u16 v44, v33, v41, v40
	v_add_co_u32_e32 v40, vcc, s20, v32
	v_addc_co_u32_e32 v41, vcc, v31, v48, vcc
	global_store_short v[40:41], v44, off
	s_or_b64 exec, exec, s[8:9]
	s_and_saveexec_b64 s[0:1], s[2:3]
	s_cbranch_execz .LBB114_21
.LBB114_26:                             ;   in Loop: Header=BB114_4 Depth=1
	s_waitcnt vmcnt(0)
	v_cvt_f32_i32_sdwa v40, sext(v50) dst_sel:DWORD dst_unused:UNUSED_PAD src0_sel:WORD_0
	v_cvt_f32_i32_sdwa v44, sext(v47) dst_sel:DWORD dst_unused:UNUSED_PAD src0_sel:WORD_0
	v_xor_b32_sdwa v41, sext(v47), sext(v50) dst_sel:DWORD dst_unused:UNUSED_PAD src0_sel:WORD_0 src1_sel:WORD_0
	v_ashrrev_i32_e32 v41, 30, v41
	v_rcp_iflag_f32_e32 v45, v40
	v_or_b32_e32 v41, 1, v41
	v_mov_b32_e32 v46, s21
	v_mul_f32_e32 v45, v44, v45
	v_trunc_f32_e32 v45, v45
	v_cvt_i32_f32_e32 v47, v45
	v_mad_f32 v44, -v45, v40, v44
	v_cmp_ge_f32_e64 vcc, |v44|, |v40|
	v_cndmask_b32_e32 v40, 0, v41, vcc
	v_add_u32_e32 v40, v47, v40
	v_mad_legacy_u16 v42, v33, v40, v42
	v_add_co_u32_e32 v40, vcc, s20, v24
	v_addc_co_u32_e32 v41, vcc, v19, v46, vcc
	global_store_short v[40:41], v42, off
	s_or_b64 exec, exec, s[0:1]
	s_and_saveexec_b64 s[0:1], s[6:7]
	s_cbranch_execz .LBB114_3
.LBB114_27:                             ;   in Loop: Header=BB114_4 Depth=1
	s_waitcnt vmcnt(0)
	v_cvt_f32_i32_sdwa v40, sext(v51) dst_sel:DWORD dst_unused:UNUSED_PAD src0_sel:WORD_0
	v_cvt_f32_i32_sdwa v42, sext(v49) dst_sel:DWORD dst_unused:UNUSED_PAD src0_sel:WORD_0
	v_xor_b32_sdwa v41, sext(v49), sext(v51) dst_sel:DWORD dst_unused:UNUSED_PAD src0_sel:WORD_0 src1_sel:WORD_0
	v_ashrrev_i32_e32 v41, 30, v41
	v_rcp_iflag_f32_e32 v44, v40
	v_or_b32_e32 v41, 1, v41
	v_mov_b32_e32 v45, s21
	v_mul_f32_e32 v44, v42, v44
	v_trunc_f32_e32 v44, v44
	v_cvt_i32_f32_e32 v46, v44
	v_mad_f32 v42, -v44, v40, v42
	v_cmp_ge_f32_e64 vcc, |v42|, |v40|
	v_cndmask_b32_e32 v40, 0, v41, vcc
	v_add_u32_e32 v40, v46, v40
	v_mad_legacy_u16 v42, v33, v40, v43
	v_add_co_u32_e32 v40, vcc, s20, v16
	v_addc_co_u32_e32 v41, vcc, v11, v45, vcc
	global_store_short v[40:41], v42, off
	s_branch .LBB114_3
.LBB114_28:
	s_mov_b64 s[0:1], 0
.LBB114_29:
	s_andn2_b64 vcc, exec, s[0:1]
	s_cbranch_vccnz .LBB114_33
; %bb.30:
	v_mov_b32_e32 v3, 0
	v_lshlrev_b32_e32 v2, 2, v0
	s_mov_b32 s0, 0
	v_cmp_gt_i64_e32 vcc, s[18:19], v[2:3]
	s_and_saveexec_b64 s[2:3], vcc
	s_cbranch_execz .LBB114_33
; %bb.31:
	s_load_dword s1, s[4:5], 0xc3c
	v_lshlrev_b32_e32 v1, 3, v0
	v_mov_b32_e32 v2, s21
	v_add_co_u32_e32 v4, vcc, s20, v1
	s_waitcnt lgkmcnt(0)
	s_and_b32 s1, s1, 0xffff
	v_addc_co_u32_e32 v1, vcc, 0, v2, vcc
	s_lshl_b32 s8, s1, 3
	v_add_lshl_u32 v2, v0, s1, 2
	s_lshl_b32 s9, s1, 2
	s_mov_b64 s[4:5], 0
	v_mov_b32_e32 v0, s11
	v_mov_b32_e32 v5, s13
	;; [unrolled: 1-line block ×4, first 2 shown]
	s_mov_b64 s[6:7], 0xffff
	v_mov_b32_e32 v8, s0
	v_mov_b32_e32 v9, s0
.LBB114_32:                             ; =>This Inner Loop Header: Depth=1
	v_add_co_u32_e32 v10, vcc, s10, v4
	v_addc_co_u32_e32 v11, vcc, v0, v1, vcc
	v_add_co_u32_e32 v12, vcc, s12, v4
	v_addc_co_u32_e32 v13, vcc, v5, v1, vcc
	;; [unrolled: 2-line block ×3, first 2 shown]
	global_load_dwordx2 v[16:17], v[12:13], off
	global_load_dwordx2 v[18:19], v[14:15], off
	;; [unrolled: 1-line block ×3, first 2 shown]
	v_add_co_u32_e32 v10, vcc, s16, v4
	v_addc_co_u32_e32 v11, vcc, v7, v1, vcc
	v_cmp_le_i64_e32 vcc, s[18:19], v[2:3]
	v_cmp_lt_u64_e64 s[0:1], s[6:7], v[2:3]
	s_or_b64 s[0:1], vcc, s[0:1]
	v_add_co_u32_e64 v4, s[2:3], s8, v4
	v_addc_co_u32_e64 v1, s[2:3], v1, v8, s[2:3]
	v_add_co_u32_e64 v2, s[2:3], s9, v2
	s_and_b64 s[0:1], exec, s[0:1]
	v_addc_co_u32_e64 v3, s[2:3], v3, v9, s[2:3]
	s_or_b64 s[4:5], s[0:1], s[4:5]
	s_waitcnt vmcnt(2)
	v_cvt_f32_i32_sdwa v13, sext(v16) dst_sel:DWORD dst_unused:UNUSED_PAD src0_sel:WORD_0
	s_waitcnt vmcnt(1)
	v_cvt_f32_i32_sdwa v14, sext(v18) dst_sel:DWORD dst_unused:UNUSED_PAD src0_sel:WORD_0
	v_cvt_f32_i32_sdwa v24, sext(v18) dst_sel:DWORD dst_unused:UNUSED_PAD src0_sel:WORD_1
	v_xor_b32_sdwa v12, sext(v16), sext(v18) dst_sel:DWORD dst_unused:UNUSED_PAD src0_sel:WORD_0 src1_sel:WORD_0
	v_xor_b32_sdwa v22, sext(v16), sext(v18) dst_sel:DWORD dst_unused:UNUSED_PAD src0_sel:WORD_1 src1_sel:WORD_1
	v_cvt_f32_i32_sdwa v23, sext(v16) dst_sel:DWORD dst_unused:UNUSED_PAD src0_sel:WORD_1
	v_alignbit_b32 v16, v17, v16, 16
	v_alignbit_b32 v18, v19, v18, 16
	v_xor_b32_sdwa v26, sext(v17), sext(v19) dst_sel:DWORD dst_unused:UNUSED_PAD src0_sel:WORD_1 src1_sel:WORD_1
	v_cvt_f32_i32_sdwa v19, sext(v19) dst_sel:DWORD dst_unused:UNUSED_PAD src0_sel:WORD_1
	v_xor_b32_sdwa v27, sext(v16), sext(v18) dst_sel:DWORD dst_unused:UNUSED_PAD src0_sel:WORD_1 src1_sel:WORD_1
	v_cvt_f32_i32_sdwa v18, sext(v18) dst_sel:DWORD dst_unused:UNUSED_PAD src0_sel:WORD_1
	v_rcp_iflag_f32_e32 v28, v14
	v_rcp_iflag_f32_e32 v29, v24
	v_cvt_f32_i32_sdwa v17, sext(v17) dst_sel:DWORD dst_unused:UNUSED_PAD src0_sel:WORD_1
	v_rcp_iflag_f32_e32 v30, v19
	v_cvt_f32_i32_sdwa v16, sext(v16) dst_sel:DWORD dst_unused:UNUSED_PAD src0_sel:WORD_1
	v_rcp_iflag_f32_e32 v31, v18
	v_mul_f32_e32 v28, v13, v28
	v_mul_f32_e32 v29, v23, v29
	;; [unrolled: 1-line block ×3, first 2 shown]
	v_trunc_f32_e32 v28, v28
	v_trunc_f32_e32 v29, v29
	v_ashrrev_i32_e32 v12, 30, v12
	v_mul_f32_e32 v31, v16, v31
	v_trunc_f32_e32 v30, v30
	v_mad_f32 v13, -v28, v14, v13
	v_cvt_i32_f32_e32 v28, v28
	v_mad_f32 v23, -v29, v24, v23
	v_cvt_i32_f32_e32 v29, v29
	v_ashrrev_i32_e32 v22, 30, v22
	v_or_b32_e32 v12, 1, v12
	v_trunc_f32_e32 v31, v31
	v_mad_f32 v17, -v30, v19, v17
	v_cvt_i32_f32_e32 v30, v30
	v_cmp_ge_f32_e64 vcc, |v13|, |v14|
	v_ashrrev_i32_e32 v26, 30, v26
	v_or_b32_e32 v22, 1, v22
	v_cndmask_b32_e32 v12, 0, v12, vcc
	v_cmp_ge_f32_e64 vcc, |v23|, |v24|
	v_mad_f32 v14, -v31, v18, v16
	v_cvt_i32_f32_e32 v16, v31
	v_ashrrev_i32_e32 v27, 30, v27
	v_or_b32_e32 v26, 1, v26
	v_cndmask_b32_e32 v13, 0, v22, vcc
	v_cmp_ge_f32_e64 vcc, |v17|, |v19|
	s_waitcnt vmcnt(0)
	v_lshrrev_b32_e32 v15, 16, v20
	v_or_b32_e32 v27, 1, v27
	v_cndmask_b32_e32 v17, 0, v26, vcc
	v_cmp_ge_f32_e64 vcc, |v14|, |v18|
	v_add_u32_e32 v12, v28, v12
	v_add_u32_e32 v13, v29, v13
	v_lshrrev_b32_e32 v25, 16, v21
	v_cndmask_b32_e32 v14, 0, v27, vcc
	v_add_u32_e32 v17, v30, v17
	v_mul_lo_u16_e32 v12, v33, v12
	v_mad_legacy_u16 v13, v33, v13, v15
	v_add_u32_e32 v14, v16, v14
	v_mad_legacy_u16 v15, v33, v17, v25
	v_add_u16_e32 v12, v12, v20
	v_lshlrev_b32_e32 v13, 16, v13
	v_mad_legacy_u16 v14, v33, v14, v21
	v_lshlrev_b32_e32 v15, 16, v15
	v_or_b32_e32 v12, v13, v12
	v_or3_b32 v13, 0, v14, v15
	v_or3_b32 v12, v12, 0, 0
	global_store_dwordx2 v[10:11], v[12:13], off
	s_andn2_b64 exec, exec, s[4:5]
	s_cbranch_execnz .LBB114_32
.LBB114_33:
	s_endpgm
	.section	.rodata,"a",@progbits
	.p2align	6, 0x0
	.amdhsa_kernel _ZN2at6native12_GLOBAL__N_125multi_tensor_apply_kernelINS1_28TensorListScalarListMetadataIsLi4EEENS1_28PointwiseOpScalarListFunctorIsLi4ELi3ELi3EEEJSt7dividesIsEEEEvT_T0_DpT1_
		.amdhsa_group_segment_fixed_size 0
		.amdhsa_private_segment_fixed_size 0
		.amdhsa_kernarg_size 3376
		.amdhsa_user_sgpr_count 6
		.amdhsa_user_sgpr_private_segment_buffer 1
		.amdhsa_user_sgpr_dispatch_ptr 0
		.amdhsa_user_sgpr_queue_ptr 0
		.amdhsa_user_sgpr_kernarg_segment_ptr 1
		.amdhsa_user_sgpr_dispatch_id 0
		.amdhsa_user_sgpr_flat_scratch_init 0
		.amdhsa_user_sgpr_kernarg_preload_length 0
		.amdhsa_user_sgpr_kernarg_preload_offset 0
		.amdhsa_user_sgpr_private_segment_size 0
		.amdhsa_uses_dynamic_stack 0
		.amdhsa_system_sgpr_private_segment_wavefront_offset 0
		.amdhsa_system_sgpr_workgroup_id_x 1
		.amdhsa_system_sgpr_workgroup_id_y 0
		.amdhsa_system_sgpr_workgroup_id_z 0
		.amdhsa_system_sgpr_workgroup_info 0
		.amdhsa_system_vgpr_workitem_id 0
		.amdhsa_next_free_vgpr 56
		.amdhsa_next_free_sgpr 31
		.amdhsa_accum_offset 56
		.amdhsa_reserve_vcc 1
		.amdhsa_reserve_flat_scratch 0
		.amdhsa_float_round_mode_32 0
		.amdhsa_float_round_mode_16_64 0
		.amdhsa_float_denorm_mode_32 3
		.amdhsa_float_denorm_mode_16_64 3
		.amdhsa_dx10_clamp 1
		.amdhsa_ieee_mode 1
		.amdhsa_fp16_overflow 0
		.amdhsa_tg_split 0
		.amdhsa_exception_fp_ieee_invalid_op 0
		.amdhsa_exception_fp_denorm_src 0
		.amdhsa_exception_fp_ieee_div_zero 0
		.amdhsa_exception_fp_ieee_overflow 0
		.amdhsa_exception_fp_ieee_underflow 0
		.amdhsa_exception_fp_ieee_inexact 0
		.amdhsa_exception_int_div_zero 0
	.end_amdhsa_kernel
	.section	.text._ZN2at6native12_GLOBAL__N_125multi_tensor_apply_kernelINS1_28TensorListScalarListMetadataIsLi4EEENS1_28PointwiseOpScalarListFunctorIsLi4ELi3ELi3EEEJSt7dividesIsEEEEvT_T0_DpT1_,"axG",@progbits,_ZN2at6native12_GLOBAL__N_125multi_tensor_apply_kernelINS1_28TensorListScalarListMetadataIsLi4EEENS1_28PointwiseOpScalarListFunctorIsLi4ELi3ELi3EEEJSt7dividesIsEEEEvT_T0_DpT1_,comdat
.Lfunc_end114:
	.size	_ZN2at6native12_GLOBAL__N_125multi_tensor_apply_kernelINS1_28TensorListScalarListMetadataIsLi4EEENS1_28PointwiseOpScalarListFunctorIsLi4ELi3ELi3EEEJSt7dividesIsEEEEvT_T0_DpT1_, .Lfunc_end114-_ZN2at6native12_GLOBAL__N_125multi_tensor_apply_kernelINS1_28TensorListScalarListMetadataIsLi4EEENS1_28PointwiseOpScalarListFunctorIsLi4ELi3ELi3EEEJSt7dividesIsEEEEvT_T0_DpT1_
                                        ; -- End function
	.section	.AMDGPU.csdata,"",@progbits
; Kernel info:
; codeLenInByte = 2720
; NumSgprs: 35
; NumVgprs: 56
; NumAgprs: 0
; TotalNumVgprs: 56
; ScratchSize: 0
; MemoryBound: 0
; FloatMode: 240
; IeeeMode: 1
; LDSByteSize: 0 bytes/workgroup (compile time only)
; SGPRBlocks: 4
; VGPRBlocks: 6
; NumSGPRsForWavesPerEU: 35
; NumVGPRsForWavesPerEU: 56
; AccumOffset: 56
; Occupancy: 8
; WaveLimiterHint : 0
; COMPUTE_PGM_RSRC2:SCRATCH_EN: 0
; COMPUTE_PGM_RSRC2:USER_SGPR: 6
; COMPUTE_PGM_RSRC2:TRAP_HANDLER: 0
; COMPUTE_PGM_RSRC2:TGID_X_EN: 1
; COMPUTE_PGM_RSRC2:TGID_Y_EN: 0
; COMPUTE_PGM_RSRC2:TGID_Z_EN: 0
; COMPUTE_PGM_RSRC2:TIDIG_COMP_CNT: 0
; COMPUTE_PGM_RSRC3_GFX90A:ACCUM_OFFSET: 13
; COMPUTE_PGM_RSRC3_GFX90A:TG_SPLIT: 0
	.section	.text._ZN2at6native12_GLOBAL__N_125multi_tensor_apply_kernelINS1_28TensorListScalarListMetadataIdLi4EEENS1_28PointwiseOpScalarListFunctorIdLi4ELi3ELi3EEEJSt7dividesIdEEEEvT_T0_DpT1_,"axG",@progbits,_ZN2at6native12_GLOBAL__N_125multi_tensor_apply_kernelINS1_28TensorListScalarListMetadataIdLi4EEENS1_28PointwiseOpScalarListFunctorIdLi4ELi3ELi3EEEJSt7dividesIdEEEEvT_T0_DpT1_,comdat
	.globl	_ZN2at6native12_GLOBAL__N_125multi_tensor_apply_kernelINS1_28TensorListScalarListMetadataIdLi4EEENS1_28PointwiseOpScalarListFunctorIdLi4ELi3ELi3EEEJSt7dividesIdEEEEvT_T0_DpT1_ ; -- Begin function _ZN2at6native12_GLOBAL__N_125multi_tensor_apply_kernelINS1_28TensorListScalarListMetadataIdLi4EEENS1_28PointwiseOpScalarListFunctorIdLi4ELi3ELi3EEEJSt7dividesIdEEEEvT_T0_DpT1_
	.p2align	8
	.type	_ZN2at6native12_GLOBAL__N_125multi_tensor_apply_kernelINS1_28TensorListScalarListMetadataIdLi4EEENS1_28PointwiseOpScalarListFunctorIdLi4ELi3ELi3EEEJSt7dividesIdEEEEvT_T0_DpT1_,@function
_ZN2at6native12_GLOBAL__N_125multi_tensor_apply_kernelINS1_28TensorListScalarListMetadataIdLi4EEENS1_28PointwiseOpScalarListFunctorIdLi4ELi3ELi3EEEJSt7dividesIdEEEEvT_T0_DpT1_: ; @_ZN2at6native12_GLOBAL__N_125multi_tensor_apply_kernelINS1_28TensorListScalarListMetadataIdLi4EEENS1_28PointwiseOpScalarListFunctorIdLi4ELi3ELi3EEEJSt7dividesIdEEEEvT_T0_DpT1_
; %bb.0:
	v_mov_b32_e32 v1, s6
	global_load_ubyte v1, v1, s[4:5] offset:1728
	s_add_u32 s0, s4, s6
	s_mul_hi_u32 s3, s6, 3
	s_mul_i32 s6, s6, 3
	s_addc_u32 s7, s5, 0
	s_add_u32 s2, s0, s6
	s_addc_u32 s3, s7, s3
	s_load_dword s20, s[2:3], 0x800
	s_mov_b32 s1, 0
	s_mov_b32 s15, s1
	;; [unrolled: 1-line block ×3, first 2 shown]
	s_waitcnt lgkmcnt(0)
	s_ashr_i32 s21, s20, 31
	s_lshl_b64 s[16:17], s[20:21], 19
	s_waitcnt vmcnt(0)
	v_readfirstlane_b32 s0, v1
	s_lshl_b32 s0, s0, 3
	s_load_dwordx2 s[22:23], s[4:5], s0 offset:0x480
	s_load_dwordx2 s[12:13], s[4:5], s0 offset:0x5a0
	;; [unrolled: 1-line block ×6, first 2 shown]
	s_waitcnt lgkmcnt(0)
	s_add_u32 s24, s10, s16
	s_addc_u32 s25, s11, s17
	s_and_b32 s0, s24, 31
	s_add_u32 s26, s8, s16
	s_addc_u32 s27, s9, s17
	s_and_b32 s14, s26, 31
	s_cmp_eq_u64 s[14:15], 0
	s_cselect_b64 s[14:15], -1, 0
	s_add_u32 s28, s6, s16
	s_addc_u32 s29, s7, s17
	s_add_u32 s30, s2, s16
	s_addc_u32 s31, s3, s17
	s_or_b32 s18, s30, s28
	s_and_b32 s18, s18, 31
	s_cmp_eq_u32 s18, 0
	s_cselect_b64 s[34:35], -1, 0
	s_lshl_b64 s[20:21], s[20:21], 16
	s_and_b64 s[34:35], s[34:35], s[14:15]
	s_sub_u32 s14, s22, s20
	s_subb_u32 s15, s23, s21
	s_and_b32 s18, s22, 3
	s_or_b64 s[0:1], s[0:1], s[18:19]
	s_cmp_eq_u64 s[0:1], 0
	s_cselect_b64 s[0:1], -1, 0
	s_and_b64 s[18:19], s[34:35], s[0:1]
	s_mov_b64 s[0:1], -1
	s_and_b64 vcc, exec, s[18:19]
	s_cbranch_vccnz .LBB115_29
; %bb.1:
	v_cmp_lt_i64_e64 s[0:1], s[14:15], 1
	s_and_b64 vcc, exec, s[0:1]
	s_cbranch_vccnz .LBB115_28
; %bb.2:
	s_load_dword s0, s[4:5], 0xd14
	v_mov_b32_e32 v2, 0x10000
	v_mov_b32_e32 v3, 0
	v_cmp_lt_u64_e32 vcc, s[14:15], v[2:3]
	v_lshlrev_b32_e32 v30, 3, v0
	s_waitcnt lgkmcnt(0)
	s_and_b32 s22, s0, 0xffff
	s_and_b64 s[0:1], vcc, exec
	v_mov_b32_e32 v21, s11
	v_add_co_u32_e32 v2, vcc, s10, v30
	v_addc_co_u32_e32 v1, vcc, 0, v21, vcc
	v_mov_b32_e32 v31, 0
	v_mov_b32_e32 v23, s9
	v_add_co_u32_e32 v4, vcc, s8, v30
	v_addc_co_u32_e32 v3, vcc, 0, v23, vcc
	v_mad_u64_u32 v[12:13], s[20:21], s22, 24, v[30:31]
	v_add_co_u32_e32 v6, vcc, s10, v12
	v_addc_co_u32_e32 v5, vcc, v21, v13, vcc
	v_add_co_u32_e32 v8, vcc, s8, v12
	v_addc_co_u32_e32 v7, vcc, v23, v13, vcc
	v_mov_b32_e32 v27, s7
	v_add_co_u32_e32 v10, vcc, s6, v12
	v_addc_co_u32_e32 v9, vcc, v27, v13, vcc
	v_mov_b32_e32 v34, s3
	v_add_co_u32_e32 v12, vcc, s2, v12
	s_mul_i32 s36, s22, 3
	v_addc_co_u32_e32 v11, vcc, v34, v13, vcc
	s_cselect_b32 s19, s15, 0
	s_cselect_b32 s18, s14, 0x10000
	v_add_co_u32_e32 v33, vcc, s36, v0
	s_lshl_b32 s3, s22, 4
	v_addc_co_u32_e64 v58, s[20:21], 0, 0, vcc
	v_add_co_u32_e32 v19, vcc, s3, v30
	v_addc_co_u32_e64 v22, s[20:21], 0, 0, vcc
	v_add_co_u32_e32 v14, vcc, s10, v19
	v_addc_co_u32_e32 v13, vcc, v21, v22, vcc
	v_add_co_u32_e32 v16, vcc, s8, v19
	v_addc_co_u32_e32 v15, vcc, v23, v22, vcc
	;; [unrolled: 2-line block ×3, first 2 shown]
	v_add_co_u32_e32 v20, vcc, s2, v19
	s_lshl_b32 s23, s22, 1
	v_addc_co_u32_e32 v19, vcc, v34, v22, vcc
	v_add_co_u32_e32 v59, vcc, s23, v0
	v_addc_co_u32_e64 v60, s[20:21], 0, 0, vcc
	v_add_co_u32_e32 v61, vcc, s22, v0
	v_lshlrev_b32_e32 v31, 3, v61
	v_addc_co_u32_e64 v62, s[20:21], 0, 0, vcc
	v_add_co_u32_e32 v22, vcc, s10, v31
	v_addc_co_u32_e32 v21, vcc, 0, v21, vcc
	v_add_co_u32_e32 v24, vcc, s8, v31
	v_addc_co_u32_e32 v23, vcc, 0, v23, vcc
	;; [unrolled: 2-line block ×5, first 2 shown]
	v_add_co_u32_e32 v32, vcc, s2, v31
	s_mov_b32 s33, 0
	v_cmp_eq_f64_e64 s[0:1], s[12:13], 1.0
	s_lshl_b32 s34, s22, 2
	s_lshl_b32 s35, s22, 5
	s_mov_b64 s[20:21], 0
	v_addc_co_u32_e32 v31, vcc, 0, v34, vcc
	s_branch .LBB115_4
.LBB115_3:                              ;   in Loop: Header=BB115_4 Depth=1
	s_or_b64 exec, exec, s[2:3]
	s_add_u32 s20, s20, s34
	s_addc_u32 s21, s21, 0
	s_waitcnt vmcnt(1)
	v_pk_mov_b32 v[34:35], s[14:15], s[14:15] op_sel:[0,1]
	v_cmp_lt_i64_e32 vcc, s[20:21], v[34:35]
	v_mov_b32_e32 v34, 0x10000
	v_mov_b32_e32 v35, 0
	v_cmp_lt_u64_e64 s[2:3], s[20:21], v[34:35]
	s_and_b64 s[2:3], vcc, s[2:3]
	v_mov_b32_e32 v34, s33
	v_add_co_u32_e32 v2, vcc, s35, v2
	v_addc_co_u32_e32 v1, vcc, v1, v34, vcc
	v_add_co_u32_e32 v4, vcc, s35, v4
	v_addc_co_u32_e32 v3, vcc, v3, v34, vcc
	;; [unrolled: 2-line block ×16, first 2 shown]
	s_and_b64 vcc, exec, s[2:3]
	s_cbranch_vccz .LBB115_28
.LBB115_4:                              ; =>This Inner Loop Header: Depth=1
	v_mov_b32_e32 v35, s21
	v_add_co_u32_e32 v34, vcc, s20, v0
	v_addc_co_u32_e32 v35, vcc, 0, v35, vcc
	s_waitcnt vmcnt(0)
	v_pk_mov_b32 v[36:37], 0, 0
	v_cmp_gt_u64_e32 vcc, s[18:19], v[34:35]
	v_pk_mov_b32 v[34:35], v[36:37], v[36:37] op_sel:[0,1]
	v_pk_mov_b32 v[38:39], v[36:37], v[36:37] op_sel:[0,1]
	s_and_saveexec_b64 s[6:7], vcc
	s_cbranch_execz .LBB115_6
; %bb.5:                                ;   in Loop: Header=BB115_4 Depth=1
	v_mov_b32_e32 v34, s17
	v_add_co_u32_e64 v40, s[2:3], s16, v2
	v_addc_co_u32_e64 v41, s[2:3], v1, v34, s[2:3]
	v_add_co_u32_e64 v42, s[2:3], s16, v4
	v_addc_co_u32_e64 v43, s[2:3], v3, v34, s[2:3]
	global_load_dwordx2 v[34:35], v[40:41], off
	global_load_dwordx2 v[38:39], v[42:43], off
.LBB115_6:                              ;   in Loop: Header=BB115_4 Depth=1
	s_or_b64 exec, exec, s[6:7]
	s_and_saveexec_b64 s[6:7], vcc
	s_cbranch_execz .LBB115_8
; %bb.7:                                ;   in Loop: Header=BB115_4 Depth=1
	v_mov_b32_e32 v37, s17
	v_add_co_u32_e64 v36, s[2:3], s16, v26
	v_addc_co_u32_e64 v37, s[2:3], v25, v37, s[2:3]
	global_load_dwordx2 v[36:37], v[36:37], off
.LBB115_8:                              ;   in Loop: Header=BB115_4 Depth=1
	s_or_b64 exec, exec, s[6:7]
	v_mov_b32_e32 v41, s21
	v_add_co_u32_e64 v40, s[2:3], s20, v61
	v_addc_co_u32_e64 v41, s[2:3], v62, v41, s[2:3]
	v_pk_mov_b32 v[42:43], 0, 0
	v_cmp_gt_u64_e64 s[2:3], s[18:19], v[40:41]
	v_pk_mov_b32 v[40:41], v[42:43], v[42:43] op_sel:[0,1]
	v_pk_mov_b32 v[44:45], v[42:43], v[42:43] op_sel:[0,1]
	s_and_saveexec_b64 s[8:9], s[2:3]
	s_cbranch_execz .LBB115_10
; %bb.9:                                ;   in Loop: Header=BB115_4 Depth=1
	v_mov_b32_e32 v40, s17
	v_add_co_u32_e64 v46, s[6:7], s16, v22
	v_addc_co_u32_e64 v47, s[6:7], v21, v40, s[6:7]
	v_add_co_u32_e64 v48, s[6:7], s16, v24
	v_addc_co_u32_e64 v49, s[6:7], v23, v40, s[6:7]
	global_load_dwordx2 v[40:41], v[46:47], off
	global_load_dwordx2 v[44:45], v[48:49], off
.LBB115_10:                             ;   in Loop: Header=BB115_4 Depth=1
	s_or_b64 exec, exec, s[8:9]
	s_and_saveexec_b64 s[8:9], s[2:3]
	s_cbranch_execz .LBB115_12
; %bb.11:                               ;   in Loop: Header=BB115_4 Depth=1
	v_mov_b32_e32 v43, s17
	v_add_co_u32_e64 v42, s[6:7], s16, v28
	v_addc_co_u32_e64 v43, s[6:7], v27, v43, s[6:7]
	global_load_dwordx2 v[42:43], v[42:43], off
.LBB115_12:                             ;   in Loop: Header=BB115_4 Depth=1
	s_or_b64 exec, exec, s[8:9]
	v_mov_b32_e32 v47, s21
	v_add_co_u32_e64 v46, s[6:7], s20, v59
	v_addc_co_u32_e64 v47, s[6:7], v60, v47, s[6:7]
	v_pk_mov_b32 v[48:49], 0, 0
	v_cmp_gt_u64_e64 s[6:7], s[18:19], v[46:47]
	v_pk_mov_b32 v[46:47], v[48:49], v[48:49] op_sel:[0,1]
	v_pk_mov_b32 v[50:51], v[48:49], v[48:49] op_sel:[0,1]
	s_and_saveexec_b64 s[10:11], s[6:7]
	s_cbranch_execz .LBB115_14
; %bb.13:                               ;   in Loop: Header=BB115_4 Depth=1
	v_mov_b32_e32 v46, s17
	v_add_co_u32_e64 v52, s[8:9], s16, v14
	v_addc_co_u32_e64 v53, s[8:9], v13, v46, s[8:9]
	v_add_co_u32_e64 v54, s[8:9], s16, v16
	v_addc_co_u32_e64 v55, s[8:9], v15, v46, s[8:9]
	global_load_dwordx2 v[46:47], v[52:53], off
	global_load_dwordx2 v[50:51], v[54:55], off
.LBB115_14:                             ;   in Loop: Header=BB115_4 Depth=1
	s_or_b64 exec, exec, s[10:11]
	s_and_saveexec_b64 s[10:11], s[6:7]
	s_cbranch_execz .LBB115_16
; %bb.15:                               ;   in Loop: Header=BB115_4 Depth=1
	v_mov_b32_e32 v49, s17
	v_add_co_u32_e64 v48, s[8:9], s16, v18
	v_addc_co_u32_e64 v49, s[8:9], v17, v49, s[8:9]
	global_load_dwordx2 v[48:49], v[48:49], off
.LBB115_16:                             ;   in Loop: Header=BB115_4 Depth=1
	s_or_b64 exec, exec, s[10:11]
	v_mov_b32_e32 v53, s21
	v_add_co_u32_e64 v52, s[8:9], s20, v33
	v_addc_co_u32_e64 v53, s[8:9], v58, v53, s[8:9]
	v_pk_mov_b32 v[54:55], 0, 0
	v_cmp_gt_u64_e64 s[8:9], s[18:19], v[52:53]
	v_pk_mov_b32 v[52:53], v[54:55], v[54:55] op_sel:[0,1]
	v_pk_mov_b32 v[56:57], v[54:55], v[54:55] op_sel:[0,1]
	s_and_saveexec_b64 s[22:23], s[8:9]
	s_cbranch_execnz .LBB115_22
; %bb.17:                               ;   in Loop: Header=BB115_4 Depth=1
	s_or_b64 exec, exec, s[22:23]
	s_and_saveexec_b64 s[22:23], s[8:9]
	s_cbranch_execnz .LBB115_23
.LBB115_18:                             ;   in Loop: Header=BB115_4 Depth=1
	s_or_b64 exec, exec, s[22:23]
	s_and_saveexec_b64 s[10:11], vcc
	s_cbranch_execnz .LBB115_24
.LBB115_19:                             ;   in Loop: Header=BB115_4 Depth=1
	s_or_b64 exec, exec, s[10:11]
	s_and_saveexec_b64 s[10:11], s[2:3]
	s_cbranch_execnz .LBB115_25
.LBB115_20:                             ;   in Loop: Header=BB115_4 Depth=1
	s_or_b64 exec, exec, s[10:11]
	s_and_saveexec_b64 s[2:3], s[6:7]
	s_cbranch_execnz .LBB115_26
.LBB115_21:                             ;   in Loop: Header=BB115_4 Depth=1
	s_or_b64 exec, exec, s[2:3]
	s_and_saveexec_b64 s[2:3], s[8:9]
	s_cbranch_execz .LBB115_3
	s_branch .LBB115_27
.LBB115_22:                             ;   in Loop: Header=BB115_4 Depth=1
	v_mov_b32_e32 v52, s17
	v_add_co_u32_e64 v64, s[10:11], s16, v6
	v_addc_co_u32_e64 v65, s[10:11], v5, v52, s[10:11]
	v_add_co_u32_e64 v66, s[10:11], s16, v8
	v_addc_co_u32_e64 v67, s[10:11], v7, v52, s[10:11]
	global_load_dwordx2 v[52:53], v[64:65], off
	global_load_dwordx2 v[56:57], v[66:67], off
	s_or_b64 exec, exec, s[22:23]
	s_and_saveexec_b64 s[22:23], s[8:9]
	s_cbranch_execz .LBB115_18
.LBB115_23:                             ;   in Loop: Header=BB115_4 Depth=1
	v_mov_b32_e32 v55, s17
	v_add_co_u32_e64 v54, s[10:11], s16, v10
	v_addc_co_u32_e64 v55, s[10:11], v9, v55, s[10:11]
	global_load_dwordx2 v[54:55], v[54:55], off
	s_or_b64 exec, exec, s[22:23]
	s_and_saveexec_b64 s[10:11], vcc
	s_cbranch_execz .LBB115_19
.LBB115_24:                             ;   in Loop: Header=BB115_4 Depth=1
	s_waitcnt vmcnt(0)
	v_div_scale_f64 v[64:65], s[22:23], v[36:37], v[36:37], v[38:39]
	v_rcp_f64_e32 v[66:67], v[64:65]
	v_mov_b32_e32 v63, s17
	v_add_co_u32_e32 v68, vcc, s16, v30
	v_fma_f64 v[70:71], -v[64:65], v[66:67], 1.0
	v_fmac_f64_e32 v[66:67], v[66:67], v[70:71]
	v_addc_co_u32_e32 v69, vcc, v29, v63, vcc
	v_fma_f64 v[70:71], -v[64:65], v[66:67], 1.0
	v_fmac_f64_e32 v[66:67], v[66:67], v[70:71]
	v_div_scale_f64 v[70:71], vcc, v[38:39], v[36:37], v[38:39]
	v_mul_f64 v[72:73], v[70:71], v[66:67]
	v_fma_f64 v[64:65], -v[64:65], v[72:73], v[70:71]
	s_nop 1
	v_div_fmas_f64 v[64:65], v[64:65], v[66:67], v[72:73]
	v_div_fixup_f64 v[36:37], v[64:65], v[36:37], v[38:39]
	v_add_f64 v[38:39], v[34:35], v[36:37]
	v_fmac_f64_e32 v[34:35], s[12:13], v[36:37]
	v_cndmask_b32_e64 v35, v35, v39, s[0:1]
	v_cndmask_b32_e64 v34, v34, v38, s[0:1]
	global_store_dwordx2 v[68:69], v[34:35], off
	s_or_b64 exec, exec, s[10:11]
	s_and_saveexec_b64 s[10:11], s[2:3]
	s_cbranch_execz .LBB115_20
.LBB115_25:                             ;   in Loop: Header=BB115_4 Depth=1
	s_waitcnt vmcnt(0)
	v_div_scale_f64 v[34:35], s[2:3], v[42:43], v[42:43], v[44:45]
	v_rcp_f64_e32 v[36:37], v[34:35]
	v_div_scale_f64 v[38:39], vcc, v[44:45], v[42:43], v[44:45]
	v_fma_f64 v[64:65], -v[34:35], v[36:37], 1.0
	v_fmac_f64_e32 v[36:37], v[36:37], v[64:65]
	v_fma_f64 v[64:65], -v[34:35], v[36:37], 1.0
	v_fmac_f64_e32 v[36:37], v[36:37], v[64:65]
	v_mul_f64 v[64:65], v[38:39], v[36:37]
	v_fma_f64 v[34:35], -v[34:35], v[64:65], v[38:39]
	v_div_fmas_f64 v[34:35], v[34:35], v[36:37], v[64:65]
	v_div_fixup_f64 v[34:35], v[34:35], v[42:43], v[44:45]
	v_add_f64 v[36:37], v[40:41], v[34:35]
	v_fmac_f64_e32 v[40:41], s[12:13], v[34:35]
	v_cndmask_b32_e64 v35, v41, v37, s[0:1]
	v_cndmask_b32_e64 v34, v40, v36, s[0:1]
	v_mov_b32_e32 v37, s17
	v_add_co_u32_e32 v36, vcc, s16, v32
	v_addc_co_u32_e32 v37, vcc, v31, v37, vcc
	global_store_dwordx2 v[36:37], v[34:35], off
	s_or_b64 exec, exec, s[10:11]
	s_and_saveexec_b64 s[2:3], s[6:7]
	s_cbranch_execz .LBB115_21
.LBB115_26:                             ;   in Loop: Header=BB115_4 Depth=1
	s_waitcnt vmcnt(0)
	v_div_scale_f64 v[34:35], s[6:7], v[48:49], v[48:49], v[50:51]
	v_rcp_f64_e32 v[36:37], v[34:35]
	v_div_scale_f64 v[38:39], vcc, v[50:51], v[48:49], v[50:51]
	v_fma_f64 v[40:41], -v[34:35], v[36:37], 1.0
	v_fmac_f64_e32 v[36:37], v[36:37], v[40:41]
	v_fma_f64 v[40:41], -v[34:35], v[36:37], 1.0
	v_fmac_f64_e32 v[36:37], v[36:37], v[40:41]
	v_mul_f64 v[40:41], v[38:39], v[36:37]
	v_fma_f64 v[34:35], -v[34:35], v[40:41], v[38:39]
	v_div_fmas_f64 v[34:35], v[34:35], v[36:37], v[40:41]
	v_div_fixup_f64 v[34:35], v[34:35], v[48:49], v[50:51]
	v_add_f64 v[36:37], v[46:47], v[34:35]
	v_fmac_f64_e32 v[46:47], s[12:13], v[34:35]
	v_cndmask_b32_e64 v35, v47, v37, s[0:1]
	v_cndmask_b32_e64 v34, v46, v36, s[0:1]
	v_mov_b32_e32 v37, s17
	v_add_co_u32_e32 v36, vcc, s16, v20
	v_addc_co_u32_e32 v37, vcc, v19, v37, vcc
	global_store_dwordx2 v[36:37], v[34:35], off
	s_or_b64 exec, exec, s[2:3]
	s_and_saveexec_b64 s[2:3], s[8:9]
	s_cbranch_execz .LBB115_3
.LBB115_27:                             ;   in Loop: Header=BB115_4 Depth=1
	s_waitcnt vmcnt(0)
	v_div_scale_f64 v[34:35], s[6:7], v[54:55], v[54:55], v[56:57]
	v_rcp_f64_e32 v[36:37], v[34:35]
	v_div_scale_f64 v[38:39], vcc, v[56:57], v[54:55], v[56:57]
	v_fma_f64 v[40:41], -v[34:35], v[36:37], 1.0
	v_fmac_f64_e32 v[36:37], v[36:37], v[40:41]
	v_fma_f64 v[40:41], -v[34:35], v[36:37], 1.0
	v_fmac_f64_e32 v[36:37], v[36:37], v[40:41]
	v_mul_f64 v[40:41], v[38:39], v[36:37]
	v_fma_f64 v[34:35], -v[34:35], v[40:41], v[38:39]
	v_div_fmas_f64 v[34:35], v[34:35], v[36:37], v[40:41]
	v_div_fixup_f64 v[34:35], v[34:35], v[54:55], v[56:57]
	v_add_f64 v[36:37], v[52:53], v[34:35]
	v_fmac_f64_e32 v[52:53], s[12:13], v[34:35]
	v_cndmask_b32_e64 v35, v53, v37, s[0:1]
	v_cndmask_b32_e64 v34, v52, v36, s[0:1]
	v_mov_b32_e32 v37, s17
	v_add_co_u32_e32 v36, vcc, s16, v12
	v_addc_co_u32_e32 v37, vcc, v11, v37, vcc
	global_store_dwordx2 v[36:37], v[34:35], off
	s_branch .LBB115_3
.LBB115_28:
	s_mov_b64 s[0:1], 0
.LBB115_29:
	s_andn2_b64 vcc, exec, s[0:1]
	s_cbranch_vccnz .LBB115_33
; %bb.30:
	v_mov_b32_e32 v3, 0
	v_lshlrev_b32_e32 v2, 2, v0
	s_mov_b32 s2, 0
	v_cmp_gt_i64_e32 vcc, s[14:15], v[2:3]
	s_and_saveexec_b64 s[0:1], vcc
	s_cbranch_execz .LBB115_33
; %bb.31:
	s_load_dword s3, s[4:5], 0xd14
	v_cmp_eq_f64_e64 s[0:1], s[12:13], 1.0
	v_lshlrev_b32_e32 v4, 5, v0
	s_mov_b64 s[16:17], 0
	s_mov_b64 s[18:19], 0xffff
	s_waitcnt lgkmcnt(0)
	s_and_b32 s3, s3, 0xffff
	v_add_lshl_u32 v2, v0, s3, 2
	s_lshl_b32 s20, s3, 2
	s_lshl_b32 s21, s3, 5
	v_mov_b32_e32 v0, s2
.LBB115_32:                             ; =>This Inner Loop Header: Depth=1
	v_cmp_le_i64_e64 s[6:7], s[14:15], v[2:3]
	v_cmp_lt_u64_e64 s[8:9], s[18:19], v[2:3]
	v_add_co_u32_e64 v2, s[10:11], s20, v2
	v_mov_b32_e32 v5, s27
	v_add_co_u32_e32 v30, vcc, s26, v4
	v_mov_b32_e32 v6, s29
	v_add_co_u32_e64 v32, s[2:3], s28, v4
	v_addc_co_u32_e64 v3, s[10:11], v3, v0, s[10:11]
	v_mov_b32_e32 v1, s25
	v_mov_b32_e32 v7, s31
	v_add_co_u32_e64 v34, s[4:5], s30, v4
	s_waitcnt vmcnt(0)
	v_add_co_u32_e64 v36, s[10:11], s24, v4
	v_addc_co_u32_e32 v31, vcc, 0, v5, vcc
	v_addc_co_u32_e64 v33, vcc, 0, v6, s[2:3]
	v_addc_co_u32_e64 v37, s[10:11], 0, v1, s[10:11]
	v_addc_co_u32_e64 v35, vcc, 0, v7, s[4:5]
	global_load_dwordx4 v[6:9], v[32:33], off
	global_load_dwordx4 v[10:13], v[30:31], off
	global_load_dwordx4 v[14:17], v[30:31], off offset:16
	global_load_dwordx4 v[18:21], v[32:33], off offset:16
	global_load_dwordx4 v[22:25], v[36:37], off
	global_load_dwordx4 v[26:29], v[36:37], off offset:16
	s_or_b64 s[2:3], s[6:7], s[8:9]
	s_add_u32 s24, s24, s21
	s_addc_u32 s25, s25, 0
	s_add_u32 s30, s30, s21
	s_addc_u32 s31, s31, 0
	;; [unrolled: 2-line block ×4, first 2 shown]
	s_and_b64 s[2:3], exec, s[2:3]
	s_or_b64 s[16:17], s[2:3], s[16:17]
	s_waitcnt vmcnt(4)
	v_div_scale_f64 v[30:31], s[2:3], v[6:7], v[6:7], v[10:11]
	v_div_scale_f64 v[36:37], s[2:3], v[8:9], v[8:9], v[12:13]
	v_rcp_f64_e32 v[48:49], v[30:31]
	s_waitcnt vmcnt(2)
	v_div_scale_f64 v[40:41], s[4:5], v[18:19], v[18:19], v[14:15]
	v_rcp_f64_e32 v[50:51], v[36:37]
	v_div_scale_f64 v[44:45], s[6:7], v[20:21], v[20:21], v[16:17]
	v_rcp_f64_e32 v[52:53], v[40:41]
	v_rcp_f64_e32 v[54:55], v[44:45]
	v_fma_f64 v[56:57], -v[30:31], v[48:49], 1.0
	v_fma_f64 v[58:59], -v[36:37], v[50:51], 1.0
	v_fmac_f64_e32 v[48:49], v[48:49], v[56:57]
	v_fma_f64 v[60:61], -v[40:41], v[52:53], 1.0
	v_fmac_f64_e32 v[50:51], v[50:51], v[58:59]
	v_fma_f64 v[56:57], -v[30:31], v[48:49], 1.0
	v_div_scale_f64 v[32:33], vcc, v[10:11], v[6:7], v[10:11]
	v_fma_f64 v[62:63], -v[44:45], v[54:55], 1.0
	v_fmac_f64_e32 v[52:53], v[52:53], v[60:61]
	v_fma_f64 v[58:59], -v[36:37], v[50:51], 1.0
	v_fmac_f64_e32 v[48:49], v[48:49], v[56:57]
	v_div_scale_f64 v[38:39], s[2:3], v[12:13], v[8:9], v[12:13]
	v_fmac_f64_e32 v[54:55], v[54:55], v[62:63]
	v_fma_f64 v[60:61], -v[40:41], v[52:53], 1.0
	v_fmac_f64_e32 v[50:51], v[50:51], v[58:59]
	v_mul_f64 v[56:57], v[32:33], v[48:49]
	v_div_scale_f64 v[42:43], s[4:5], v[14:15], v[18:19], v[14:15]
	v_fma_f64 v[62:63], -v[44:45], v[54:55], 1.0
	v_fmac_f64_e32 v[52:53], v[52:53], v[60:61]
	v_mul_f64 v[58:59], v[38:39], v[50:51]
	v_fma_f64 v[30:31], -v[30:31], v[56:57], v[32:33]
	v_div_scale_f64 v[46:47], s[6:7], v[16:17], v[20:21], v[16:17]
	v_fmac_f64_e32 v[54:55], v[54:55], v[62:63]
	v_mul_f64 v[60:61], v[42:43], v[52:53]
	v_fma_f64 v[32:33], -v[36:37], v[58:59], v[38:39]
	v_div_fmas_f64 v[30:31], v[30:31], v[48:49], v[56:57]
	s_mov_b64 vcc, s[2:3]
	v_mul_f64 v[62:63], v[46:47], v[54:55]
	v_fma_f64 v[36:37], -v[40:41], v[60:61], v[42:43]
	v_div_fixup_f64 v[6:7], v[30:31], v[6:7], v[10:11]
	v_div_fmas_f64 v[10:11], v[32:33], v[50:51], v[58:59]
	s_mov_b64 vcc, s[4:5]
	v_fma_f64 v[38:39], -v[44:45], v[62:63], v[46:47]
	v_div_fixup_f64 v[8:9], v[10:11], v[8:9], v[12:13]
	v_div_fmas_f64 v[10:11], v[36:37], v[52:53], v[60:61]
	s_mov_b64 vcc, s[6:7]
	s_waitcnt vmcnt(1)
	v_add_f64 v[12:13], v[24:25], v[8:9]
	v_fmac_f64_e32 v[24:25], s[12:13], v[8:9]
	v_div_fixup_f64 v[10:11], v[10:11], v[18:19], v[14:15]
	v_div_fmas_f64 v[14:15], v[38:39], v[54:55], v[62:63]
	v_cndmask_b32_e64 v9, v25, v13, s[0:1]
	v_cndmask_b32_e64 v8, v24, v12, s[0:1]
	s_waitcnt vmcnt(0)
	v_add_f64 v[12:13], v[26:27], v[10:11]
	v_fmac_f64_e32 v[26:27], s[12:13], v[10:11]
	v_div_fixup_f64 v[14:15], v[14:15], v[20:21], v[16:17]
	v_add_f64 v[30:31], v[22:23], v[6:7]
	v_fmac_f64_e32 v[22:23], s[12:13], v[6:7]
	v_cndmask_b32_e64 v11, v27, v13, s[0:1]
	v_cndmask_b32_e64 v10, v26, v12, s[0:1]
	v_add_f64 v[12:13], v[28:29], v[14:15]
	v_fmac_f64_e32 v[28:29], s[12:13], v[14:15]
	v_cndmask_b32_e64 v7, v23, v31, s[0:1]
	v_cndmask_b32_e64 v6, v22, v30, s[0:1]
	;; [unrolled: 1-line block ×4, first 2 shown]
	global_store_dwordx4 v[34:35], v[6:9], off
	global_store_dwordx4 v[34:35], v[10:13], off offset:16
	s_andn2_b64 exec, exec, s[16:17]
	s_cbranch_execnz .LBB115_32
.LBB115_33:
	s_endpgm
	.section	.rodata,"a",@progbits
	.p2align	6, 0x0
	.amdhsa_kernel _ZN2at6native12_GLOBAL__N_125multi_tensor_apply_kernelINS1_28TensorListScalarListMetadataIdLi4EEENS1_28PointwiseOpScalarListFunctorIdLi4ELi3ELi3EEEJSt7dividesIdEEEEvT_T0_DpT1_
		.amdhsa_group_segment_fixed_size 0
		.amdhsa_private_segment_fixed_size 0
		.amdhsa_kernarg_size 3592
		.amdhsa_user_sgpr_count 6
		.amdhsa_user_sgpr_private_segment_buffer 1
		.amdhsa_user_sgpr_dispatch_ptr 0
		.amdhsa_user_sgpr_queue_ptr 0
		.amdhsa_user_sgpr_kernarg_segment_ptr 1
		.amdhsa_user_sgpr_dispatch_id 0
		.amdhsa_user_sgpr_flat_scratch_init 0
		.amdhsa_user_sgpr_kernarg_preload_length 0
		.amdhsa_user_sgpr_kernarg_preload_offset 0
		.amdhsa_user_sgpr_private_segment_size 0
		.amdhsa_uses_dynamic_stack 0
		.amdhsa_system_sgpr_private_segment_wavefront_offset 0
		.amdhsa_system_sgpr_workgroup_id_x 1
		.amdhsa_system_sgpr_workgroup_id_y 0
		.amdhsa_system_sgpr_workgroup_id_z 0
		.amdhsa_system_sgpr_workgroup_info 0
		.amdhsa_system_vgpr_workitem_id 0
		.amdhsa_next_free_vgpr 74
		.amdhsa_next_free_sgpr 37
		.amdhsa_accum_offset 76
		.amdhsa_reserve_vcc 1
		.amdhsa_reserve_flat_scratch 0
		.amdhsa_float_round_mode_32 0
		.amdhsa_float_round_mode_16_64 0
		.amdhsa_float_denorm_mode_32 3
		.amdhsa_float_denorm_mode_16_64 3
		.amdhsa_dx10_clamp 1
		.amdhsa_ieee_mode 1
		.amdhsa_fp16_overflow 0
		.amdhsa_tg_split 0
		.amdhsa_exception_fp_ieee_invalid_op 0
		.amdhsa_exception_fp_denorm_src 0
		.amdhsa_exception_fp_ieee_div_zero 0
		.amdhsa_exception_fp_ieee_overflow 0
		.amdhsa_exception_fp_ieee_underflow 0
		.amdhsa_exception_fp_ieee_inexact 0
		.amdhsa_exception_int_div_zero 0
	.end_amdhsa_kernel
	.section	.text._ZN2at6native12_GLOBAL__N_125multi_tensor_apply_kernelINS1_28TensorListScalarListMetadataIdLi4EEENS1_28PointwiseOpScalarListFunctorIdLi4ELi3ELi3EEEJSt7dividesIdEEEEvT_T0_DpT1_,"axG",@progbits,_ZN2at6native12_GLOBAL__N_125multi_tensor_apply_kernelINS1_28TensorListScalarListMetadataIdLi4EEENS1_28PointwiseOpScalarListFunctorIdLi4ELi3ELi3EEEJSt7dividesIdEEEEvT_T0_DpT1_,comdat
.Lfunc_end115:
	.size	_ZN2at6native12_GLOBAL__N_125multi_tensor_apply_kernelINS1_28TensorListScalarListMetadataIdLi4EEENS1_28PointwiseOpScalarListFunctorIdLi4ELi3ELi3EEEJSt7dividesIdEEEEvT_T0_DpT1_, .Lfunc_end115-_ZN2at6native12_GLOBAL__N_125multi_tensor_apply_kernelINS1_28TensorListScalarListMetadataIdLi4EEENS1_28PointwiseOpScalarListFunctorIdLi4ELi3ELi3EEEJSt7dividesIdEEEEvT_T0_DpT1_
                                        ; -- End function
	.section	.AMDGPU.csdata,"",@progbits
; Kernel info:
; codeLenInByte = 2772
; NumSgprs: 41
; NumVgprs: 74
; NumAgprs: 0
; TotalNumVgprs: 74
; ScratchSize: 0
; MemoryBound: 0
; FloatMode: 240
; IeeeMode: 1
; LDSByteSize: 0 bytes/workgroup (compile time only)
; SGPRBlocks: 5
; VGPRBlocks: 9
; NumSGPRsForWavesPerEU: 41
; NumVGPRsForWavesPerEU: 74
; AccumOffset: 76
; Occupancy: 6
; WaveLimiterHint : 1
; COMPUTE_PGM_RSRC2:SCRATCH_EN: 0
; COMPUTE_PGM_RSRC2:USER_SGPR: 6
; COMPUTE_PGM_RSRC2:TRAP_HANDLER: 0
; COMPUTE_PGM_RSRC2:TGID_X_EN: 1
; COMPUTE_PGM_RSRC2:TGID_Y_EN: 0
; COMPUTE_PGM_RSRC2:TGID_Z_EN: 0
; COMPUTE_PGM_RSRC2:TIDIG_COMP_CNT: 0
; COMPUTE_PGM_RSRC3_GFX90A:ACCUM_OFFSET: 18
; COMPUTE_PGM_RSRC3_GFX90A:TG_SPLIT: 0
	.section	.text._ZN2at6native12_GLOBAL__N_125multi_tensor_apply_kernelINS1_28TensorListScalarListMetadataIfLi4EEENS1_28PointwiseOpScalarListFunctorIfLi4ELi3ELi3EEEJSt7dividesIfEEEEvT_T0_DpT1_,"axG",@progbits,_ZN2at6native12_GLOBAL__N_125multi_tensor_apply_kernelINS1_28TensorListScalarListMetadataIfLi4EEENS1_28PointwiseOpScalarListFunctorIfLi4ELi3ELi3EEEJSt7dividesIfEEEEvT_T0_DpT1_,comdat
	.globl	_ZN2at6native12_GLOBAL__N_125multi_tensor_apply_kernelINS1_28TensorListScalarListMetadataIfLi4EEENS1_28PointwiseOpScalarListFunctorIfLi4ELi3ELi3EEEJSt7dividesIfEEEEvT_T0_DpT1_ ; -- Begin function _ZN2at6native12_GLOBAL__N_125multi_tensor_apply_kernelINS1_28TensorListScalarListMetadataIfLi4EEENS1_28PointwiseOpScalarListFunctorIfLi4ELi3ELi3EEEJSt7dividesIfEEEEvT_T0_DpT1_
	.p2align	8
	.type	_ZN2at6native12_GLOBAL__N_125multi_tensor_apply_kernelINS1_28TensorListScalarListMetadataIfLi4EEENS1_28PointwiseOpScalarListFunctorIfLi4ELi3ELi3EEEJSt7dividesIfEEEEvT_T0_DpT1_,@function
_ZN2at6native12_GLOBAL__N_125multi_tensor_apply_kernelINS1_28TensorListScalarListMetadataIfLi4EEENS1_28PointwiseOpScalarListFunctorIfLi4ELi3ELi3EEEJSt7dividesIfEEEEvT_T0_DpT1_: ; @_ZN2at6native12_GLOBAL__N_125multi_tensor_apply_kernelINS1_28TensorListScalarListMetadataIfLi4EEENS1_28PointwiseOpScalarListFunctorIfLi4ELi3ELi3EEEJSt7dividesIfEEEEvT_T0_DpT1_
; %bb.0:
	v_mov_b32_e32 v1, s6
	global_load_ubyte v1, v1, s[4:5] offset:1584
	s_add_u32 s0, s4, s6
	s_mul_i32 s1, s6, 3
	s_addc_u32 s2, s5, 0
	s_mul_hi_u32 s3, s6, 3
	s_add_u32 s0, s0, s1
	s_addc_u32 s1, s2, s3
	s_load_dword s0, s[0:1], 0x770
	s_mov_b32 s3, 0
	s_waitcnt vmcnt(0)
	v_readfirstlane_b32 s1, v1
	s_lshl_b32 s2, s1, 3
	s_load_dwordx2 s[6:7], s[4:5], s2 offset:0x480
	s_waitcnt lgkmcnt(0)
	s_ashr_i32 s1, s0, 31
	s_load_dwordx2 s[22:23], s[4:5], s2 offset:0x0
	s_load_dwordx2 s[20:21], s[4:5], s2 offset:0x120
	;; [unrolled: 1-line block ×4, first 2 shown]
	s_add_u32 s2, s4, s2
	v_lshlrev_b32_e32 v1, 2, v1
	s_addc_u32 s8, s5, 0
	s_lshl_b64 s[24:25], s[0:1], 18
	v_mov_b32_e32 v3, s8
	v_sub_co_u32_e32 v2, vcc, s2, v1
	s_waitcnt lgkmcnt(0)
	s_add_u32 s2, s20, s24
	v_subbrev_co_u32_e32 v1, vcc, 0, v3, vcc
	s_and_b32 s15, s22, 15
	s_and_b32 s2, s2, 15
	v_readfirstlane_b32 s8, v2
	v_readfirstlane_b32 s9, v1
	s_cmp_eq_u64 s[2:3], 0
	s_load_dword s14, s[8:9], 0x5a0
	s_cselect_b64 s[8:9], -1, 0
	s_add_u32 s2, s18, s24
	s_or_b32 s2, s12, s2
	s_and_b32 s2, s2, 15
	s_cmp_eq_u32 s2, 0
	s_cselect_b64 s[10:11], -1, 0
	s_lshl_b64 s[0:1], s[0:1], 16
	s_and_b64 s[8:9], s[10:11], s[8:9]
	s_sub_u32 s16, s6, s0
	s_subb_u32 s17, s7, s1
	s_and_b32 s0, s6, 3
	s_or_b32 s2, s15, s0
	s_cmp_eq_u64 s[2:3], 0
	s_cselect_b64 s[0:1], -1, 0
	s_and_b64 s[2:3], s[8:9], s[0:1]
	s_mov_b64 s[0:1], -1
	s_and_b64 vcc, exec, s[2:3]
	s_cbranch_vccnz .LBB116_29
; %bb.1:
	v_cmp_lt_i64_e64 s[0:1], s[16:17], 1
	s_and_b64 vcc, exec, s[0:1]
	s_cbranch_vccnz .LBB116_28
; %bb.2:
	s_load_dword s0, s[4:5], 0xc84
	v_mov_b32_e32 v19, 0
	v_lshlrev_b32_e32 v18, 2, v0
	v_mov_b32_e32 v21, s23
	v_mov_b32_e32 v23, s21
	s_waitcnt lgkmcnt(0)
	s_and_b32 s8, s0, 0xffff
	v_mad_u64_u32 v[16:17], s[6:7], s8, 12, v[18:19]
	v_add_co_u32_e64 v10, s[6:7], s22, v16
	v_addc_co_u32_e64 v5, s[6:7], v21, v17, s[6:7]
	v_add_co_u32_e64 v12, s[6:7], s20, v16
	v_addc_co_u32_e64 v7, s[6:7], v23, v17, s[6:7]
	v_mov_b32_e32 v27, s19
	v_add_co_u32_e64 v14, s[6:7], s18, v16
	v_addc_co_u32_e64 v9, s[6:7], v27, v17, s[6:7]
	v_mov_b32_e32 v2, 0x10000
	v_mov_b32_e32 v31, s13
	v_add_co_u32_e64 v16, s[6:7], s12, v16
	v_mov_b32_e32 v3, 0
	s_mul_i32 s10, s8, 3
	v_addc_co_u32_e64 v11, s[6:7], v31, v17, s[6:7]
	v_cmp_lt_u64_e32 vcc, s[16:17], v[2:3]
	v_add_co_u32_e64 v33, s[6:7], s10, v0
	s_and_b64 s[0:1], vcc, exec
	v_add_co_u32_e32 v2, vcc, s22, v18
	v_addc_co_u32_e64 v34, s[6:7], 0, 0, s[6:7]
	s_cselect_b32 s27, s17, 0
	s_cselect_b32 s26, s16, 0x10000
	v_addc_co_u32_e32 v1, vcc, 0, v21, vcc
	s_lshl_b32 s6, s8, 3
	v_add_co_u32_e32 v4, vcc, s20, v18
	v_add_co_u32_e64 v19, s[6:7], s6, v18
	v_addc_co_u32_e32 v3, vcc, 0, v23, vcc
	v_addc_co_u32_e64 v25, s[6:7], 0, 0, s[6:7]
	v_add_co_u32_e32 v6, vcc, s18, v18
	v_add_co_u32_e64 v8, s[2:3], s12, v18
	v_add_co_u32_e64 v18, s[6:7], s22, v19
	v_addc_co_u32_e64 v13, s[6:7], v21, v25, s[6:7]
	v_add_co_u32_e64 v20, s[6:7], s20, v19
	v_addc_co_u32_e64 v15, s[6:7], v23, v25, s[6:7]
	;; [unrolled: 2-line block ×3, first 2 shown]
	v_add_co_u32_e64 v24, s[6:7], s12, v19
	s_lshl_b32 s9, s8, 1
	v_addc_co_u32_e64 v19, s[6:7], v31, v25, s[6:7]
	v_add_co_u32_e64 v35, s[6:7], s9, v0
	v_addc_co_u32_e64 v36, s[6:7], 0, 0, s[6:7]
	v_add_co_u32_e64 v37, s[6:7], s8, v0
	v_addc_co_u32_e64 v38, s[6:7], 0, 0, s[6:7]
	v_lshlrev_b32_e32 v29, 2, v37
	v_addc_co_u32_e32 v25, vcc, 0, v27, vcc
	v_add_co_u32_e64 v26, s[6:7], s22, v29
	v_add_co_u32_e32 v30, vcc, s18, v29
	v_addc_co_u32_e64 v21, s[6:7], 0, v21, s[6:7]
	v_addc_co_u32_e32 v27, vcc, 0, v27, vcc
	v_add_co_u32_e64 v28, s[6:7], s20, v29
	v_add_co_u32_e32 v32, vcc, s12, v29
	s_mov_b32 s15, 0
	v_cmp_eq_f32_e64 s[0:1], s14, 1.0
	s_lshl_b32 s33, s8, 2
	s_lshl_b32 s34, s8, 4
	s_mov_b64 s[28:29], 0
	v_addc_co_u32_e64 v23, s[6:7], 0, v23, s[6:7]
	v_addc_co_u32_e64 v29, s[2:3], 0, v31, s[2:3]
	v_addc_co_u32_e32 v31, vcc, 0, v31, vcc
	s_branch .LBB116_4
.LBB116_3:                              ;   in Loop: Header=BB116_4 Depth=1
	s_or_b64 exec, exec, s[2:3]
	s_waitcnt vmcnt(1)
	v_mov_b32_e32 v39, s15
	v_add_co_u32_e64 v2, s[6:7], s34, v2
	v_addc_co_u32_e64 v1, s[6:7], v1, v39, s[6:7]
	v_add_co_u32_e64 v4, s[6:7], s34, v4
	v_addc_co_u32_e64 v3, s[6:7], v3, v39, s[6:7]
	;; [unrolled: 2-line block ×12, first 2 shown]
	v_add_co_u32_e64 v26, s[6:7], s34, v26
	s_add_u32 s28, s28, s33
	v_addc_co_u32_e64 v21, s[6:7], v21, v39, s[6:7]
	s_addc_u32 s29, s29, 0
	s_waitcnt vmcnt(0)
	v_pk_mov_b32 v[40:41], s[16:17], s[16:17] op_sel:[0,1]
	v_add_co_u32_e64 v28, s[6:7], s34, v28
	v_cmp_lt_i64_e32 vcc, s[28:29], v[40:41]
	v_mov_b32_e32 v40, 0x10000
	v_addc_co_u32_e64 v23, s[6:7], v23, v39, s[6:7]
	v_mov_b32_e32 v41, 0
	v_add_co_u32_e64 v30, s[6:7], s34, v30
	v_cmp_lt_u64_e64 s[2:3], s[28:29], v[40:41]
	v_addc_co_u32_e64 v27, s[6:7], v27, v39, s[6:7]
	v_add_co_u32_e64 v32, s[6:7], s34, v32
	s_and_b64 s[2:3], vcc, s[2:3]
	v_addc_co_u32_e64 v31, s[6:7], v31, v39, s[6:7]
	s_and_b64 vcc, exec, s[2:3]
	s_cbranch_vccz .LBB116_28
.LBB116_4:                              ; =>This Inner Loop Header: Depth=1
	v_mov_b32_e32 v39, s29
	v_add_co_u32_e32 v40, vcc, s28, v0
	v_addc_co_u32_e32 v41, vcc, 0, v39, vcc
	v_cmp_gt_u64_e32 vcc, s[26:27], v[40:41]
	v_mov_b32_e32 v40, 0
	v_mov_b32_e32 v41, 0
	s_and_saveexec_b64 s[6:7], vcc
	s_cbranch_execz .LBB116_6
; %bb.5:                                ;   in Loop: Header=BB116_4 Depth=1
	v_mov_b32_e32 v39, s25
	v_add_co_u32_e64 v42, s[2:3], s24, v2
	v_addc_co_u32_e64 v43, s[2:3], v1, v39, s[2:3]
	v_add_co_u32_e64 v44, s[2:3], s24, v4
	v_addc_co_u32_e64 v45, s[2:3], v3, v39, s[2:3]
	global_load_dword v40, v[42:43], off
	global_load_dword v41, v[44:45], off
.LBB116_6:                              ;   in Loop: Header=BB116_4 Depth=1
	s_or_b64 exec, exec, s[6:7]
	v_mov_b32_e32 v39, 0
	v_mov_b32_e32 v43, 0
	s_and_saveexec_b64 s[6:7], vcc
	s_cbranch_execz .LBB116_8
; %bb.7:                                ;   in Loop: Header=BB116_4 Depth=1
	v_mov_b32_e32 v43, s25
	v_add_co_u32_e64 v42, s[2:3], s24, v6
	v_addc_co_u32_e64 v43, s[2:3], v25, v43, s[2:3]
	global_load_dword v43, v[42:43], off
.LBB116_8:                              ;   in Loop: Header=BB116_4 Depth=1
	s_or_b64 exec, exec, s[6:7]
	v_mov_b32_e32 v42, s29
	v_add_co_u32_e64 v44, s[2:3], s28, v37
	v_addc_co_u32_e64 v45, s[2:3], v38, v42, s[2:3]
	v_cmp_gt_u64_e64 s[2:3], s[26:27], v[44:45]
	v_mov_b32_e32 v44, 0
	s_and_saveexec_b64 s[8:9], s[2:3]
	s_cbranch_execz .LBB116_10
; %bb.9:                                ;   in Loop: Header=BB116_4 Depth=1
	v_mov_b32_e32 v39, s25
	v_add_co_u32_e64 v46, s[6:7], s24, v26
	v_addc_co_u32_e64 v47, s[6:7], v21, v39, s[6:7]
	v_add_co_u32_e64 v48, s[6:7], s24, v28
	v_addc_co_u32_e64 v49, s[6:7], v23, v39, s[6:7]
	global_load_dword v39, v[46:47], off
	global_load_dword v44, v[48:49], off
.LBB116_10:                             ;   in Loop: Header=BB116_4 Depth=1
	s_or_b64 exec, exec, s[8:9]
	v_mov_b32_e32 v42, 0
	v_mov_b32_e32 v47, 0
	s_and_saveexec_b64 s[8:9], s[2:3]
	s_cbranch_execz .LBB116_12
; %bb.11:                               ;   in Loop: Header=BB116_4 Depth=1
	v_mov_b32_e32 v45, s25
	v_add_co_u32_e64 v46, s[6:7], s24, v30
	v_addc_co_u32_e64 v47, s[6:7], v27, v45, s[6:7]
	global_load_dword v47, v[46:47], off
.LBB116_12:                             ;   in Loop: Header=BB116_4 Depth=1
	s_or_b64 exec, exec, s[8:9]
	v_mov_b32_e32 v45, s29
	v_add_co_u32_e64 v48, s[6:7], s28, v35
	v_addc_co_u32_e64 v49, s[6:7], v36, v45, s[6:7]
	v_cmp_gt_u64_e64 s[6:7], s[26:27], v[48:49]
	v_mov_b32_e32 v46, 0
	s_and_saveexec_b64 s[10:11], s[6:7]
	s_cbranch_execz .LBB116_14
; %bb.13:                               ;   in Loop: Header=BB116_4 Depth=1
	v_mov_b32_e32 v42, s25
	v_add_co_u32_e64 v48, s[8:9], s24, v18
	v_addc_co_u32_e64 v49, s[8:9], v13, v42, s[8:9]
	v_add_co_u32_e64 v50, s[8:9], s24, v20
	v_addc_co_u32_e64 v51, s[8:9], v15, v42, s[8:9]
	global_load_dword v42, v[48:49], off
	global_load_dword v46, v[50:51], off
.LBB116_14:                             ;   in Loop: Header=BB116_4 Depth=1
	s_or_b64 exec, exec, s[10:11]
	v_mov_b32_e32 v45, 0
	v_mov_b32_e32 v49, 0
	s_and_saveexec_b64 s[10:11], s[6:7]
	s_cbranch_execz .LBB116_16
; %bb.15:                               ;   in Loop: Header=BB116_4 Depth=1
	v_mov_b32_e32 v49, s25
	v_add_co_u32_e64 v48, s[8:9], s24, v22
	v_addc_co_u32_e64 v49, s[8:9], v17, v49, s[8:9]
	global_load_dword v49, v[48:49], off
.LBB116_16:                             ;   in Loop: Header=BB116_4 Depth=1
	s_or_b64 exec, exec, s[10:11]
	v_mov_b32_e32 v48, s29
	v_add_co_u32_e64 v50, s[8:9], s28, v33
	v_addc_co_u32_e64 v51, s[8:9], v34, v48, s[8:9]
	v_cmp_gt_u64_e64 s[8:9], s[26:27], v[50:51]
	v_mov_b32_e32 v48, 0
	s_and_saveexec_b64 s[30:31], s[8:9]
	s_cbranch_execnz .LBB116_22
; %bb.17:                               ;   in Loop: Header=BB116_4 Depth=1
	s_or_b64 exec, exec, s[30:31]
	v_mov_b32_e32 v50, 0
	s_and_saveexec_b64 s[30:31], s[8:9]
	s_cbranch_execnz .LBB116_23
.LBB116_18:                             ;   in Loop: Header=BB116_4 Depth=1
	s_or_b64 exec, exec, s[30:31]
	s_and_saveexec_b64 s[10:11], vcc
	s_cbranch_execnz .LBB116_24
.LBB116_19:                             ;   in Loop: Header=BB116_4 Depth=1
	s_or_b64 exec, exec, s[10:11]
	s_and_saveexec_b64 s[10:11], s[2:3]
	s_cbranch_execnz .LBB116_25
.LBB116_20:                             ;   in Loop: Header=BB116_4 Depth=1
	s_or_b64 exec, exec, s[10:11]
	s_and_saveexec_b64 s[2:3], s[6:7]
	s_cbranch_execnz .LBB116_26
.LBB116_21:                             ;   in Loop: Header=BB116_4 Depth=1
	s_or_b64 exec, exec, s[2:3]
	s_and_saveexec_b64 s[2:3], s[8:9]
	s_cbranch_execz .LBB116_3
	s_branch .LBB116_27
.LBB116_22:                             ;   in Loop: Header=BB116_4 Depth=1
	v_mov_b32_e32 v45, s25
	v_add_co_u32_e64 v50, s[10:11], s24, v10
	v_addc_co_u32_e64 v51, s[10:11], v5, v45, s[10:11]
	v_add_co_u32_e64 v52, s[10:11], s24, v12
	v_addc_co_u32_e64 v53, s[10:11], v7, v45, s[10:11]
	global_load_dword v45, v[50:51], off
	global_load_dword v48, v[52:53], off
	s_or_b64 exec, exec, s[30:31]
	v_mov_b32_e32 v50, 0
	s_and_saveexec_b64 s[30:31], s[8:9]
	s_cbranch_execz .LBB116_18
.LBB116_23:                             ;   in Loop: Header=BB116_4 Depth=1
	v_mov_b32_e32 v51, s25
	v_add_co_u32_e64 v50, s[10:11], s24, v14
	v_addc_co_u32_e64 v51, s[10:11], v9, v51, s[10:11]
	global_load_dword v50, v[50:51], off
	s_or_b64 exec, exec, s[30:31]
	s_and_saveexec_b64 s[10:11], vcc
	s_cbranch_execz .LBB116_19
.LBB116_24:                             ;   in Loop: Header=BB116_4 Depth=1
	s_waitcnt vmcnt(0)
	v_div_scale_f32 v54, s[30:31], v43, v43, v41
	v_rcp_f32_e32 v55, v54
	v_mov_b32_e32 v51, s25
	v_add_co_u32_e32 v52, vcc, s24, v8
	v_addc_co_u32_e32 v53, vcc, v29, v51, vcc
	v_fma_f32 v51, -v54, v55, 1.0
	v_fmac_f32_e32 v55, v51, v55
	v_div_scale_f32 v51, vcc, v41, v43, v41
	v_mul_f32_e32 v56, v51, v55
	v_fma_f32 v57, -v54, v56, v51
	v_fmac_f32_e32 v56, v57, v55
	v_fma_f32 v51, -v54, v56, v51
	v_div_fmas_f32 v51, v51, v55, v56
	v_div_fixup_f32 v41, v51, v43, v41
	v_add_f32_e32 v43, v40, v41
	v_fmac_f32_e32 v40, s14, v41
	v_cndmask_b32_e64 v40, v40, v43, s[0:1]
	global_store_dword v[52:53], v40, off
	s_or_b64 exec, exec, s[10:11]
	s_and_saveexec_b64 s[10:11], s[2:3]
	s_cbranch_execz .LBB116_20
.LBB116_25:                             ;   in Loop: Header=BB116_4 Depth=1
	s_waitcnt vmcnt(0)
	v_div_scale_f32 v40, s[2:3], v47, v47, v44
	v_rcp_f32_e32 v41, v40
	v_div_scale_f32 v43, vcc, v44, v47, v44
	v_fma_f32 v51, -v40, v41, 1.0
	v_fmac_f32_e32 v41, v51, v41
	v_mul_f32_e32 v51, v43, v41
	v_fma_f32 v52, -v40, v51, v43
	v_fmac_f32_e32 v51, v52, v41
	v_fma_f32 v40, -v40, v51, v43
	v_div_fmas_f32 v40, v40, v41, v51
	v_div_fixup_f32 v40, v40, v47, v44
	v_add_f32_e32 v41, v39, v40
	v_fmac_f32_e32 v39, s14, v40
	v_cndmask_b32_e64 v39, v39, v41, s[0:1]
	v_mov_b32_e32 v41, s25
	v_add_co_u32_e32 v40, vcc, s24, v32
	v_addc_co_u32_e32 v41, vcc, v31, v41, vcc
	global_store_dword v[40:41], v39, off
	s_or_b64 exec, exec, s[10:11]
	s_and_saveexec_b64 s[2:3], s[6:7]
	s_cbranch_execz .LBB116_21
.LBB116_26:                             ;   in Loop: Header=BB116_4 Depth=1
	s_waitcnt vmcnt(0)
	v_div_scale_f32 v39, s[6:7], v49, v49, v46
	v_rcp_f32_e32 v40, v39
	v_div_scale_f32 v41, vcc, v46, v49, v46
	v_fma_f32 v43, -v39, v40, 1.0
	v_fmac_f32_e32 v40, v43, v40
	v_mul_f32_e32 v43, v41, v40
	v_fma_f32 v44, -v39, v43, v41
	v_fmac_f32_e32 v43, v44, v40
	v_fma_f32 v39, -v39, v43, v41
	v_div_fmas_f32 v39, v39, v40, v43
	v_div_fixup_f32 v39, v39, v49, v46
	v_add_f32_e32 v40, v42, v39
	v_fmac_f32_e32 v42, s14, v39
	v_cndmask_b32_e64 v39, v42, v40, s[0:1]
	v_mov_b32_e32 v41, s25
	v_add_co_u32_e32 v40, vcc, s24, v24
	v_addc_co_u32_e32 v41, vcc, v19, v41, vcc
	global_store_dword v[40:41], v39, off
	s_or_b64 exec, exec, s[2:3]
	s_and_saveexec_b64 s[2:3], s[8:9]
	s_cbranch_execz .LBB116_3
.LBB116_27:                             ;   in Loop: Header=BB116_4 Depth=1
	s_waitcnt vmcnt(0)
	v_div_scale_f32 v39, s[6:7], v50, v50, v48
	v_rcp_f32_e32 v40, v39
	v_div_scale_f32 v41, vcc, v48, v50, v48
	v_fma_f32 v42, -v39, v40, 1.0
	v_fmac_f32_e32 v40, v42, v40
	v_mul_f32_e32 v42, v41, v40
	v_fma_f32 v43, -v39, v42, v41
	v_fmac_f32_e32 v42, v43, v40
	v_fma_f32 v39, -v39, v42, v41
	v_div_fmas_f32 v39, v39, v40, v42
	v_div_fixup_f32 v39, v39, v50, v48
	v_add_f32_e32 v40, v45, v39
	v_fmac_f32_e32 v45, s14, v39
	v_cndmask_b32_e64 v39, v45, v40, s[0:1]
	v_mov_b32_e32 v41, s25
	v_add_co_u32_e32 v40, vcc, s24, v16
	v_addc_co_u32_e32 v41, vcc, v11, v41, vcc
	global_store_dword v[40:41], v39, off
	s_branch .LBB116_3
.LBB116_28:
	s_mov_b64 s[0:1], 0
.LBB116_29:
	s_andn2_b64 vcc, exec, s[0:1]
	s_cbranch_vccnz .LBB116_33
; %bb.30:
	v_mov_b32_e32 v3, 0
	v_lshlrev_b32_e32 v2, 2, v0
	s_mov_b32 s2, 0
	v_cmp_gt_i64_e32 vcc, s[16:17], v[2:3]
	s_and_saveexec_b64 s[0:1], vcc
	s_cbranch_execz .LBB116_33
; %bb.31:
	s_load_dword s3, s[4:5], 0xc84
	v_lshlrev_b32_e32 v1, 4, v0
	v_mov_b32_e32 v4, s25
	s_waitcnt lgkmcnt(0)
	v_cmp_eq_f32_e64 s[0:1], s14, 1.0
	s_mov_b32 s15, s14
	s_and_b32 s3, s3, 0xffff
	s_lshl_b32 s26, s3, 2
	s_add_u32 s22, s22, 8
	s_addc_u32 s4, s23, 0
	s_lshl_b32 s23, s3, 4
	s_add_u32 s20, s20, 8
	s_addc_u32 s5, s21, 0
	s_add_u32 s18, s18, 8
	v_add_lshl_u32 v2, v0, s3, 2
	v_add_co_u32_e32 v0, vcc, s24, v1
	s_addc_u32 s6, s19, 0
	v_addc_co_u32_e32 v1, vcc, 0, v4, vcc
	s_mov_b64 s[8:9], 0
	v_mov_b32_e32 v4, s4
	v_mov_b32_e32 v5, s5
	;; [unrolled: 1-line block ×4, first 2 shown]
	s_mov_b64 s[10:11], 0xffff
	v_mov_b32_e32 v8, s2
	v_mov_b32_e32 v9, s2
.LBB116_32:                             ; =>This Inner Loop Header: Depth=1
	v_add_co_u32_e32 v18, vcc, s20, v0
	v_addc_co_u32_e32 v19, vcc, v5, v1, vcc
	v_add_co_u32_e32 v20, vcc, s18, v0
	v_addc_co_u32_e32 v21, vcc, v6, v1, vcc
	global_load_dwordx4 v[10:13], v[18:19], off offset:-8
	global_load_dwordx4 v[14:17], v[20:21], off offset:-8
	v_add_co_u32_e32 v18, vcc, s22, v0
	v_addc_co_u32_e32 v19, vcc, v4, v1, vcc
	global_load_dwordx4 v[18:21], v[18:19], off offset:-8
	v_add_co_u32_e32 v22, vcc, s12, v0
	v_addc_co_u32_e32 v23, vcc, v7, v1, vcc
	v_cmp_le_i64_e32 vcc, s[16:17], v[2:3]
	v_cmp_lt_u64_e64 s[2:3], s[10:11], v[2:3]
	s_or_b64 s[2:3], vcc, s[2:3]
	v_add_co_u32_e64 v2, s[4:5], s26, v2
	s_and_b64 s[2:3], exec, s[2:3]
	v_addc_co_u32_e64 v3, s[4:5], v3, v8, s[4:5]
	s_or_b64 s[8:9], s[2:3], s[8:9]
	v_add_co_u32_e64 v0, s[4:5], s23, v0
	v_addc_co_u32_e64 v1, s[4:5], v1, v9, s[4:5]
	s_waitcnt vmcnt(1)
	v_div_scale_f32 v24, s[2:3], v15, v15, v11
	v_div_scale_f32 v26, s[2:3], v14, v14, v10
	v_rcp_f32_e32 v32, v24
	v_div_scale_f32 v28, s[4:5], v17, v17, v13
	v_rcp_f32_e32 v33, v26
	;; [unrolled: 2-line block ×3, first 2 shown]
	v_rcp_f32_e32 v35, v30
	v_fma_f32 v36, -v24, v32, 1.0
	v_div_scale_f32 v25, vcc, v11, v15, v11
	v_fma_f32 v37, -v26, v33, 1.0
	v_fmac_f32_e32 v32, v36, v32
	v_div_scale_f32 v27, s[2:3], v10, v14, v10
	v_fma_f32 v38, -v28, v34, 1.0
	v_fmac_f32_e32 v33, v37, v33
	v_mul_f32_e32 v36, v25, v32
	v_div_scale_f32 v29, s[4:5], v13, v17, v13
	v_fma_f32 v39, -v30, v35, 1.0
	v_fmac_f32_e32 v34, v38, v34
	v_mul_f32_e32 v37, v27, v33
	v_fma_f32 v40, -v24, v36, v25
	v_div_scale_f32 v31, s[6:7], v12, v16, v12
	v_fmac_f32_e32 v35, v39, v35
	v_mul_f32_e32 v38, v29, v34
	v_fma_f32 v41, -v26, v37, v27
	v_fmac_f32_e32 v36, v40, v32
	v_mul_f32_e32 v39, v31, v35
	v_fma_f32 v42, -v28, v38, v29
	v_fmac_f32_e32 v37, v41, v33
	v_fma_f32 v24, -v24, v36, v25
	v_fma_f32 v43, -v30, v39, v31
	v_fmac_f32_e32 v38, v42, v34
	v_fma_f32 v25, -v26, v37, v27
	v_div_fmas_f32 v24, v24, v32, v36
	s_mov_b64 vcc, s[2:3]
	v_fmac_f32_e32 v39, v43, v35
	v_fma_f32 v26, -v28, v38, v29
	v_div_fixup_f32 v11, v24, v15, v11
	v_div_fmas_f32 v15, v25, v33, v37
	s_mov_b64 vcc, s[4:5]
	v_fma_f32 v27, -v30, v39, v31
	v_div_fmas_f32 v24, v26, v34, v38
	s_mov_b64 vcc, s[6:7]
	v_div_fixup_f32 v10, v15, v14, v10
	v_div_fixup_f32 v13, v24, v17, v13
	v_div_fmas_f32 v17, v27, v35, v39
	s_waitcnt vmcnt(0)
	v_pk_add_f32 v[14:15], v[18:19], v[10:11]
	v_pk_fma_f32 v[10:11], s[14:15], v[10:11], v[18:19]
	v_div_fixup_f32 v12, v17, v16, v12
	v_cndmask_b32_e64 v11, v11, v15, s[0:1]
	v_cndmask_b32_e64 v10, v10, v14, s[0:1]
	v_pk_add_f32 v[14:15], v[20:21], v[12:13]
	v_pk_fma_f32 v[12:13], s[14:15], v[12:13], v[20:21]
	v_cndmask_b32_e64 v13, v13, v15, s[0:1]
	v_cndmask_b32_e64 v12, v12, v14, s[0:1]
	global_store_dwordx4 v[22:23], v[10:13], off
	s_andn2_b64 exec, exec, s[8:9]
	s_cbranch_execnz .LBB116_32
.LBB116_33:
	s_endpgm
	.section	.rodata,"a",@progbits
	.p2align	6, 0x0
	.amdhsa_kernel _ZN2at6native12_GLOBAL__N_125multi_tensor_apply_kernelINS1_28TensorListScalarListMetadataIfLi4EEENS1_28PointwiseOpScalarListFunctorIfLi4ELi3ELi3EEEJSt7dividesIfEEEEvT_T0_DpT1_
		.amdhsa_group_segment_fixed_size 0
		.amdhsa_private_segment_fixed_size 0
		.amdhsa_kernarg_size 3448
		.amdhsa_user_sgpr_count 6
		.amdhsa_user_sgpr_private_segment_buffer 1
		.amdhsa_user_sgpr_dispatch_ptr 0
		.amdhsa_user_sgpr_queue_ptr 0
		.amdhsa_user_sgpr_kernarg_segment_ptr 1
		.amdhsa_user_sgpr_dispatch_id 0
		.amdhsa_user_sgpr_flat_scratch_init 0
		.amdhsa_user_sgpr_kernarg_preload_length 0
		.amdhsa_user_sgpr_kernarg_preload_offset 0
		.amdhsa_user_sgpr_private_segment_size 0
		.amdhsa_uses_dynamic_stack 0
		.amdhsa_system_sgpr_private_segment_wavefront_offset 0
		.amdhsa_system_sgpr_workgroup_id_x 1
		.amdhsa_system_sgpr_workgroup_id_y 0
		.amdhsa_system_sgpr_workgroup_id_z 0
		.amdhsa_system_sgpr_workgroup_info 0
		.amdhsa_system_vgpr_workitem_id 0
		.amdhsa_next_free_vgpr 58
		.amdhsa_next_free_sgpr 35
		.amdhsa_accum_offset 60
		.amdhsa_reserve_vcc 1
		.amdhsa_reserve_flat_scratch 0
		.amdhsa_float_round_mode_32 0
		.amdhsa_float_round_mode_16_64 0
		.amdhsa_float_denorm_mode_32 3
		.amdhsa_float_denorm_mode_16_64 3
		.amdhsa_dx10_clamp 1
		.amdhsa_ieee_mode 1
		.amdhsa_fp16_overflow 0
		.amdhsa_tg_split 0
		.amdhsa_exception_fp_ieee_invalid_op 0
		.amdhsa_exception_fp_denorm_src 0
		.amdhsa_exception_fp_ieee_div_zero 0
		.amdhsa_exception_fp_ieee_overflow 0
		.amdhsa_exception_fp_ieee_underflow 0
		.amdhsa_exception_fp_ieee_inexact 0
		.amdhsa_exception_int_div_zero 0
	.end_amdhsa_kernel
	.section	.text._ZN2at6native12_GLOBAL__N_125multi_tensor_apply_kernelINS1_28TensorListScalarListMetadataIfLi4EEENS1_28PointwiseOpScalarListFunctorIfLi4ELi3ELi3EEEJSt7dividesIfEEEEvT_T0_DpT1_,"axG",@progbits,_ZN2at6native12_GLOBAL__N_125multi_tensor_apply_kernelINS1_28TensorListScalarListMetadataIfLi4EEENS1_28PointwiseOpScalarListFunctorIfLi4ELi3ELi3EEEJSt7dividesIfEEEEvT_T0_DpT1_,comdat
.Lfunc_end116:
	.size	_ZN2at6native12_GLOBAL__N_125multi_tensor_apply_kernelINS1_28TensorListScalarListMetadataIfLi4EEENS1_28PointwiseOpScalarListFunctorIfLi4ELi3ELi3EEEJSt7dividesIfEEEEvT_T0_DpT1_, .Lfunc_end116-_ZN2at6native12_GLOBAL__N_125multi_tensor_apply_kernelINS1_28TensorListScalarListMetadataIfLi4EEENS1_28PointwiseOpScalarListFunctorIfLi4ELi3ELi3EEEJSt7dividesIfEEEEvT_T0_DpT1_
                                        ; -- End function
	.section	.AMDGPU.csdata,"",@progbits
; Kernel info:
; codeLenInByte = 2784
; NumSgprs: 39
; NumVgprs: 58
; NumAgprs: 0
; TotalNumVgprs: 58
; ScratchSize: 0
; MemoryBound: 0
; FloatMode: 240
; IeeeMode: 1
; LDSByteSize: 0 bytes/workgroup (compile time only)
; SGPRBlocks: 4
; VGPRBlocks: 7
; NumSGPRsForWavesPerEU: 39
; NumVGPRsForWavesPerEU: 58
; AccumOffset: 60
; Occupancy: 8
; WaveLimiterHint : 0
; COMPUTE_PGM_RSRC2:SCRATCH_EN: 0
; COMPUTE_PGM_RSRC2:USER_SGPR: 6
; COMPUTE_PGM_RSRC2:TRAP_HANDLER: 0
; COMPUTE_PGM_RSRC2:TGID_X_EN: 1
; COMPUTE_PGM_RSRC2:TGID_Y_EN: 0
; COMPUTE_PGM_RSRC2:TGID_Z_EN: 0
; COMPUTE_PGM_RSRC2:TIDIG_COMP_CNT: 0
; COMPUTE_PGM_RSRC3_GFX90A:ACCUM_OFFSET: 14
; COMPUTE_PGM_RSRC3_GFX90A:TG_SPLIT: 0
	.section	.text._ZN2at6native12_GLOBAL__N_125multi_tensor_apply_kernelINS1_28TensorListScalarListMetadataIN3c107complexIdEELi4EEENS1_28PointwiseOpScalarListFunctorIS6_Li4ELi3ELi3EEEJSt7dividesIS6_EEEEvT_T0_DpT1_,"axG",@progbits,_ZN2at6native12_GLOBAL__N_125multi_tensor_apply_kernelINS1_28TensorListScalarListMetadataIN3c107complexIdEELi4EEENS1_28PointwiseOpScalarListFunctorIS6_Li4ELi3ELi3EEEJSt7dividesIS6_EEEEvT_T0_DpT1_,comdat
	.globl	_ZN2at6native12_GLOBAL__N_125multi_tensor_apply_kernelINS1_28TensorListScalarListMetadataIN3c107complexIdEELi4EEENS1_28PointwiseOpScalarListFunctorIS6_Li4ELi3ELi3EEEJSt7dividesIS6_EEEEvT_T0_DpT1_ ; -- Begin function _ZN2at6native12_GLOBAL__N_125multi_tensor_apply_kernelINS1_28TensorListScalarListMetadataIN3c107complexIdEELi4EEENS1_28PointwiseOpScalarListFunctorIS6_Li4ELi3ELi3EEEJSt7dividesIS6_EEEEvT_T0_DpT1_
	.p2align	8
	.type	_ZN2at6native12_GLOBAL__N_125multi_tensor_apply_kernelINS1_28TensorListScalarListMetadataIN3c107complexIdEELi4EEENS1_28PointwiseOpScalarListFunctorIS6_Li4ELi3ELi3EEEJSt7dividesIS6_EEEEvT_T0_DpT1_,@function
_ZN2at6native12_GLOBAL__N_125multi_tensor_apply_kernelINS1_28TensorListScalarListMetadataIN3c107complexIdEELi4EEENS1_28PointwiseOpScalarListFunctorIS6_Li4ELi3ELi3EEEJSt7dividesIS6_EEEEvT_T0_DpT1_: ; @_ZN2at6native12_GLOBAL__N_125multi_tensor_apply_kernelINS1_28TensorListScalarListMetadataIN3c107complexIdEELi4EEENS1_28PointwiseOpScalarListFunctorIS6_Li4ELi3ELi3EEEJSt7dividesIS6_EEEEvT_T0_DpT1_
; %bb.0:
	v_mov_b32_e32 v1, s6
	global_load_ubyte v1, v1, s[4:5] offset:2016
	s_add_u32 s0, s4, s6
	s_mul_i32 s1, s6, 3
	s_addc_u32 s2, s5, 0
	s_mul_hi_u32 s3, s6, 3
	s_add_u32 s0, s0, s1
	s_addc_u32 s1, s2, s3
	s_load_dword s10, s[0:1], 0x920
	s_mov_b32 s13, 0
	s_waitcnt lgkmcnt(0)
	s_ashr_i32 s11, s10, 31
	s_waitcnt vmcnt(0)
	v_readfirstlane_b32 s0, v1
	s_lshl_b32 s12, s0, 3
	s_load_dwordx2 s[14:15], s[4:5], s12 offset:0x480
	s_load_dwordx2 s[2:3], s[4:5], s12 offset:0x0
	;; [unrolled: 1-line block ×5, first 2 shown]
	s_add_u32 s16, s4, s12
	s_addc_u32 s17, s5, 0
	s_lshl_b64 s[22:23], s[10:11], 20
	s_waitcnt lgkmcnt(0)
	s_add_u32 s33, s2, s22
	s_addc_u32 s36, s3, s23
	s_add_u32 s37, s0, s22
	s_load_dwordx4 s[16:19], s[16:17], s12 offset:0x5a0
	s_addc_u32 s38, s1, s23
	s_and_b32 s12, s37, 63
	s_add_u32 s39, s6, s22
	s_addc_u32 s40, s7, s23
	s_add_u32 s41, s8, s22
	s_addc_u32 s42, s9, s23
	s_or_b32 s20, s41, s39
	s_and_b32 s20, s20, 63
	s_cmp_eq_u32 s20, 0
	s_cselect_b64 s[20:21], -1, 0
	s_and_b32 s26, s33, 63
	s_cmp_eq_u64 s[12:13], 0
	s_cselect_b64 s[24:25], -1, 0
	s_lshl_b64 s[10:11], s[10:11], 16
	s_and_b64 s[24:25], s[20:21], s[24:25]
	s_sub_u32 s20, s14, s10
	s_subb_u32 s21, s15, s11
	s_and_b32 s10, s14, 3
	s_or_b32 s12, s26, s10
	s_cmp_eq_u64 s[12:13], 0
	s_cselect_b64 s[10:11], -1, 0
	s_and_b64 s[12:13], s[24:25], s[10:11]
	s_mov_b64 s[10:11], -1
	s_and_b64 vcc, exec, s[12:13]
	s_cbranch_vccnz .LBB117_109
; %bb.1:
	v_cmp_lt_i64_e64 s[10:11], s[20:21], 1
	s_and_b64 vcc, exec, s[10:11]
	s_cbranch_vccnz .LBB117_108
; %bb.2:
	s_load_dword s10, s[4:5], 0xe34
	v_mov_b32_e32 v2, 0x10000
	v_mov_b32_e32 v3, 0
	v_lshlrev_b32_e32 v6, 4, v0
	v_cmp_lt_u64_e32 vcc, s[20:21], v[2:3]
	s_waitcnt lgkmcnt(0)
	s_and_b32 s44, s10, 0xffff
	v_or_b32_e32 v2, 8, v6
	s_and_b64 s[10:11], vcc, exec
	v_mov_b32_e32 v8, s3
	v_add_co_u32_e32 v50, vcc, s2, v2
	v_addc_co_u32_e32 v51, vcc, 0, v8, vcc
	v_add_lshl_u32 v9, v0, s44, 4
	v_mov_b32_e32 v10, s9
	v_add_co_u32_e32 v52, vcc, s8, v9
	v_addc_co_u32_e32 v53, vcc, 0, v10, vcc
	v_mov_b32_e32 v11, s7
	v_add_co_u32_e32 v54, vcc, s6, v2
	v_addc_co_u32_e32 v55, vcc, 0, v11, vcc
	v_add_co_u32_e32 v56, vcc, s6, v9
	v_addc_co_u32_e32 v57, vcc, 0, v11, vcc
	v_add_co_u32_e32 v58, vcc, s8, v2
	v_mov_b32_e32 v1, 0
	v_addc_co_u32_e32 v59, vcc, 0, v10, vcc
	v_cmp_neq_f64_e64 s[10:11], s[16:17], 1.0
	v_cmp_neq_f64_e64 s[12:13], s[18:19], 0
	v_mov_b32_e32 v3, v1
	v_add_co_u32_e32 v60, vcc, s2, v9
	s_cselect_b32 s25, s21, 0
	s_cselect_b32 s24, s20, 0x10000
	s_or_b64 s[26:27], s[10:11], s[12:13]
	v_addc_co_u32_e32 v61, vcc, 0, v8, vcc
	v_mad_u64_u32 v[4:5], s[10:11], s44, 48, v[2:3]
	v_mov_b32_e32 v7, s1
	v_add_co_u32_e32 v62, vcc, s0, v4
	v_addc_co_u32_e32 v63, vcc, v7, v5, vcc
	v_add_co_u32_e32 v64, vcc, s2, v4
	v_addc_co_u32_e32 v65, vcc, v8, v5, vcc
	;; [unrolled: 2-line block ×3, first 2 shown]
	s_lshl_b32 s1, s44, 5
	v_add_co_u32_e32 v3, vcc, s1, v6
	v_addc_co_u32_e64 v6, s[10:11], 0, 0, vcc
	v_add_co_u32_e32 v68, vcc, s8, v3
	v_addc_co_u32_e32 v69, vcc, v10, v6, vcc
	v_add_co_u32_e32 v70, vcc, s8, v4
	v_addc_co_u32_e32 v71, vcc, v10, v5, vcc
	v_add_co_u32_e32 v72, vcc, s6, v3
	v_addc_co_u32_e32 v73, vcc, v11, v6, vcc
	v_or_b32_e32 v3, 8, v3
	v_add_co_u32_e32 v74, vcc, s2, v3
	v_addc_co_u32_e32 v75, vcc, v8, v6, vcc
	v_add_co_u32_e32 v76, vcc, s0, v3
	v_addc_co_u32_e32 v77, vcc, v7, v6, vcc
	v_add_co_u32_e32 v78, vcc, s0, v2
	s_mov_b32 s43, 0
	v_addc_co_u32_e32 v79, vcc, 0, v7, vcc
	s_lshl_b32 s28, s44, 2
	s_mov_b32 s29, s43
	v_add_co_u32_e32 v80, vcc, s0, v9
	s_lshl_b32 s45, s44, 1
	s_mov_b32 s46, s43
	s_mul_i32 s47, s44, 3
	s_mov_b32 s48, s43
	s_lshl_b32 s49, s44, 6
	s_mov_b32 s50, s43
	s_mov_b64 s[30:31], s[28:29]
	v_addc_co_u32_e32 v81, vcc, 0, v7, vcc
	v_pk_mov_b32 v[82:83], v[0:1], v[0:1] op_sel:[0,1]
	s_branch .LBB117_4
.LBB117_3:                              ;   in Loop: Header=BB117_4 Depth=1
	s_or_b64 exec, exec, s[0:1]
	v_pk_mov_b32 v[2:3], s[20:21], s[20:21] op_sel:[0,1]
	v_cmp_ge_i64_e32 vcc, s[30:31], v[2:3]
	v_mov_b32_e32 v2, 0xffff
	v_mov_b32_e32 v3, 0
	v_cmp_gt_u64_e64 s[0:1], s[30:31], v[2:3]
	s_or_b64 s[0:1], vcc, s[0:1]
	v_mov_b32_e32 v1, s29
	v_add_co_u32_e32 v82, vcc, s28, v82
	v_addc_co_u32_e32 v83, vcc, v83, v1, vcc
	v_mov_b32_e32 v1, s50
	v_add_co_u32_e32 v78, vcc, s49, v78
	v_addc_co_u32_e32 v79, vcc, v79, v1, vcc
	v_add_co_u32_e32 v50, vcc, s49, v50
	v_addc_co_u32_e32 v51, vcc, v51, v1, vcc
	;; [unrolled: 2-line block ×15, first 2 shown]
	v_add_co_u32_e32 v74, vcc, s49, v74
	s_add_u32 s30, s30, s28
	v_addc_co_u32_e32 v75, vcc, v75, v1, vcc
	s_addc_u32 s31, s31, 0
	s_and_b64 vcc, exec, s[0:1]
	s_cbranch_vccnz .LBB117_108
.LBB117_4:                              ; =>This Inner Loop Header: Depth=1
	v_pk_mov_b32 v[48:49], 0, 0
	v_cmp_gt_u64_e64 s[0:1], s[24:25], v[82:83]
	v_pk_mov_b32 v[44:45], v[48:49], v[48:49] op_sel:[0,1]
	v_pk_mov_b32 v[42:43], v[48:49], v[48:49] op_sel:[0,1]
	;; [unrolled: 1-line block ×4, first 2 shown]
	s_and_saveexec_b64 s[2:3], s[0:1]
	s_cbranch_execz .LBB117_6
; %bb.5:                                ;   in Loop: Header=BB117_4 Depth=1
	v_mov_b32_e32 v1, s23
	v_add_co_u32_e32 v6, vcc, s22, v78
	v_addc_co_u32_e32 v7, vcc, v79, v1, vcc
	v_add_co_u32_e32 v8, vcc, s22, v50
	v_addc_co_u32_e32 v9, vcc, v51, v1, vcc
	global_load_dwordx4 v[2:5], v[8:9], off offset:-8
	global_load_dwordx4 v[42:45], v[6:7], off offset:-8
.LBB117_6:                              ;   in Loop: Header=BB117_4 Depth=1
	s_or_b64 exec, exec, s[2:3]
	v_pk_mov_b32 v[46:47], v[48:49], v[48:49] op_sel:[0,1]
	s_and_saveexec_b64 s[2:3], s[0:1]
	s_cbranch_execz .LBB117_8
; %bb.7:                                ;   in Loop: Header=BB117_4 Depth=1
	v_mov_b32_e32 v1, s23
	v_add_co_u32_e32 v6, vcc, s22, v54
	v_addc_co_u32_e32 v7, vcc, v55, v1, vcc
	global_load_dwordx4 v[46:49], v[6:7], off offset:-8
.LBB117_8:                              ;   in Loop: Header=BB117_4 Depth=1
	s_or_b64 exec, exec, s[2:3]
	v_mov_b32_e32 v1, s43
	v_add_co_u32_e32 v6, vcc, s44, v82
	v_addc_co_u32_e32 v7, vcc, v1, v83, vcc
	v_pk_mov_b32 v[40:41], 0, 0
	v_cmp_gt_u64_e64 s[2:3], s[24:25], v[6:7]
	v_pk_mov_b32 v[36:37], v[40:41], v[40:41] op_sel:[0,1]
	v_pk_mov_b32 v[34:35], v[40:41], v[40:41] op_sel:[0,1]
	;; [unrolled: 1-line block ×4, first 2 shown]
	s_and_saveexec_b64 s[6:7], s[2:3]
	s_cbranch_execz .LBB117_10
; %bb.9:                                ;   in Loop: Header=BB117_4 Depth=1
	v_mov_b32_e32 v1, s23
	v_add_co_u32_e32 v10, vcc, s22, v80
	v_addc_co_u32_e32 v11, vcc, v81, v1, vcc
	v_add_co_u32_e32 v12, vcc, s22, v60
	v_addc_co_u32_e32 v13, vcc, v61, v1, vcc
	global_load_dwordx4 v[6:9], v[12:13], off
	global_load_dwordx4 v[34:37], v[10:11], off
.LBB117_10:                             ;   in Loop: Header=BB117_4 Depth=1
	s_or_b64 exec, exec, s[6:7]
	v_pk_mov_b32 v[38:39], v[40:41], v[40:41] op_sel:[0,1]
	s_and_saveexec_b64 s[6:7], s[2:3]
	s_cbranch_execz .LBB117_12
; %bb.11:                               ;   in Loop: Header=BB117_4 Depth=1
	v_mov_b32_e32 v1, s23
	v_add_co_u32_e32 v10, vcc, s22, v56
	v_addc_co_u32_e32 v11, vcc, v57, v1, vcc
	global_load_dwordx4 v[38:41], v[10:11], off
.LBB117_12:                             ;   in Loop: Header=BB117_4 Depth=1
	s_or_b64 exec, exec, s[6:7]
	v_mov_b32_e32 v1, s46
	v_add_co_u32_e32 v10, vcc, s45, v82
	v_addc_co_u32_e32 v11, vcc, v1, v83, vcc
	v_pk_mov_b32 v[32:33], 0, 0
	v_cmp_gt_u64_e64 s[6:7], s[24:25], v[10:11]
	v_pk_mov_b32 v[28:29], v[32:33], v[32:33] op_sel:[0,1]
	v_pk_mov_b32 v[26:27], v[32:33], v[32:33] op_sel:[0,1]
	;; [unrolled: 1-line block ×4, first 2 shown]
	s_and_saveexec_b64 s[8:9], s[6:7]
	s_cbranch_execz .LBB117_14
; %bb.13:                               ;   in Loop: Header=BB117_4 Depth=1
	v_mov_b32_e32 v1, s23
	v_add_co_u32_e32 v14, vcc, s22, v76
	v_addc_co_u32_e32 v15, vcc, v77, v1, vcc
	v_add_co_u32_e32 v16, vcc, s22, v74
	v_addc_co_u32_e32 v17, vcc, v75, v1, vcc
	global_load_dwordx4 v[10:13], v[16:17], off offset:-8
	global_load_dwordx4 v[26:29], v[14:15], off offset:-8
.LBB117_14:                             ;   in Loop: Header=BB117_4 Depth=1
	s_or_b64 exec, exec, s[8:9]
	v_pk_mov_b32 v[30:31], v[32:33], v[32:33] op_sel:[0,1]
	s_and_saveexec_b64 s[8:9], s[6:7]
	s_cbranch_execz .LBB117_16
; %bb.15:                               ;   in Loop: Header=BB117_4 Depth=1
	v_mov_b32_e32 v1, s23
	v_add_co_u32_e32 v14, vcc, s22, v72
	v_addc_co_u32_e32 v15, vcc, v73, v1, vcc
	global_load_dwordx4 v[30:33], v[14:15], off
.LBB117_16:                             ;   in Loop: Header=BB117_4 Depth=1
	s_or_b64 exec, exec, s[8:9]
	v_mov_b32_e32 v1, s48
	v_add_co_u32_e32 v14, vcc, s47, v82
	v_addc_co_u32_e32 v15, vcc, v1, v83, vcc
	v_pk_mov_b32 v[24:25], 0, 0
	v_cmp_gt_u64_e64 s[8:9], s[24:25], v[14:15]
	v_pk_mov_b32 v[20:21], v[24:25], v[24:25] op_sel:[0,1]
	v_pk_mov_b32 v[18:19], v[24:25], v[24:25] op_sel:[0,1]
	;; [unrolled: 1-line block ×4, first 2 shown]
	s_and_saveexec_b64 s[10:11], s[8:9]
	s_cbranch_execz .LBB117_18
; %bb.17:                               ;   in Loop: Header=BB117_4 Depth=1
	v_mov_b32_e32 v1, s23
	v_add_co_u32_e32 v22, vcc, s22, v62
	v_addc_co_u32_e32 v23, vcc, v63, v1, vcc
	v_add_co_u32_e32 v84, vcc, s22, v64
	v_addc_co_u32_e32 v85, vcc, v65, v1, vcc
	global_load_dwordx4 v[14:17], v[84:85], off offset:-8
	global_load_dwordx4 v[18:21], v[22:23], off offset:-8
.LBB117_18:                             ;   in Loop: Header=BB117_4 Depth=1
	s_or_b64 exec, exec, s[10:11]
	v_pk_mov_b32 v[22:23], v[24:25], v[24:25] op_sel:[0,1]
	s_and_saveexec_b64 s[10:11], s[8:9]
	s_cbranch_execz .LBB117_20
; %bb.19:                               ;   in Loop: Header=BB117_4 Depth=1
	v_mov_b32_e32 v1, s23
	v_add_co_u32_e32 v22, vcc, s22, v66
	v_addc_co_u32_e32 v23, vcc, v67, v1, vcc
	global_load_dwordx4 v[22:25], v[22:23], off offset:-8
.LBB117_20:                             ;   in Loop: Header=BB117_4 Depth=1
	s_or_b64 exec, exec, s[10:11]
	s_waitcnt vmcnt(0)
	v_xor_b32_e32 v1, 0x80000000, v47
	v_cmp_gt_f64_e32 vcc, 0, v[46:47]
	v_cndmask_b32_e32 v91, v47, v1, vcc
	v_cndmask_b32_e32 v90, v46, v46, vcc
	v_xor_b32_e32 v1, 0x80000000, v49
	v_cmp_gt_f64_e32 vcc, 0, v[48:49]
	v_cndmask_b32_e32 v89, v49, v1, vcc
	v_cndmask_b32_e32 v88, v48, v48, vcc
	v_cmp_ge_f64_e64 s[10:11], v[90:91], v[88:89]
	s_and_b64 vcc, exec, s[26:27]
	s_cbranch_vccz .LBB117_30
; %bb.21:                               ;   in Loop: Header=BB117_4 Depth=1
                                        ; implicit-def: $vgpr86_vgpr87
                                        ; implicit-def: $vgpr92_vgpr93
	s_and_saveexec_b64 s[12:13], s[10:11]
	s_xor_b64 s[14:15], exec, s[12:13]
	s_cbranch_execz .LBB117_27
; %bb.22:                               ;   in Loop: Header=BB117_4 Depth=1
	v_cmp_neq_f64_e32 vcc, 0, v[46:47]
	v_cmp_neq_f64_e64 s[12:13], 0, v[48:49]
	s_or_b64 s[12:13], s[12:13], vcc
                                        ; implicit-def: $vgpr86_vgpr87
                                        ; implicit-def: $vgpr92_vgpr93
	s_and_saveexec_b64 s[34:35], s[12:13]
	s_xor_b64 s[12:13], exec, s[34:35]
	s_cbranch_execz .LBB117_24
; %bb.23:                               ;   in Loop: Header=BB117_4 Depth=1
	v_div_scale_f64 v[84:85], s[34:35], v[46:47], v[46:47], v[48:49]
	v_rcp_f64_e32 v[86:87], v[84:85]
	v_div_scale_f64 v[92:93], vcc, v[48:49], v[46:47], v[48:49]
	v_fma_f64 v[94:95], -v[84:85], v[86:87], 1.0
	v_fmac_f64_e32 v[86:87], v[86:87], v[94:95]
	v_fma_f64 v[94:95], -v[84:85], v[86:87], 1.0
	v_fmac_f64_e32 v[86:87], v[86:87], v[94:95]
	v_mul_f64 v[94:95], v[92:93], v[86:87]
	v_fma_f64 v[84:85], -v[84:85], v[94:95], v[92:93]
	v_div_fmas_f64 v[84:85], v[84:85], v[86:87], v[94:95]
	v_div_fixup_f64 v[84:85], v[84:85], v[46:47], v[48:49]
	v_fma_f64 v[86:87], v[48:49], v[84:85], v[46:47]
	v_div_scale_f64 v[92:93], s[34:35], v[86:87], v[86:87], 1.0
	v_rcp_f64_e32 v[94:95], v[92:93]
	v_fma_f64 v[96:97], -v[92:93], v[94:95], 1.0
	v_fmac_f64_e32 v[94:95], v[94:95], v[96:97]
	v_fma_f64 v[96:97], -v[92:93], v[94:95], 1.0
	v_fmac_f64_e32 v[94:95], v[94:95], v[96:97]
	v_div_scale_f64 v[96:97], vcc, 1.0, v[86:87], 1.0
	v_mul_f64 v[98:99], v[96:97], v[94:95]
	v_fma_f64 v[92:93], -v[92:93], v[98:99], v[96:97]
	s_nop 1
	v_div_fmas_f64 v[92:93], v[92:93], v[94:95], v[98:99]
	v_div_fixup_f64 v[86:87], v[92:93], v[86:87], 1.0
	v_fma_f64 v[92:93], v[44:45], v[84:85], v[42:43]
	v_fma_f64 v[84:85], -v[42:43], v[84:85], v[44:45]
	v_mul_f64 v[92:93], v[92:93], v[86:87]
	v_mul_f64 v[86:87], v[84:85], v[86:87]
.LBB117_24:                             ;   in Loop: Header=BB117_4 Depth=1
	s_andn2_saveexec_b64 s[12:13], s[12:13]
	s_cbranch_execz .LBB117_26
; %bb.25:                               ;   in Loop: Header=BB117_4 Depth=1
	v_div_scale_f64 v[84:85], s[34:35], v[90:91], v[90:91], v[42:43]
	v_rcp_f64_e32 v[86:87], v[84:85]
	v_div_scale_f64 v[96:97], s[34:35], v[88:89], v[88:89], v[44:45]
	v_div_scale_f64 v[92:93], vcc, v[42:43], v[90:91], v[42:43]
	v_fma_f64 v[94:95], -v[84:85], v[86:87], 1.0
	v_fmac_f64_e32 v[86:87], v[86:87], v[94:95]
	v_fma_f64 v[94:95], -v[84:85], v[86:87], 1.0
	v_fmac_f64_e32 v[86:87], v[86:87], v[94:95]
	v_rcp_f64_e32 v[98:99], v[96:97]
	v_mul_f64 v[94:95], v[92:93], v[86:87]
	v_fma_f64 v[84:85], -v[84:85], v[94:95], v[92:93]
	v_div_fmas_f64 v[84:85], v[84:85], v[86:87], v[94:95]
	v_div_fixup_f64 v[92:93], v[84:85], v[90:91], v[42:43]
	v_fma_f64 v[84:85], -v[96:97], v[98:99], 1.0
	v_fmac_f64_e32 v[98:99], v[98:99], v[84:85]
	v_fma_f64 v[84:85], -v[96:97], v[98:99], 1.0
	v_fmac_f64_e32 v[98:99], v[98:99], v[84:85]
	v_div_scale_f64 v[84:85], vcc, v[44:45], v[88:89], v[44:45]
	v_mul_f64 v[86:87], v[84:85], v[98:99]
	v_fma_f64 v[84:85], -v[96:97], v[86:87], v[84:85]
	s_nop 1
	v_div_fmas_f64 v[84:85], v[84:85], v[98:99], v[86:87]
	v_div_fixup_f64 v[86:87], v[84:85], v[88:89], v[44:45]
.LBB117_26:                             ;   in Loop: Header=BB117_4 Depth=1
	s_or_b64 exec, exec, s[12:13]
.LBB117_27:                             ;   in Loop: Header=BB117_4 Depth=1
	s_andn2_saveexec_b64 s[12:13], s[14:15]
	s_cbranch_execz .LBB117_29
; %bb.28:                               ;   in Loop: Header=BB117_4 Depth=1
	v_div_scale_f64 v[84:85], s[14:15], v[48:49], v[48:49], v[46:47]
	v_rcp_f64_e32 v[86:87], v[84:85]
	v_div_scale_f64 v[92:93], vcc, v[46:47], v[48:49], v[46:47]
	v_fma_f64 v[94:95], -v[84:85], v[86:87], 1.0
	v_fmac_f64_e32 v[86:87], v[86:87], v[94:95]
	v_fma_f64 v[94:95], -v[84:85], v[86:87], 1.0
	v_fmac_f64_e32 v[86:87], v[86:87], v[94:95]
	v_mul_f64 v[94:95], v[92:93], v[86:87]
	v_fma_f64 v[84:85], -v[84:85], v[94:95], v[92:93]
	v_div_fmas_f64 v[84:85], v[84:85], v[86:87], v[94:95]
	v_div_fixup_f64 v[84:85], v[84:85], v[48:49], v[46:47]
	v_fma_f64 v[86:87], v[46:47], v[84:85], v[48:49]
	v_div_scale_f64 v[92:93], s[14:15], v[86:87], v[86:87], 1.0
	v_rcp_f64_e32 v[94:95], v[92:93]
	v_fma_f64 v[96:97], -v[92:93], v[94:95], 1.0
	v_fmac_f64_e32 v[94:95], v[94:95], v[96:97]
	v_fma_f64 v[96:97], -v[92:93], v[94:95], 1.0
	v_fmac_f64_e32 v[94:95], v[94:95], v[96:97]
	v_div_scale_f64 v[96:97], vcc, 1.0, v[86:87], 1.0
	v_mul_f64 v[98:99], v[96:97], v[94:95]
	v_fma_f64 v[92:93], -v[92:93], v[98:99], v[96:97]
	s_nop 1
	v_div_fmas_f64 v[92:93], v[92:93], v[94:95], v[98:99]
	v_div_fixup_f64 v[86:87], v[92:93], v[86:87], 1.0
	v_fma_f64 v[92:93], v[42:43], v[84:85], v[44:45]
	v_fma_f64 v[84:85], v[44:45], v[84:85], -v[42:43]
	v_mul_f64 v[92:93], v[92:93], v[86:87]
	v_mul_f64 v[86:87], v[84:85], v[86:87]
.LBB117_29:                             ;   in Loop: Header=BB117_4 Depth=1
	s_or_b64 exec, exec, s[12:13]
	v_mul_f64 v[84:85], s[18:19], v[86:87]
	v_mul_f64 v[86:87], s[16:17], v[86:87]
	v_fma_f64 v[84:85], s[16:17], v[92:93], -v[84:85]
	v_fmac_f64_e32 v[86:87], s[18:19], v[92:93]
	s_branch .LBB117_40
.LBB117_30:                             ;   in Loop: Header=BB117_4 Depth=1
                                        ; implicit-def: $vgpr86_vgpr87
                                        ; implicit-def: $vgpr84_vgpr85
	s_cbranch_execz .LBB117_40
; %bb.31:                               ;   in Loop: Header=BB117_4 Depth=1
                                        ; implicit-def: $vgpr86_vgpr87
                                        ; implicit-def: $vgpr84_vgpr85
	s_and_saveexec_b64 s[12:13], s[10:11]
	s_xor_b64 s[12:13], exec, s[12:13]
	s_cbranch_execz .LBB117_37
; %bb.32:                               ;   in Loop: Header=BB117_4 Depth=1
	v_cmp_neq_f64_e32 vcc, 0, v[46:47]
	v_cmp_neq_f64_e64 s[10:11], 0, v[48:49]
	s_or_b64 s[10:11], s[10:11], vcc
                                        ; implicit-def: $vgpr86_vgpr87
                                        ; implicit-def: $vgpr84_vgpr85
	s_and_saveexec_b64 s[14:15], s[10:11]
	s_xor_b64 s[10:11], exec, s[14:15]
	s_cbranch_execz .LBB117_34
; %bb.33:                               ;   in Loop: Header=BB117_4 Depth=1
	v_div_scale_f64 v[84:85], s[14:15], v[46:47], v[46:47], v[48:49]
	v_rcp_f64_e32 v[86:87], v[84:85]
	v_div_scale_f64 v[88:89], vcc, v[48:49], v[46:47], v[48:49]
	v_fma_f64 v[90:91], -v[84:85], v[86:87], 1.0
	v_fmac_f64_e32 v[86:87], v[86:87], v[90:91]
	v_fma_f64 v[90:91], -v[84:85], v[86:87], 1.0
	v_fmac_f64_e32 v[86:87], v[86:87], v[90:91]
	v_mul_f64 v[90:91], v[88:89], v[86:87]
	v_fma_f64 v[84:85], -v[84:85], v[90:91], v[88:89]
	v_div_fmas_f64 v[84:85], v[84:85], v[86:87], v[90:91]
	v_div_fixup_f64 v[86:87], v[84:85], v[46:47], v[48:49]
	v_fmac_f64_e32 v[46:47], v[48:49], v[86:87]
	v_div_scale_f64 v[48:49], s[14:15], v[46:47], v[46:47], 1.0
	v_rcp_f64_e32 v[84:85], v[48:49]
	v_fma_f64 v[88:89], -v[48:49], v[84:85], 1.0
	v_fmac_f64_e32 v[84:85], v[84:85], v[88:89]
	v_fma_f64 v[88:89], -v[48:49], v[84:85], 1.0
	v_fmac_f64_e32 v[84:85], v[84:85], v[88:89]
	v_div_scale_f64 v[88:89], vcc, 1.0, v[46:47], 1.0
	v_mul_f64 v[90:91], v[88:89], v[84:85]
	v_fma_f64 v[48:49], -v[48:49], v[90:91], v[88:89]
                                        ; implicit-def: $vgpr88_vgpr89
	s_nop 1
	v_div_fmas_f64 v[48:49], v[48:49], v[84:85], v[90:91]
	v_div_fixup_f64 v[46:47], v[48:49], v[46:47], 1.0
	v_fma_f64 v[48:49], v[44:45], v[86:87], v[42:43]
	v_fma_f64 v[42:43], -v[42:43], v[86:87], v[44:45]
	v_mul_f64 v[84:85], v[48:49], v[46:47]
	v_mul_f64 v[86:87], v[42:43], v[46:47]
                                        ; implicit-def: $vgpr90_vgpr91
                                        ; implicit-def: $vgpr42_vgpr43
.LBB117_34:                             ;   in Loop: Header=BB117_4 Depth=1
	s_andn2_saveexec_b64 s[10:11], s[10:11]
	s_cbranch_execz .LBB117_36
; %bb.35:                               ;   in Loop: Header=BB117_4 Depth=1
	v_div_scale_f64 v[46:47], s[14:15], v[90:91], v[90:91], v[42:43]
	v_rcp_f64_e32 v[48:49], v[46:47]
	v_div_scale_f64 v[92:93], s[14:15], v[88:89], v[88:89], v[44:45]
	v_div_scale_f64 v[84:85], vcc, v[42:43], v[90:91], v[42:43]
	v_fma_f64 v[86:87], -v[46:47], v[48:49], 1.0
	v_fmac_f64_e32 v[48:49], v[48:49], v[86:87]
	v_fma_f64 v[86:87], -v[46:47], v[48:49], 1.0
	v_fmac_f64_e32 v[48:49], v[48:49], v[86:87]
	v_rcp_f64_e32 v[94:95], v[92:93]
	v_mul_f64 v[86:87], v[84:85], v[48:49]
	v_fma_f64 v[46:47], -v[46:47], v[86:87], v[84:85]
	v_div_fmas_f64 v[46:47], v[46:47], v[48:49], v[86:87]
	v_div_fixup_f64 v[84:85], v[46:47], v[90:91], v[42:43]
	v_fma_f64 v[42:43], -v[92:93], v[94:95], 1.0
	v_fmac_f64_e32 v[94:95], v[94:95], v[42:43]
	v_fma_f64 v[42:43], -v[92:93], v[94:95], 1.0
	v_fmac_f64_e32 v[94:95], v[94:95], v[42:43]
	v_div_scale_f64 v[42:43], vcc, v[44:45], v[88:89], v[44:45]
	v_mul_f64 v[46:47], v[42:43], v[94:95]
	v_fma_f64 v[42:43], -v[92:93], v[46:47], v[42:43]
	s_nop 1
	v_div_fmas_f64 v[42:43], v[42:43], v[94:95], v[46:47]
	v_div_fixup_f64 v[86:87], v[42:43], v[88:89], v[44:45]
.LBB117_36:                             ;   in Loop: Header=BB117_4 Depth=1
	s_or_b64 exec, exec, s[10:11]
                                        ; implicit-def: $vgpr48_vgpr49
                                        ; implicit-def: $vgpr42_vgpr43
.LBB117_37:                             ;   in Loop: Header=BB117_4 Depth=1
	s_andn2_saveexec_b64 s[10:11], s[12:13]
	s_cbranch_execz .LBB117_39
; %bb.38:                               ;   in Loop: Header=BB117_4 Depth=1
	v_div_scale_f64 v[84:85], s[12:13], v[48:49], v[48:49], v[46:47]
	v_rcp_f64_e32 v[86:87], v[84:85]
	v_div_scale_f64 v[88:89], vcc, v[46:47], v[48:49], v[46:47]
	v_fma_f64 v[90:91], -v[84:85], v[86:87], 1.0
	v_fmac_f64_e32 v[86:87], v[86:87], v[90:91]
	v_fma_f64 v[90:91], -v[84:85], v[86:87], 1.0
	v_fmac_f64_e32 v[86:87], v[86:87], v[90:91]
	v_mul_f64 v[90:91], v[88:89], v[86:87]
	v_fma_f64 v[84:85], -v[84:85], v[90:91], v[88:89]
	v_div_fmas_f64 v[84:85], v[84:85], v[86:87], v[90:91]
	v_div_fixup_f64 v[86:87], v[84:85], v[48:49], v[46:47]
	v_fmac_f64_e32 v[48:49], v[46:47], v[86:87]
	v_div_scale_f64 v[46:47], s[12:13], v[48:49], v[48:49], 1.0
	v_rcp_f64_e32 v[84:85], v[46:47]
	v_fma_f64 v[88:89], -v[46:47], v[84:85], 1.0
	v_fmac_f64_e32 v[84:85], v[84:85], v[88:89]
	v_fma_f64 v[88:89], -v[46:47], v[84:85], 1.0
	v_fmac_f64_e32 v[84:85], v[84:85], v[88:89]
	v_div_scale_f64 v[88:89], vcc, 1.0, v[48:49], 1.0
	v_mul_f64 v[90:91], v[88:89], v[84:85]
	v_fma_f64 v[46:47], -v[46:47], v[90:91], v[88:89]
	s_nop 1
	v_div_fmas_f64 v[46:47], v[46:47], v[84:85], v[90:91]
	v_div_fixup_f64 v[46:47], v[46:47], v[48:49], 1.0
	v_fma_f64 v[48:49], v[42:43], v[86:87], v[44:45]
	v_fma_f64 v[42:43], v[44:45], v[86:87], -v[42:43]
	v_mul_f64 v[84:85], v[48:49], v[46:47]
	v_mul_f64 v[86:87], v[42:43], v[46:47]
.LBB117_39:                             ;   in Loop: Header=BB117_4 Depth=1
	s_or_b64 exec, exec, s[10:11]
.LBB117_40:                             ;   in Loop: Header=BB117_4 Depth=1
	v_xor_b32_e32 v1, 0x80000000, v39
	v_cmp_gt_f64_e32 vcc, 0, v[38:39]
	v_cndmask_b32_e32 v49, v39, v1, vcc
	v_cndmask_b32_e32 v48, v38, v38, vcc
	v_xor_b32_e32 v1, 0x80000000, v41
	v_cmp_gt_f64_e32 vcc, 0, v[40:41]
	v_cndmask_b32_e32 v47, v41, v1, vcc
	v_cndmask_b32_e32 v46, v40, v40, vcc
	v_cndmask_b32_e64 v1, 0, 1, s[26:27]
	v_cmp_ne_u32_e64 s[10:11], 1, v1
	s_andn2_b64 vcc, exec, s[26:27]
	v_cmp_ge_f64_e64 s[12:13], v[48:49], v[46:47]
	s_cbranch_vccnz .LBB117_50
; %bb.41:                               ;   in Loop: Header=BB117_4 Depth=1
                                        ; implicit-def: $vgpr44_vgpr45
                                        ; implicit-def: $vgpr88_vgpr89
	s_and_saveexec_b64 s[14:15], s[12:13]
	s_xor_b64 s[34:35], exec, s[14:15]
	s_cbranch_execz .LBB117_47
; %bb.42:                               ;   in Loop: Header=BB117_4 Depth=1
	v_cmp_neq_f64_e32 vcc, 0, v[38:39]
	v_cmp_neq_f64_e64 s[14:15], 0, v[40:41]
	s_or_b64 s[14:15], s[14:15], vcc
                                        ; implicit-def: $vgpr44_vgpr45
                                        ; implicit-def: $vgpr88_vgpr89
	s_and_saveexec_b64 s[52:53], s[14:15]
	s_xor_b64 s[14:15], exec, s[52:53]
	s_cbranch_execz .LBB117_44
; %bb.43:                               ;   in Loop: Header=BB117_4 Depth=1
	v_div_scale_f64 v[42:43], s[52:53], v[38:39], v[38:39], v[40:41]
	v_rcp_f64_e32 v[44:45], v[42:43]
	v_div_scale_f64 v[88:89], vcc, v[40:41], v[38:39], v[40:41]
	v_fma_f64 v[90:91], -v[42:43], v[44:45], 1.0
	v_fmac_f64_e32 v[44:45], v[44:45], v[90:91]
	v_fma_f64 v[90:91], -v[42:43], v[44:45], 1.0
	v_fmac_f64_e32 v[44:45], v[44:45], v[90:91]
	v_mul_f64 v[90:91], v[88:89], v[44:45]
	v_fma_f64 v[42:43], -v[42:43], v[90:91], v[88:89]
	v_div_fmas_f64 v[42:43], v[42:43], v[44:45], v[90:91]
	v_div_fixup_f64 v[42:43], v[42:43], v[38:39], v[40:41]
	v_fma_f64 v[44:45], v[40:41], v[42:43], v[38:39]
	v_div_scale_f64 v[88:89], s[52:53], v[44:45], v[44:45], 1.0
	v_rcp_f64_e32 v[90:91], v[88:89]
	v_fma_f64 v[92:93], -v[88:89], v[90:91], 1.0
	v_fmac_f64_e32 v[90:91], v[90:91], v[92:93]
	v_fma_f64 v[92:93], -v[88:89], v[90:91], 1.0
	v_fmac_f64_e32 v[90:91], v[90:91], v[92:93]
	v_div_scale_f64 v[92:93], vcc, 1.0, v[44:45], 1.0
	v_mul_f64 v[94:95], v[92:93], v[90:91]
	v_fma_f64 v[88:89], -v[88:89], v[94:95], v[92:93]
	s_nop 1
	v_div_fmas_f64 v[88:89], v[88:89], v[90:91], v[94:95]
	v_div_fixup_f64 v[44:45], v[88:89], v[44:45], 1.0
	v_fma_f64 v[88:89], v[36:37], v[42:43], v[34:35]
	v_fma_f64 v[42:43], -v[34:35], v[42:43], v[36:37]
	v_mul_f64 v[88:89], v[88:89], v[44:45]
	v_mul_f64 v[44:45], v[42:43], v[44:45]
.LBB117_44:                             ;   in Loop: Header=BB117_4 Depth=1
	s_andn2_saveexec_b64 s[14:15], s[14:15]
	s_cbranch_execz .LBB117_46
; %bb.45:                               ;   in Loop: Header=BB117_4 Depth=1
	v_div_scale_f64 v[42:43], s[52:53], v[48:49], v[48:49], v[34:35]
	v_rcp_f64_e32 v[44:45], v[42:43]
	v_div_scale_f64 v[92:93], s[52:53], v[46:47], v[46:47], v[36:37]
	v_div_scale_f64 v[88:89], vcc, v[34:35], v[48:49], v[34:35]
	v_fma_f64 v[90:91], -v[42:43], v[44:45], 1.0
	v_fmac_f64_e32 v[44:45], v[44:45], v[90:91]
	v_fma_f64 v[90:91], -v[42:43], v[44:45], 1.0
	v_fmac_f64_e32 v[44:45], v[44:45], v[90:91]
	v_rcp_f64_e32 v[94:95], v[92:93]
	v_mul_f64 v[90:91], v[88:89], v[44:45]
	v_fma_f64 v[42:43], -v[42:43], v[90:91], v[88:89]
	v_div_fmas_f64 v[42:43], v[42:43], v[44:45], v[90:91]
	v_div_fixup_f64 v[88:89], v[42:43], v[48:49], v[34:35]
	v_fma_f64 v[42:43], -v[92:93], v[94:95], 1.0
	v_fmac_f64_e32 v[94:95], v[94:95], v[42:43]
	v_fma_f64 v[42:43], -v[92:93], v[94:95], 1.0
	v_fmac_f64_e32 v[94:95], v[94:95], v[42:43]
	v_div_scale_f64 v[42:43], vcc, v[36:37], v[46:47], v[36:37]
	v_mul_f64 v[44:45], v[42:43], v[94:95]
	v_fma_f64 v[42:43], -v[92:93], v[44:45], v[42:43]
	s_nop 1
	v_div_fmas_f64 v[42:43], v[42:43], v[94:95], v[44:45]
	v_div_fixup_f64 v[44:45], v[42:43], v[46:47], v[36:37]
.LBB117_46:                             ;   in Loop: Header=BB117_4 Depth=1
	s_or_b64 exec, exec, s[14:15]
.LBB117_47:                             ;   in Loop: Header=BB117_4 Depth=1
	s_andn2_saveexec_b64 s[14:15], s[34:35]
	s_cbranch_execz .LBB117_49
; %bb.48:                               ;   in Loop: Header=BB117_4 Depth=1
	v_div_scale_f64 v[42:43], s[34:35], v[40:41], v[40:41], v[38:39]
	v_rcp_f64_e32 v[44:45], v[42:43]
	v_div_scale_f64 v[88:89], vcc, v[38:39], v[40:41], v[38:39]
	v_fma_f64 v[90:91], -v[42:43], v[44:45], 1.0
	v_fmac_f64_e32 v[44:45], v[44:45], v[90:91]
	v_fma_f64 v[90:91], -v[42:43], v[44:45], 1.0
	v_fmac_f64_e32 v[44:45], v[44:45], v[90:91]
	v_mul_f64 v[90:91], v[88:89], v[44:45]
	v_fma_f64 v[42:43], -v[42:43], v[90:91], v[88:89]
	v_div_fmas_f64 v[42:43], v[42:43], v[44:45], v[90:91]
	v_div_fixup_f64 v[42:43], v[42:43], v[40:41], v[38:39]
	v_fma_f64 v[44:45], v[38:39], v[42:43], v[40:41]
	v_div_scale_f64 v[88:89], s[34:35], v[44:45], v[44:45], 1.0
	v_rcp_f64_e32 v[90:91], v[88:89]
	v_fma_f64 v[92:93], -v[88:89], v[90:91], 1.0
	v_fmac_f64_e32 v[90:91], v[90:91], v[92:93]
	v_fma_f64 v[92:93], -v[88:89], v[90:91], 1.0
	v_fmac_f64_e32 v[90:91], v[90:91], v[92:93]
	v_div_scale_f64 v[92:93], vcc, 1.0, v[44:45], 1.0
	v_mul_f64 v[94:95], v[92:93], v[90:91]
	v_fma_f64 v[88:89], -v[88:89], v[94:95], v[92:93]
	s_nop 1
	v_div_fmas_f64 v[88:89], v[88:89], v[90:91], v[94:95]
	v_div_fixup_f64 v[44:45], v[88:89], v[44:45], 1.0
	v_fma_f64 v[88:89], v[34:35], v[42:43], v[36:37]
	v_fma_f64 v[42:43], v[36:37], v[42:43], -v[34:35]
	v_mul_f64 v[88:89], v[88:89], v[44:45]
	v_mul_f64 v[44:45], v[42:43], v[44:45]
.LBB117_49:                             ;   in Loop: Header=BB117_4 Depth=1
	s_or_b64 exec, exec, s[14:15]
	v_mul_f64 v[42:43], s[18:19], v[44:45]
	v_mul_f64 v[44:45], s[16:17], v[44:45]
	v_fma_f64 v[42:43], s[16:17], v[88:89], -v[42:43]
	v_fmac_f64_e32 v[44:45], s[18:19], v[88:89]
	s_branch .LBB117_60
.LBB117_50:                             ;   in Loop: Header=BB117_4 Depth=1
                                        ; implicit-def: $vgpr44_vgpr45
                                        ; implicit-def: $vgpr42_vgpr43
	s_cbranch_execz .LBB117_60
; %bb.51:                               ;   in Loop: Header=BB117_4 Depth=1
                                        ; implicit-def: $vgpr44_vgpr45
                                        ; implicit-def: $vgpr42_vgpr43
	s_and_saveexec_b64 s[14:15], s[12:13]
	s_xor_b64 s[14:15], exec, s[14:15]
	s_cbranch_execz .LBB117_57
; %bb.52:                               ;   in Loop: Header=BB117_4 Depth=1
	v_cmp_neq_f64_e32 vcc, 0, v[38:39]
	v_cmp_neq_f64_e64 s[12:13], 0, v[40:41]
	s_or_b64 s[12:13], s[12:13], vcc
                                        ; implicit-def: $vgpr44_vgpr45
                                        ; implicit-def: $vgpr42_vgpr43
	s_and_saveexec_b64 s[34:35], s[12:13]
	s_xor_b64 s[12:13], exec, s[34:35]
	s_cbranch_execz .LBB117_54
; %bb.53:                               ;   in Loop: Header=BB117_4 Depth=1
	v_div_scale_f64 v[42:43], s[34:35], v[38:39], v[38:39], v[40:41]
	v_rcp_f64_e32 v[44:45], v[42:43]
	v_div_scale_f64 v[46:47], vcc, v[40:41], v[38:39], v[40:41]
	v_fma_f64 v[48:49], -v[42:43], v[44:45], 1.0
	v_fmac_f64_e32 v[44:45], v[44:45], v[48:49]
	v_fma_f64 v[48:49], -v[42:43], v[44:45], 1.0
	v_fmac_f64_e32 v[44:45], v[44:45], v[48:49]
	v_mul_f64 v[48:49], v[46:47], v[44:45]
	v_fma_f64 v[42:43], -v[42:43], v[48:49], v[46:47]
	v_div_fmas_f64 v[42:43], v[42:43], v[44:45], v[48:49]
	v_div_fixup_f64 v[44:45], v[42:43], v[38:39], v[40:41]
	v_fmac_f64_e32 v[38:39], v[40:41], v[44:45]
	v_div_scale_f64 v[40:41], s[34:35], v[38:39], v[38:39], 1.0
	v_rcp_f64_e32 v[42:43], v[40:41]
	v_fma_f64 v[46:47], -v[40:41], v[42:43], 1.0
	v_fmac_f64_e32 v[42:43], v[42:43], v[46:47]
	v_fma_f64 v[46:47], -v[40:41], v[42:43], 1.0
	v_fmac_f64_e32 v[42:43], v[42:43], v[46:47]
	v_div_scale_f64 v[46:47], vcc, 1.0, v[38:39], 1.0
	v_mul_f64 v[48:49], v[46:47], v[42:43]
	v_fma_f64 v[40:41], -v[40:41], v[48:49], v[46:47]
                                        ; implicit-def: $vgpr46_vgpr47
	s_nop 1
	v_div_fmas_f64 v[40:41], v[40:41], v[42:43], v[48:49]
	v_div_fixup_f64 v[38:39], v[40:41], v[38:39], 1.0
	v_fma_f64 v[40:41], v[36:37], v[44:45], v[34:35]
	v_fma_f64 v[34:35], -v[34:35], v[44:45], v[36:37]
	v_mul_f64 v[42:43], v[40:41], v[38:39]
	v_mul_f64 v[44:45], v[34:35], v[38:39]
                                        ; implicit-def: $vgpr48_vgpr49
                                        ; implicit-def: $vgpr34_vgpr35
.LBB117_54:                             ;   in Loop: Header=BB117_4 Depth=1
	s_andn2_saveexec_b64 s[12:13], s[12:13]
	s_cbranch_execz .LBB117_56
; %bb.55:                               ;   in Loop: Header=BB117_4 Depth=1
	v_div_scale_f64 v[38:39], s[34:35], v[48:49], v[48:49], v[34:35]
	v_rcp_f64_e32 v[40:41], v[38:39]
	v_div_scale_f64 v[88:89], s[34:35], v[46:47], v[46:47], v[36:37]
	v_div_scale_f64 v[42:43], vcc, v[34:35], v[48:49], v[34:35]
	v_fma_f64 v[44:45], -v[38:39], v[40:41], 1.0
	v_fmac_f64_e32 v[40:41], v[40:41], v[44:45]
	v_fma_f64 v[44:45], -v[38:39], v[40:41], 1.0
	v_fmac_f64_e32 v[40:41], v[40:41], v[44:45]
	v_rcp_f64_e32 v[90:91], v[88:89]
	v_mul_f64 v[44:45], v[42:43], v[40:41]
	v_fma_f64 v[38:39], -v[38:39], v[44:45], v[42:43]
	v_div_fmas_f64 v[38:39], v[38:39], v[40:41], v[44:45]
	v_div_fixup_f64 v[42:43], v[38:39], v[48:49], v[34:35]
	v_fma_f64 v[34:35], -v[88:89], v[90:91], 1.0
	v_fmac_f64_e32 v[90:91], v[90:91], v[34:35]
	v_fma_f64 v[34:35], -v[88:89], v[90:91], 1.0
	v_fmac_f64_e32 v[90:91], v[90:91], v[34:35]
	v_div_scale_f64 v[34:35], vcc, v[36:37], v[46:47], v[36:37]
	v_mul_f64 v[38:39], v[34:35], v[90:91]
	v_fma_f64 v[34:35], -v[88:89], v[38:39], v[34:35]
	s_nop 1
	v_div_fmas_f64 v[34:35], v[34:35], v[90:91], v[38:39]
	v_div_fixup_f64 v[44:45], v[34:35], v[46:47], v[36:37]
.LBB117_56:                             ;   in Loop: Header=BB117_4 Depth=1
	s_or_b64 exec, exec, s[12:13]
                                        ; implicit-def: $vgpr40_vgpr41
                                        ; implicit-def: $vgpr34_vgpr35
.LBB117_57:                             ;   in Loop: Header=BB117_4 Depth=1
	s_andn2_saveexec_b64 s[12:13], s[14:15]
	s_cbranch_execz .LBB117_59
; %bb.58:                               ;   in Loop: Header=BB117_4 Depth=1
	v_div_scale_f64 v[42:43], s[14:15], v[40:41], v[40:41], v[38:39]
	v_rcp_f64_e32 v[44:45], v[42:43]
	v_div_scale_f64 v[46:47], vcc, v[38:39], v[40:41], v[38:39]
	v_fma_f64 v[48:49], -v[42:43], v[44:45], 1.0
	v_fmac_f64_e32 v[44:45], v[44:45], v[48:49]
	v_fma_f64 v[48:49], -v[42:43], v[44:45], 1.0
	v_fmac_f64_e32 v[44:45], v[44:45], v[48:49]
	v_mul_f64 v[48:49], v[46:47], v[44:45]
	v_fma_f64 v[42:43], -v[42:43], v[48:49], v[46:47]
	v_div_fmas_f64 v[42:43], v[42:43], v[44:45], v[48:49]
	v_div_fixup_f64 v[44:45], v[42:43], v[40:41], v[38:39]
	v_fmac_f64_e32 v[40:41], v[38:39], v[44:45]
	v_div_scale_f64 v[38:39], s[14:15], v[40:41], v[40:41], 1.0
	v_rcp_f64_e32 v[42:43], v[38:39]
	v_fma_f64 v[46:47], -v[38:39], v[42:43], 1.0
	v_fmac_f64_e32 v[42:43], v[42:43], v[46:47]
	v_fma_f64 v[46:47], -v[38:39], v[42:43], 1.0
	v_fmac_f64_e32 v[42:43], v[42:43], v[46:47]
	v_div_scale_f64 v[46:47], vcc, 1.0, v[40:41], 1.0
	v_mul_f64 v[48:49], v[46:47], v[42:43]
	v_fma_f64 v[38:39], -v[38:39], v[48:49], v[46:47]
	s_nop 1
	v_div_fmas_f64 v[38:39], v[38:39], v[42:43], v[48:49]
	v_div_fixup_f64 v[38:39], v[38:39], v[40:41], 1.0
	v_fma_f64 v[40:41], v[34:35], v[44:45], v[36:37]
	v_fma_f64 v[34:35], v[36:37], v[44:45], -v[34:35]
	v_mul_f64 v[42:43], v[40:41], v[38:39]
	v_mul_f64 v[44:45], v[34:35], v[38:39]
.LBB117_59:                             ;   in Loop: Header=BB117_4 Depth=1
	s_or_b64 exec, exec, s[12:13]
.LBB117_60:                             ;   in Loop: Header=BB117_4 Depth=1
	v_xor_b32_e32 v1, 0x80000000, v31
	v_cmp_gt_f64_e32 vcc, 0, v[30:31]
	v_cndmask_b32_e32 v41, v31, v1, vcc
	v_cndmask_b32_e32 v40, v30, v30, vcc
	v_xor_b32_e32 v1, 0x80000000, v33
	v_cmp_gt_f64_e32 vcc, 0, v[32:33]
	v_cndmask_b32_e32 v39, v33, v1, vcc
	v_cndmask_b32_e32 v38, v32, v32, vcc
	s_and_b64 vcc, exec, s[10:11]
	v_cmp_ge_f64_e64 s[12:13], v[40:41], v[38:39]
	s_cbranch_vccnz .LBB117_70
; %bb.61:                               ;   in Loop: Header=BB117_4 Depth=1
                                        ; implicit-def: $vgpr36_vgpr37
                                        ; implicit-def: $vgpr46_vgpr47
	s_and_saveexec_b64 s[14:15], s[12:13]
	s_xor_b64 s[34:35], exec, s[14:15]
	s_cbranch_execz .LBB117_67
; %bb.62:                               ;   in Loop: Header=BB117_4 Depth=1
	v_cmp_neq_f64_e32 vcc, 0, v[30:31]
	v_cmp_neq_f64_e64 s[14:15], 0, v[32:33]
	s_or_b64 s[14:15], s[14:15], vcc
                                        ; implicit-def: $vgpr36_vgpr37
                                        ; implicit-def: $vgpr46_vgpr47
	s_and_saveexec_b64 s[52:53], s[14:15]
	s_xor_b64 s[14:15], exec, s[52:53]
	s_cbranch_execz .LBB117_64
; %bb.63:                               ;   in Loop: Header=BB117_4 Depth=1
	v_div_scale_f64 v[34:35], s[52:53], v[30:31], v[30:31], v[32:33]
	v_rcp_f64_e32 v[36:37], v[34:35]
	v_div_scale_f64 v[46:47], vcc, v[32:33], v[30:31], v[32:33]
	v_fma_f64 v[48:49], -v[34:35], v[36:37], 1.0
	v_fmac_f64_e32 v[36:37], v[36:37], v[48:49]
	v_fma_f64 v[48:49], -v[34:35], v[36:37], 1.0
	v_fmac_f64_e32 v[36:37], v[36:37], v[48:49]
	v_mul_f64 v[48:49], v[46:47], v[36:37]
	v_fma_f64 v[34:35], -v[34:35], v[48:49], v[46:47]
	v_div_fmas_f64 v[34:35], v[34:35], v[36:37], v[48:49]
	v_div_fixup_f64 v[34:35], v[34:35], v[30:31], v[32:33]
	v_fma_f64 v[36:37], v[32:33], v[34:35], v[30:31]
	v_div_scale_f64 v[46:47], s[52:53], v[36:37], v[36:37], 1.0
	v_rcp_f64_e32 v[48:49], v[46:47]
	v_fma_f64 v[88:89], -v[46:47], v[48:49], 1.0
	v_fmac_f64_e32 v[48:49], v[48:49], v[88:89]
	v_fma_f64 v[88:89], -v[46:47], v[48:49], 1.0
	v_fmac_f64_e32 v[48:49], v[48:49], v[88:89]
	v_div_scale_f64 v[88:89], vcc, 1.0, v[36:37], 1.0
	v_mul_f64 v[90:91], v[88:89], v[48:49]
	v_fma_f64 v[46:47], -v[46:47], v[90:91], v[88:89]
	s_nop 1
	v_div_fmas_f64 v[46:47], v[46:47], v[48:49], v[90:91]
	v_div_fixup_f64 v[36:37], v[46:47], v[36:37], 1.0
	v_fma_f64 v[46:47], v[28:29], v[34:35], v[26:27]
	v_fma_f64 v[34:35], -v[26:27], v[34:35], v[28:29]
	v_mul_f64 v[46:47], v[46:47], v[36:37]
	v_mul_f64 v[36:37], v[34:35], v[36:37]
.LBB117_64:                             ;   in Loop: Header=BB117_4 Depth=1
	s_andn2_saveexec_b64 s[14:15], s[14:15]
	s_cbranch_execz .LBB117_66
; %bb.65:                               ;   in Loop: Header=BB117_4 Depth=1
	v_div_scale_f64 v[34:35], s[52:53], v[40:41], v[40:41], v[26:27]
	v_rcp_f64_e32 v[36:37], v[34:35]
	v_div_scale_f64 v[88:89], s[52:53], v[38:39], v[38:39], v[28:29]
	v_div_scale_f64 v[46:47], vcc, v[26:27], v[40:41], v[26:27]
	v_fma_f64 v[48:49], -v[34:35], v[36:37], 1.0
	v_fmac_f64_e32 v[36:37], v[36:37], v[48:49]
	v_fma_f64 v[48:49], -v[34:35], v[36:37], 1.0
	v_fmac_f64_e32 v[36:37], v[36:37], v[48:49]
	v_rcp_f64_e32 v[90:91], v[88:89]
	v_mul_f64 v[48:49], v[46:47], v[36:37]
	v_fma_f64 v[34:35], -v[34:35], v[48:49], v[46:47]
	v_div_fmas_f64 v[34:35], v[34:35], v[36:37], v[48:49]
	v_div_fixup_f64 v[46:47], v[34:35], v[40:41], v[26:27]
	v_fma_f64 v[34:35], -v[88:89], v[90:91], 1.0
	v_fmac_f64_e32 v[90:91], v[90:91], v[34:35]
	v_fma_f64 v[34:35], -v[88:89], v[90:91], 1.0
	v_fmac_f64_e32 v[90:91], v[90:91], v[34:35]
	v_div_scale_f64 v[34:35], vcc, v[28:29], v[38:39], v[28:29]
	v_mul_f64 v[36:37], v[34:35], v[90:91]
	v_fma_f64 v[34:35], -v[88:89], v[36:37], v[34:35]
	s_nop 1
	v_div_fmas_f64 v[34:35], v[34:35], v[90:91], v[36:37]
	v_div_fixup_f64 v[36:37], v[34:35], v[38:39], v[28:29]
.LBB117_66:                             ;   in Loop: Header=BB117_4 Depth=1
	s_or_b64 exec, exec, s[14:15]
.LBB117_67:                             ;   in Loop: Header=BB117_4 Depth=1
	s_andn2_saveexec_b64 s[14:15], s[34:35]
	s_cbranch_execz .LBB117_69
; %bb.68:                               ;   in Loop: Header=BB117_4 Depth=1
	v_div_scale_f64 v[34:35], s[34:35], v[32:33], v[32:33], v[30:31]
	v_rcp_f64_e32 v[36:37], v[34:35]
	v_div_scale_f64 v[46:47], vcc, v[30:31], v[32:33], v[30:31]
	v_fma_f64 v[48:49], -v[34:35], v[36:37], 1.0
	v_fmac_f64_e32 v[36:37], v[36:37], v[48:49]
	v_fma_f64 v[48:49], -v[34:35], v[36:37], 1.0
	v_fmac_f64_e32 v[36:37], v[36:37], v[48:49]
	v_mul_f64 v[48:49], v[46:47], v[36:37]
	v_fma_f64 v[34:35], -v[34:35], v[48:49], v[46:47]
	v_div_fmas_f64 v[34:35], v[34:35], v[36:37], v[48:49]
	v_div_fixup_f64 v[34:35], v[34:35], v[32:33], v[30:31]
	v_fma_f64 v[36:37], v[30:31], v[34:35], v[32:33]
	v_div_scale_f64 v[46:47], s[34:35], v[36:37], v[36:37], 1.0
	v_rcp_f64_e32 v[48:49], v[46:47]
	v_fma_f64 v[88:89], -v[46:47], v[48:49], 1.0
	v_fmac_f64_e32 v[48:49], v[48:49], v[88:89]
	v_fma_f64 v[88:89], -v[46:47], v[48:49], 1.0
	v_fmac_f64_e32 v[48:49], v[48:49], v[88:89]
	v_div_scale_f64 v[88:89], vcc, 1.0, v[36:37], 1.0
	v_mul_f64 v[90:91], v[88:89], v[48:49]
	v_fma_f64 v[46:47], -v[46:47], v[90:91], v[88:89]
	s_nop 1
	v_div_fmas_f64 v[46:47], v[46:47], v[48:49], v[90:91]
	v_div_fixup_f64 v[36:37], v[46:47], v[36:37], 1.0
	v_fma_f64 v[46:47], v[26:27], v[34:35], v[28:29]
	v_fma_f64 v[34:35], v[28:29], v[34:35], -v[26:27]
	v_mul_f64 v[46:47], v[46:47], v[36:37]
	v_mul_f64 v[36:37], v[34:35], v[36:37]
.LBB117_69:                             ;   in Loop: Header=BB117_4 Depth=1
	s_or_b64 exec, exec, s[14:15]
	v_mul_f64 v[34:35], s[18:19], v[36:37]
	v_mul_f64 v[36:37], s[16:17], v[36:37]
	v_fma_f64 v[34:35], s[16:17], v[46:47], -v[34:35]
	v_fmac_f64_e32 v[36:37], s[18:19], v[46:47]
	s_branch .LBB117_80
.LBB117_70:                             ;   in Loop: Header=BB117_4 Depth=1
                                        ; implicit-def: $vgpr36_vgpr37
                                        ; implicit-def: $vgpr34_vgpr35
	s_cbranch_execz .LBB117_80
; %bb.71:                               ;   in Loop: Header=BB117_4 Depth=1
                                        ; implicit-def: $vgpr36_vgpr37
                                        ; implicit-def: $vgpr34_vgpr35
	s_and_saveexec_b64 s[14:15], s[12:13]
	s_xor_b64 s[14:15], exec, s[14:15]
	s_cbranch_execz .LBB117_77
; %bb.72:                               ;   in Loop: Header=BB117_4 Depth=1
	v_cmp_neq_f64_e32 vcc, 0, v[30:31]
	v_cmp_neq_f64_e64 s[12:13], 0, v[32:33]
	s_or_b64 s[12:13], s[12:13], vcc
                                        ; implicit-def: $vgpr36_vgpr37
                                        ; implicit-def: $vgpr34_vgpr35
	s_and_saveexec_b64 s[34:35], s[12:13]
	s_xor_b64 s[12:13], exec, s[34:35]
	s_cbranch_execz .LBB117_74
; %bb.73:                               ;   in Loop: Header=BB117_4 Depth=1
	v_div_scale_f64 v[34:35], s[34:35], v[30:31], v[30:31], v[32:33]
	v_rcp_f64_e32 v[36:37], v[34:35]
	v_div_scale_f64 v[38:39], vcc, v[32:33], v[30:31], v[32:33]
	v_fma_f64 v[40:41], -v[34:35], v[36:37], 1.0
	v_fmac_f64_e32 v[36:37], v[36:37], v[40:41]
	v_fma_f64 v[40:41], -v[34:35], v[36:37], 1.0
	v_fmac_f64_e32 v[36:37], v[36:37], v[40:41]
	v_mul_f64 v[40:41], v[38:39], v[36:37]
	v_fma_f64 v[34:35], -v[34:35], v[40:41], v[38:39]
	v_div_fmas_f64 v[34:35], v[34:35], v[36:37], v[40:41]
	v_div_fixup_f64 v[36:37], v[34:35], v[30:31], v[32:33]
	v_fmac_f64_e32 v[30:31], v[32:33], v[36:37]
	v_div_scale_f64 v[32:33], s[34:35], v[30:31], v[30:31], 1.0
	v_rcp_f64_e32 v[34:35], v[32:33]
	v_fma_f64 v[38:39], -v[32:33], v[34:35], 1.0
	v_fmac_f64_e32 v[34:35], v[34:35], v[38:39]
	v_fma_f64 v[38:39], -v[32:33], v[34:35], 1.0
	v_fmac_f64_e32 v[34:35], v[34:35], v[38:39]
	v_div_scale_f64 v[38:39], vcc, 1.0, v[30:31], 1.0
	v_mul_f64 v[40:41], v[38:39], v[34:35]
	v_fma_f64 v[32:33], -v[32:33], v[40:41], v[38:39]
                                        ; implicit-def: $vgpr38_vgpr39
	s_nop 1
	v_div_fmas_f64 v[32:33], v[32:33], v[34:35], v[40:41]
	v_div_fixup_f64 v[30:31], v[32:33], v[30:31], 1.0
	v_fma_f64 v[32:33], v[28:29], v[36:37], v[26:27]
	v_fma_f64 v[26:27], -v[26:27], v[36:37], v[28:29]
	v_mul_f64 v[34:35], v[32:33], v[30:31]
	v_mul_f64 v[36:37], v[26:27], v[30:31]
                                        ; implicit-def: $vgpr40_vgpr41
                                        ; implicit-def: $vgpr26_vgpr27
.LBB117_74:                             ;   in Loop: Header=BB117_4 Depth=1
	s_andn2_saveexec_b64 s[12:13], s[12:13]
	s_cbranch_execz .LBB117_76
; %bb.75:                               ;   in Loop: Header=BB117_4 Depth=1
	v_div_scale_f64 v[30:31], s[34:35], v[40:41], v[40:41], v[26:27]
	v_rcp_f64_e32 v[32:33], v[30:31]
	v_div_scale_f64 v[46:47], s[34:35], v[38:39], v[38:39], v[28:29]
	v_div_scale_f64 v[34:35], vcc, v[26:27], v[40:41], v[26:27]
	v_fma_f64 v[36:37], -v[30:31], v[32:33], 1.0
	v_fmac_f64_e32 v[32:33], v[32:33], v[36:37]
	v_fma_f64 v[36:37], -v[30:31], v[32:33], 1.0
	v_fmac_f64_e32 v[32:33], v[32:33], v[36:37]
	v_rcp_f64_e32 v[48:49], v[46:47]
	v_mul_f64 v[36:37], v[34:35], v[32:33]
	v_fma_f64 v[30:31], -v[30:31], v[36:37], v[34:35]
	v_div_fmas_f64 v[30:31], v[30:31], v[32:33], v[36:37]
	v_div_fixup_f64 v[34:35], v[30:31], v[40:41], v[26:27]
	v_fma_f64 v[26:27], -v[46:47], v[48:49], 1.0
	v_fmac_f64_e32 v[48:49], v[48:49], v[26:27]
	v_fma_f64 v[26:27], -v[46:47], v[48:49], 1.0
	v_fmac_f64_e32 v[48:49], v[48:49], v[26:27]
	v_div_scale_f64 v[26:27], vcc, v[28:29], v[38:39], v[28:29]
	v_mul_f64 v[30:31], v[26:27], v[48:49]
	v_fma_f64 v[26:27], -v[46:47], v[30:31], v[26:27]
	s_nop 1
	v_div_fmas_f64 v[26:27], v[26:27], v[48:49], v[30:31]
	v_div_fixup_f64 v[36:37], v[26:27], v[38:39], v[28:29]
.LBB117_76:                             ;   in Loop: Header=BB117_4 Depth=1
	s_or_b64 exec, exec, s[12:13]
                                        ; implicit-def: $vgpr32_vgpr33
                                        ; implicit-def: $vgpr26_vgpr27
.LBB117_77:                             ;   in Loop: Header=BB117_4 Depth=1
	s_andn2_saveexec_b64 s[12:13], s[14:15]
	s_cbranch_execz .LBB117_79
; %bb.78:                               ;   in Loop: Header=BB117_4 Depth=1
	v_div_scale_f64 v[34:35], s[14:15], v[32:33], v[32:33], v[30:31]
	v_rcp_f64_e32 v[36:37], v[34:35]
	v_div_scale_f64 v[38:39], vcc, v[30:31], v[32:33], v[30:31]
	v_fma_f64 v[40:41], -v[34:35], v[36:37], 1.0
	v_fmac_f64_e32 v[36:37], v[36:37], v[40:41]
	v_fma_f64 v[40:41], -v[34:35], v[36:37], 1.0
	v_fmac_f64_e32 v[36:37], v[36:37], v[40:41]
	v_mul_f64 v[40:41], v[38:39], v[36:37]
	v_fma_f64 v[34:35], -v[34:35], v[40:41], v[38:39]
	v_div_fmas_f64 v[34:35], v[34:35], v[36:37], v[40:41]
	v_div_fixup_f64 v[36:37], v[34:35], v[32:33], v[30:31]
	v_fmac_f64_e32 v[32:33], v[30:31], v[36:37]
	v_div_scale_f64 v[30:31], s[14:15], v[32:33], v[32:33], 1.0
	v_rcp_f64_e32 v[34:35], v[30:31]
	v_fma_f64 v[38:39], -v[30:31], v[34:35], 1.0
	v_fmac_f64_e32 v[34:35], v[34:35], v[38:39]
	v_fma_f64 v[38:39], -v[30:31], v[34:35], 1.0
	v_fmac_f64_e32 v[34:35], v[34:35], v[38:39]
	v_div_scale_f64 v[38:39], vcc, 1.0, v[32:33], 1.0
	v_mul_f64 v[40:41], v[38:39], v[34:35]
	v_fma_f64 v[30:31], -v[30:31], v[40:41], v[38:39]
	s_nop 1
	v_div_fmas_f64 v[30:31], v[30:31], v[34:35], v[40:41]
	v_div_fixup_f64 v[30:31], v[30:31], v[32:33], 1.0
	v_fma_f64 v[32:33], v[26:27], v[36:37], v[28:29]
	v_fma_f64 v[26:27], v[28:29], v[36:37], -v[26:27]
	v_mul_f64 v[34:35], v[32:33], v[30:31]
	v_mul_f64 v[36:37], v[26:27], v[30:31]
.LBB117_79:                             ;   in Loop: Header=BB117_4 Depth=1
	s_or_b64 exec, exec, s[12:13]
.LBB117_80:                             ;   in Loop: Header=BB117_4 Depth=1
	v_xor_b32_e32 v1, 0x80000000, v23
	v_cmp_gt_f64_e32 vcc, 0, v[22:23]
	v_cndmask_b32_e32 v29, v23, v1, vcc
	v_cndmask_b32_e32 v28, v22, v22, vcc
	v_xor_b32_e32 v1, 0x80000000, v25
	v_cmp_gt_f64_e32 vcc, 0, v[24:25]
	v_cndmask_b32_e32 v27, v25, v1, vcc
	v_cndmask_b32_e32 v26, v24, v24, vcc
	s_and_b64 vcc, exec, s[10:11]
	v_cmp_ge_f64_e64 s[10:11], v[28:29], v[26:27]
	s_cbranch_vccnz .LBB117_90
; %bb.81:                               ;   in Loop: Header=BB117_4 Depth=1
                                        ; implicit-def: $vgpr32_vgpr33
                                        ; implicit-def: $vgpr38_vgpr39
	s_and_saveexec_b64 s[12:13], s[10:11]
	s_xor_b64 s[14:15], exec, s[12:13]
	s_cbranch_execz .LBB117_87
; %bb.82:                               ;   in Loop: Header=BB117_4 Depth=1
	v_cmp_neq_f64_e32 vcc, 0, v[22:23]
	v_cmp_neq_f64_e64 s[12:13], 0, v[24:25]
	s_or_b64 s[12:13], s[12:13], vcc
                                        ; implicit-def: $vgpr32_vgpr33
                                        ; implicit-def: $vgpr38_vgpr39
	s_and_saveexec_b64 s[34:35], s[12:13]
	s_xor_b64 s[12:13], exec, s[34:35]
	s_cbranch_execz .LBB117_84
; %bb.83:                               ;   in Loop: Header=BB117_4 Depth=1
	v_div_scale_f64 v[30:31], s[34:35], v[22:23], v[22:23], v[24:25]
	v_rcp_f64_e32 v[32:33], v[30:31]
	v_div_scale_f64 v[38:39], vcc, v[24:25], v[22:23], v[24:25]
	v_fma_f64 v[40:41], -v[30:31], v[32:33], 1.0
	v_fmac_f64_e32 v[32:33], v[32:33], v[40:41]
	v_fma_f64 v[40:41], -v[30:31], v[32:33], 1.0
	v_fmac_f64_e32 v[32:33], v[32:33], v[40:41]
	v_mul_f64 v[40:41], v[38:39], v[32:33]
	v_fma_f64 v[30:31], -v[30:31], v[40:41], v[38:39]
	v_div_fmas_f64 v[30:31], v[30:31], v[32:33], v[40:41]
	v_div_fixup_f64 v[30:31], v[30:31], v[22:23], v[24:25]
	v_fma_f64 v[32:33], v[24:25], v[30:31], v[22:23]
	v_div_scale_f64 v[38:39], s[34:35], v[32:33], v[32:33], 1.0
	v_rcp_f64_e32 v[40:41], v[38:39]
	v_fma_f64 v[46:47], -v[38:39], v[40:41], 1.0
	v_fmac_f64_e32 v[40:41], v[40:41], v[46:47]
	v_fma_f64 v[46:47], -v[38:39], v[40:41], 1.0
	v_fmac_f64_e32 v[40:41], v[40:41], v[46:47]
	v_div_scale_f64 v[46:47], vcc, 1.0, v[32:33], 1.0
	v_mul_f64 v[48:49], v[46:47], v[40:41]
	v_fma_f64 v[38:39], -v[38:39], v[48:49], v[46:47]
	s_nop 1
	v_div_fmas_f64 v[38:39], v[38:39], v[40:41], v[48:49]
	v_div_fixup_f64 v[32:33], v[38:39], v[32:33], 1.0
	v_fma_f64 v[38:39], v[20:21], v[30:31], v[18:19]
	v_fma_f64 v[30:31], -v[18:19], v[30:31], v[20:21]
	v_mul_f64 v[38:39], v[38:39], v[32:33]
	v_mul_f64 v[32:33], v[30:31], v[32:33]
.LBB117_84:                             ;   in Loop: Header=BB117_4 Depth=1
	s_andn2_saveexec_b64 s[12:13], s[12:13]
	s_cbranch_execz .LBB117_86
; %bb.85:                               ;   in Loop: Header=BB117_4 Depth=1
	v_div_scale_f64 v[30:31], s[34:35], v[28:29], v[28:29], v[18:19]
	v_rcp_f64_e32 v[32:33], v[30:31]
	v_div_scale_f64 v[46:47], s[34:35], v[26:27], v[26:27], v[20:21]
	v_div_scale_f64 v[38:39], vcc, v[18:19], v[28:29], v[18:19]
	v_fma_f64 v[40:41], -v[30:31], v[32:33], 1.0
	v_fmac_f64_e32 v[32:33], v[32:33], v[40:41]
	v_fma_f64 v[40:41], -v[30:31], v[32:33], 1.0
	v_fmac_f64_e32 v[32:33], v[32:33], v[40:41]
	v_rcp_f64_e32 v[48:49], v[46:47]
	v_mul_f64 v[40:41], v[38:39], v[32:33]
	v_fma_f64 v[30:31], -v[30:31], v[40:41], v[38:39]
	v_div_fmas_f64 v[30:31], v[30:31], v[32:33], v[40:41]
	v_div_fixup_f64 v[38:39], v[30:31], v[28:29], v[18:19]
	v_fma_f64 v[30:31], -v[46:47], v[48:49], 1.0
	v_fmac_f64_e32 v[48:49], v[48:49], v[30:31]
	v_fma_f64 v[30:31], -v[46:47], v[48:49], 1.0
	v_fmac_f64_e32 v[48:49], v[48:49], v[30:31]
	v_div_scale_f64 v[30:31], vcc, v[20:21], v[26:27], v[20:21]
	v_mul_f64 v[32:33], v[30:31], v[48:49]
	v_fma_f64 v[30:31], -v[46:47], v[32:33], v[30:31]
	s_nop 1
	v_div_fmas_f64 v[30:31], v[30:31], v[48:49], v[32:33]
	v_div_fixup_f64 v[32:33], v[30:31], v[26:27], v[20:21]
.LBB117_86:                             ;   in Loop: Header=BB117_4 Depth=1
	s_or_b64 exec, exec, s[12:13]
.LBB117_87:                             ;   in Loop: Header=BB117_4 Depth=1
	s_andn2_saveexec_b64 s[12:13], s[14:15]
	s_cbranch_execz .LBB117_89
; %bb.88:                               ;   in Loop: Header=BB117_4 Depth=1
	v_div_scale_f64 v[30:31], s[14:15], v[24:25], v[24:25], v[22:23]
	v_rcp_f64_e32 v[32:33], v[30:31]
	v_div_scale_f64 v[38:39], vcc, v[22:23], v[24:25], v[22:23]
	v_fma_f64 v[40:41], -v[30:31], v[32:33], 1.0
	v_fmac_f64_e32 v[32:33], v[32:33], v[40:41]
	v_fma_f64 v[40:41], -v[30:31], v[32:33], 1.0
	v_fmac_f64_e32 v[32:33], v[32:33], v[40:41]
	v_mul_f64 v[40:41], v[38:39], v[32:33]
	v_fma_f64 v[30:31], -v[30:31], v[40:41], v[38:39]
	v_div_fmas_f64 v[30:31], v[30:31], v[32:33], v[40:41]
	v_div_fixup_f64 v[30:31], v[30:31], v[24:25], v[22:23]
	v_fma_f64 v[32:33], v[22:23], v[30:31], v[24:25]
	v_div_scale_f64 v[38:39], s[14:15], v[32:33], v[32:33], 1.0
	v_rcp_f64_e32 v[40:41], v[38:39]
	v_fma_f64 v[46:47], -v[38:39], v[40:41], 1.0
	v_fmac_f64_e32 v[40:41], v[40:41], v[46:47]
	v_fma_f64 v[46:47], -v[38:39], v[40:41], 1.0
	v_fmac_f64_e32 v[40:41], v[40:41], v[46:47]
	v_div_scale_f64 v[46:47], vcc, 1.0, v[32:33], 1.0
	v_mul_f64 v[48:49], v[46:47], v[40:41]
	v_fma_f64 v[38:39], -v[38:39], v[48:49], v[46:47]
	s_nop 1
	v_div_fmas_f64 v[38:39], v[38:39], v[40:41], v[48:49]
	v_div_fixup_f64 v[32:33], v[38:39], v[32:33], 1.0
	v_fma_f64 v[38:39], v[18:19], v[30:31], v[20:21]
	v_fma_f64 v[30:31], v[20:21], v[30:31], -v[18:19]
	v_mul_f64 v[38:39], v[38:39], v[32:33]
	v_mul_f64 v[32:33], v[30:31], v[32:33]
.LBB117_89:                             ;   in Loop: Header=BB117_4 Depth=1
	s_or_b64 exec, exec, s[12:13]
	v_mul_f64 v[30:31], s[18:19], v[32:33]
	v_mul_f64 v[32:33], s[16:17], v[32:33]
	v_fma_f64 v[30:31], s[16:17], v[38:39], -v[30:31]
	v_fmac_f64_e32 v[32:33], s[18:19], v[38:39]
	s_branch .LBB117_100
.LBB117_90:                             ;   in Loop: Header=BB117_4 Depth=1
                                        ; implicit-def: $vgpr32_vgpr33
                                        ; implicit-def: $vgpr30_vgpr31
	s_cbranch_execz .LBB117_100
; %bb.91:                               ;   in Loop: Header=BB117_4 Depth=1
                                        ; implicit-def: $vgpr32_vgpr33
                                        ; implicit-def: $vgpr30_vgpr31
	s_and_saveexec_b64 s[12:13], s[10:11]
	s_xor_b64 s[12:13], exec, s[12:13]
	s_cbranch_execz .LBB117_97
; %bb.92:                               ;   in Loop: Header=BB117_4 Depth=1
	v_cmp_neq_f64_e32 vcc, 0, v[22:23]
	v_cmp_neq_f64_e64 s[10:11], 0, v[24:25]
	s_or_b64 s[10:11], s[10:11], vcc
                                        ; implicit-def: $vgpr32_vgpr33
                                        ; implicit-def: $vgpr30_vgpr31
	s_and_saveexec_b64 s[14:15], s[10:11]
	s_xor_b64 s[10:11], exec, s[14:15]
	s_cbranch_execz .LBB117_94
; %bb.93:                               ;   in Loop: Header=BB117_4 Depth=1
	v_div_scale_f64 v[26:27], s[14:15], v[22:23], v[22:23], v[24:25]
	v_rcp_f64_e32 v[28:29], v[26:27]
	v_div_scale_f64 v[30:31], vcc, v[24:25], v[22:23], v[24:25]
	v_fma_f64 v[32:33], -v[26:27], v[28:29], 1.0
	v_fmac_f64_e32 v[28:29], v[28:29], v[32:33]
	v_fma_f64 v[32:33], -v[26:27], v[28:29], 1.0
	v_fmac_f64_e32 v[28:29], v[28:29], v[32:33]
	v_mul_f64 v[32:33], v[30:31], v[28:29]
	v_fma_f64 v[26:27], -v[26:27], v[32:33], v[30:31]
	v_div_fmas_f64 v[26:27], v[26:27], v[28:29], v[32:33]
	v_div_fixup_f64 v[26:27], v[26:27], v[22:23], v[24:25]
	v_fmac_f64_e32 v[22:23], v[24:25], v[26:27]
	v_div_scale_f64 v[24:25], s[14:15], v[22:23], v[22:23], 1.0
	v_rcp_f64_e32 v[28:29], v[24:25]
	v_fma_f64 v[30:31], -v[24:25], v[28:29], 1.0
	v_fmac_f64_e32 v[28:29], v[28:29], v[30:31]
	v_fma_f64 v[30:31], -v[24:25], v[28:29], 1.0
	v_fmac_f64_e32 v[28:29], v[28:29], v[30:31]
	v_div_scale_f64 v[30:31], vcc, 1.0, v[22:23], 1.0
	v_mul_f64 v[32:33], v[30:31], v[28:29]
	v_fma_f64 v[24:25], -v[24:25], v[32:33], v[30:31]
	s_nop 1
	v_div_fmas_f64 v[24:25], v[24:25], v[28:29], v[32:33]
	v_div_fixup_f64 v[22:23], v[24:25], v[22:23], 1.0
	v_fma_f64 v[24:25], v[20:21], v[26:27], v[18:19]
	v_fma_f64 v[18:19], -v[18:19], v[26:27], v[20:21]
	v_mul_f64 v[30:31], v[24:25], v[22:23]
	v_mul_f64 v[32:33], v[18:19], v[22:23]
                                        ; implicit-def: $vgpr28_vgpr29
                                        ; implicit-def: $vgpr18_vgpr19
                                        ; implicit-def: $vgpr26_vgpr27
.LBB117_94:                             ;   in Loop: Header=BB117_4 Depth=1
	s_andn2_saveexec_b64 s[10:11], s[10:11]
	s_cbranch_execz .LBB117_96
; %bb.95:                               ;   in Loop: Header=BB117_4 Depth=1
	v_div_scale_f64 v[22:23], s[14:15], v[28:29], v[28:29], v[18:19]
	v_rcp_f64_e32 v[24:25], v[22:23]
	v_div_scale_f64 v[38:39], s[14:15], v[26:27], v[26:27], v[20:21]
	v_div_scale_f64 v[30:31], vcc, v[18:19], v[28:29], v[18:19]
	v_fma_f64 v[32:33], -v[22:23], v[24:25], 1.0
	v_fmac_f64_e32 v[24:25], v[24:25], v[32:33]
	v_fma_f64 v[32:33], -v[22:23], v[24:25], 1.0
	v_fmac_f64_e32 v[24:25], v[24:25], v[32:33]
	v_rcp_f64_e32 v[40:41], v[38:39]
	v_mul_f64 v[32:33], v[30:31], v[24:25]
	v_fma_f64 v[22:23], -v[22:23], v[32:33], v[30:31]
	v_div_fmas_f64 v[22:23], v[22:23], v[24:25], v[32:33]
	v_div_fixup_f64 v[30:31], v[22:23], v[28:29], v[18:19]
	v_fma_f64 v[18:19], -v[38:39], v[40:41], 1.0
	v_fmac_f64_e32 v[40:41], v[40:41], v[18:19]
	v_fma_f64 v[18:19], -v[38:39], v[40:41], 1.0
	v_fmac_f64_e32 v[40:41], v[40:41], v[18:19]
	v_div_scale_f64 v[18:19], vcc, v[20:21], v[26:27], v[20:21]
	v_mul_f64 v[22:23], v[18:19], v[40:41]
	v_fma_f64 v[18:19], -v[38:39], v[22:23], v[18:19]
	s_nop 1
	v_div_fmas_f64 v[18:19], v[18:19], v[40:41], v[22:23]
	v_div_fixup_f64 v[32:33], v[18:19], v[26:27], v[20:21]
.LBB117_96:                             ;   in Loop: Header=BB117_4 Depth=1
	s_or_b64 exec, exec, s[10:11]
                                        ; implicit-def: $vgpr24_vgpr25
                                        ; implicit-def: $vgpr18_vgpr19
.LBB117_97:                             ;   in Loop: Header=BB117_4 Depth=1
	s_andn2_saveexec_b64 s[10:11], s[12:13]
	s_cbranch_execz .LBB117_99
; %bb.98:                               ;   in Loop: Header=BB117_4 Depth=1
	v_div_scale_f64 v[26:27], s[12:13], v[24:25], v[24:25], v[22:23]
	v_rcp_f64_e32 v[28:29], v[26:27]
	v_div_scale_f64 v[30:31], vcc, v[22:23], v[24:25], v[22:23]
	v_fma_f64 v[32:33], -v[26:27], v[28:29], 1.0
	v_fmac_f64_e32 v[28:29], v[28:29], v[32:33]
	v_fma_f64 v[32:33], -v[26:27], v[28:29], 1.0
	v_fmac_f64_e32 v[28:29], v[28:29], v[32:33]
	v_mul_f64 v[32:33], v[30:31], v[28:29]
	v_fma_f64 v[26:27], -v[26:27], v[32:33], v[30:31]
	v_div_fmas_f64 v[26:27], v[26:27], v[28:29], v[32:33]
	v_div_fixup_f64 v[26:27], v[26:27], v[24:25], v[22:23]
	v_fmac_f64_e32 v[24:25], v[22:23], v[26:27]
	v_div_scale_f64 v[22:23], s[12:13], v[24:25], v[24:25], 1.0
	v_rcp_f64_e32 v[28:29], v[22:23]
	v_fma_f64 v[30:31], -v[22:23], v[28:29], 1.0
	v_fmac_f64_e32 v[28:29], v[28:29], v[30:31]
	v_fma_f64 v[30:31], -v[22:23], v[28:29], 1.0
	v_fmac_f64_e32 v[28:29], v[28:29], v[30:31]
	v_div_scale_f64 v[30:31], vcc, 1.0, v[24:25], 1.0
	v_mul_f64 v[32:33], v[30:31], v[28:29]
	v_fma_f64 v[22:23], -v[22:23], v[32:33], v[30:31]
	s_nop 1
	v_div_fmas_f64 v[22:23], v[22:23], v[28:29], v[32:33]
	v_div_fixup_f64 v[22:23], v[22:23], v[24:25], 1.0
	v_fma_f64 v[24:25], v[18:19], v[26:27], v[20:21]
	v_fma_f64 v[18:19], v[20:21], v[26:27], -v[18:19]
	v_mul_f64 v[30:31], v[24:25], v[22:23]
	v_mul_f64 v[32:33], v[18:19], v[22:23]
.LBB117_99:                             ;   in Loop: Header=BB117_4 Depth=1
	s_or_b64 exec, exec, s[10:11]
.LBB117_100:                            ;   in Loop: Header=BB117_4 Depth=1
	s_and_saveexec_b64 s[10:11], s[0:1]
	s_xor_b64 s[0:1], exec, s[10:11]
	s_cbranch_execnz .LBB117_104
; %bb.101:                              ;   in Loop: Header=BB117_4 Depth=1
	s_or_b64 exec, exec, s[0:1]
	s_and_saveexec_b64 s[0:1], s[2:3]
	s_cbranch_execnz .LBB117_105
.LBB117_102:                            ;   in Loop: Header=BB117_4 Depth=1
	s_or_b64 exec, exec, s[0:1]
	s_and_saveexec_b64 s[0:1], s[6:7]
	s_cbranch_execnz .LBB117_106
.LBB117_103:                            ;   in Loop: Header=BB117_4 Depth=1
	s_or_b64 exec, exec, s[0:1]
	s_and_saveexec_b64 s[0:1], s[8:9]
	s_cbranch_execz .LBB117_3
	s_branch .LBB117_107
.LBB117_104:                            ;   in Loop: Header=BB117_4 Depth=1
	v_mov_b32_e32 v1, s23
	v_add_co_u32_e32 v18, vcc, s22, v58
	v_add_f64 v[4:5], v[4:5], v[86:87]
	v_add_f64 v[2:3], v[2:3], v[84:85]
	v_addc_co_u32_e32 v19, vcc, v59, v1, vcc
	global_store_dwordx4 v[18:19], v[2:5], off offset:-8
	s_or_b64 exec, exec, s[0:1]
	s_and_saveexec_b64 s[0:1], s[2:3]
	s_cbranch_execz .LBB117_102
.LBB117_105:                            ;   in Loop: Header=BB117_4 Depth=1
	v_add_f64 v[2:3], v[6:7], v[42:43]
	v_mov_b32_e32 v1, s23
	v_add_co_u32_e32 v6, vcc, s22, v52
	v_add_f64 v[4:5], v[8:9], v[44:45]
	v_addc_co_u32_e32 v7, vcc, v53, v1, vcc
	global_store_dwordx4 v[6:7], v[2:5], off
	s_or_b64 exec, exec, s[0:1]
	s_and_saveexec_b64 s[0:1], s[6:7]
	s_cbranch_execz .LBB117_103
.LBB117_106:                            ;   in Loop: Header=BB117_4 Depth=1
	v_mov_b32_e32 v1, s23
	v_add_co_u32_e32 v6, vcc, s22, v68
	v_add_f64 v[4:5], v[12:13], v[36:37]
	v_add_f64 v[2:3], v[10:11], v[34:35]
	v_addc_co_u32_e32 v7, vcc, v69, v1, vcc
	global_store_dwordx4 v[6:7], v[2:5], off
	s_or_b64 exec, exec, s[0:1]
	s_and_saveexec_b64 s[0:1], s[8:9]
	s_cbranch_execz .LBB117_3
.LBB117_107:                            ;   in Loop: Header=BB117_4 Depth=1
	v_mov_b32_e32 v1, s23
	v_add_co_u32_e32 v6, vcc, s22, v70
	v_add_f64 v[4:5], v[16:17], v[32:33]
	v_add_f64 v[2:3], v[14:15], v[30:31]
	v_addc_co_u32_e32 v7, vcc, v71, v1, vcc
	global_store_dwordx4 v[6:7], v[2:5], off offset:-8
	s_branch .LBB117_3
.LBB117_108:
	s_mov_b64 s[10:11], 0
.LBB117_109:
	s_andn2_b64 vcc, exec, s[10:11]
	s_cbranch_vccnz .LBB117_193
; %bb.110:
	v_mov_b32_e32 v49, 0
	v_lshlrev_b32_e32 v48, 2, v0
	s_mov_b32 s14, 0
	v_cmp_gt_i64_e32 vcc, s[20:21], v[48:49]
	s_and_saveexec_b64 s[0:1], vcc
	s_cbranch_execz .LBB117_193
; %bb.111:
	s_load_dword s4, s[4:5], 0xe34
	s_waitcnt lgkmcnt(0)
	v_cmp_neq_f64_e64 s[0:1], s[16:17], 1.0
	v_cmp_neq_f64_e64 s[2:3], s[18:19], 0
	s_or_b64 s[8:9], s[0:1], s[2:3]
	s_mov_b64 s[6:7], 0
	s_and_b32 s0, s4, 0xffff
	v_add_lshl_u32 v48, v0, s0, 2
	s_lshl_b32 s15, s0, 2
	v_lshlrev_b32_e32 v50, 6, v0
	s_lshl_b32 s22, s0, 6
	s_mov_b64 s[10:11], 0xffff
	s_branch .LBB117_114
.LBB117_112:                            ;   in Loop: Header=BB117_114 Depth=1
	s_or_b64 exec, exec, s[0:1]
.LBB117_113:                            ;   in Loop: Header=BB117_114 Depth=1
	v_mov_b32_e32 v17, s42
	v_add_co_u32_e32 v16, vcc, s41, v50
	v_addc_co_u32_e32 v17, vcc, 0, v17, vcc
	v_cmp_le_i64_e32 vcc, s[20:21], v[48:49]
	v_cmp_lt_u64_e64 s[0:1], s[10:11], v[48:49]
	s_or_b64 s[0:1], vcc, s[0:1]
	s_add_u32 s33, s33, s22
	s_addc_u32 s36, s36, 0
	s_add_u32 s41, s41, s22
	s_addc_u32 s42, s42, 0
	;; [unrolled: 2-line block ×3, first 2 shown]
	s_add_u32 s39, s39, s22
	v_add_f64 v[6:7], v[6:7], v[54:55]
	v_add_f64 v[4:5], v[4:5], v[52:53]
	;; [unrolled: 1-line block ×3, first 2 shown]
	s_addc_u32 s40, s40, 0
	v_add_f64 v[14:15], v[14:15], v[34:35]
	v_add_f64 v[12:13], v[12:13], v[32:33]
	v_add_f64 v[10:11], v[10:11], v[42:43]
	v_add_f64 v[8:9], v[8:9], v[40:41]
	v_add_f64 v[2:3], v[2:3], v[30:31]
	global_store_dwordx4 v[16:17], v[4:7], off
	global_store_dwordx4 v[16:17], v[8:11], off offset:16
	global_store_dwordx4 v[16:17], v[12:15], off offset:32
	global_store_dwordx4 v[16:17], v[0:3], off offset:48
	s_and_b64 s[0:1], exec, s[0:1]
	v_mov_b32_e32 v0, s14
	v_add_co_u32_e32 v48, vcc, s15, v48
	s_or_b64 s[6:7], s[0:1], s[6:7]
	v_addc_co_u32_e32 v49, vcc, v49, v0, vcc
	s_andn2_b64 exec, exec, s[6:7]
	s_cbranch_execz .LBB117_193
.LBB117_114:                            ; =>This Inner Loop Header: Depth=1
	v_mov_b32_e32 v0, s36
	v_add_co_u32_e32 v16, vcc, s33, v50
	v_addc_co_u32_e32 v17, vcc, 0, v0, vcc
	global_load_dwordx4 v[0:3], v[16:17], off offset:48
	global_load_dwordx4 v[12:15], v[16:17], off offset:32
	;; [unrolled: 1-line block ×3, first 2 shown]
	global_load_dwordx4 v[4:7], v[16:17], off
	v_mov_b32_e32 v16, s40
	v_add_co_u32_e32 v52, vcc, s39, v50
	v_addc_co_u32_e32 v53, vcc, 0, v16, vcc
	v_mov_b32_e32 v16, s38
	v_add_co_u32_e32 v54, vcc, s37, v50
	v_addc_co_u32_e32 v55, vcc, 0, v16, vcc
	global_load_dwordx4 v[36:39], v[52:53], off offset:16
	global_load_dwordx4 v[44:47], v[52:53], off
	global_load_dwordx4 v[16:19], v[54:55], off offset:48
	global_load_dwordx4 v[24:27], v[54:55], off offset:32
	;; [unrolled: 1-line block ×3, first 2 shown]
	global_load_dwordx4 v[40:43], v[54:55], off
	global_load_dwordx4 v[20:23], v[52:53], off offset:48
	global_load_dwordx4 v[28:31], v[52:53], off offset:32
	s_and_b64 vcc, exec, s[8:9]
	s_waitcnt vmcnt(6)
	v_xor_b32_e32 v51, 0x80000000, v45
	v_cmp_gt_f64_e64 s[0:1], 0, v[44:45]
	v_xor_b32_e32 v52, 0x80000000, v47
	v_cndmask_b32_e64 v59, v45, v51, s[0:1]
	v_cmp_gt_f64_e64 s[0:1], 0, v[46:47]
	v_mov_b32_e32 v58, v44
	v_mov_b32_e32 v56, v46
	v_cndmask_b32_e64 v57, v47, v52, s[0:1]
	v_cmp_ge_f64_e64 s[0:1], v[58:59], v[56:57]
	s_cbranch_vccz .LBB117_124
; %bb.115:                              ;   in Loop: Header=BB117_114 Depth=1
                                        ; implicit-def: $vgpr54_vgpr55
                                        ; implicit-def: $vgpr60_vgpr61
	s_and_saveexec_b64 s[2:3], s[0:1]
	s_xor_b64 s[4:5], exec, s[2:3]
	s_cbranch_execz .LBB117_121
; %bb.116:                              ;   in Loop: Header=BB117_114 Depth=1
	v_cmp_neq_f64_e32 vcc, 0, v[44:45]
	v_cmp_neq_f64_e64 s[2:3], 0, v[46:47]
	s_or_b64 s[2:3], vcc, s[2:3]
                                        ; implicit-def: $vgpr54_vgpr55
                                        ; implicit-def: $vgpr60_vgpr61
	s_and_saveexec_b64 s[12:13], s[2:3]
	s_xor_b64 s[2:3], exec, s[12:13]
	s_cbranch_execz .LBB117_118
; %bb.117:                              ;   in Loop: Header=BB117_114 Depth=1
	v_div_scale_f64 v[52:53], s[12:13], v[44:45], v[44:45], v[46:47]
	v_rcp_f64_e32 v[54:55], v[52:53]
	v_div_scale_f64 v[60:61], vcc, v[46:47], v[44:45], v[46:47]
	v_fma_f64 v[62:63], -v[52:53], v[54:55], 1.0
	v_fmac_f64_e32 v[54:55], v[54:55], v[62:63]
	v_fma_f64 v[62:63], -v[52:53], v[54:55], 1.0
	v_fmac_f64_e32 v[54:55], v[54:55], v[62:63]
	v_mul_f64 v[62:63], v[60:61], v[54:55]
	v_fma_f64 v[52:53], -v[52:53], v[62:63], v[60:61]
	v_div_fmas_f64 v[52:53], v[52:53], v[54:55], v[62:63]
	v_div_fixup_f64 v[52:53], v[52:53], v[44:45], v[46:47]
	v_fma_f64 v[54:55], v[46:47], v[52:53], v[44:45]
	v_div_scale_f64 v[60:61], s[12:13], v[54:55], v[54:55], 1.0
	v_rcp_f64_e32 v[62:63], v[60:61]
	v_fma_f64 v[64:65], -v[60:61], v[62:63], 1.0
	v_fmac_f64_e32 v[62:63], v[62:63], v[64:65]
	v_fma_f64 v[64:65], -v[60:61], v[62:63], 1.0
	v_fmac_f64_e32 v[62:63], v[62:63], v[64:65]
	v_div_scale_f64 v[64:65], vcc, 1.0, v[54:55], 1.0
	v_mul_f64 v[66:67], v[64:65], v[62:63]
	v_fma_f64 v[60:61], -v[60:61], v[66:67], v[64:65]
	s_nop 1
	v_div_fmas_f64 v[60:61], v[60:61], v[62:63], v[66:67]
	v_div_fixup_f64 v[54:55], v[60:61], v[54:55], 1.0
	s_waitcnt vmcnt(2)
	v_fma_f64 v[60:61], v[42:43], v[52:53], v[40:41]
	v_fma_f64 v[52:53], -v[40:41], v[52:53], v[42:43]
	v_mul_f64 v[60:61], v[60:61], v[54:55]
	v_mul_f64 v[54:55], v[52:53], v[54:55]
.LBB117_118:                            ;   in Loop: Header=BB117_114 Depth=1
	s_andn2_saveexec_b64 s[2:3], s[2:3]
	s_cbranch_execz .LBB117_120
; %bb.119:                              ;   in Loop: Header=BB117_114 Depth=1
	s_waitcnt vmcnt(2)
	v_div_scale_f64 v[52:53], s[12:13], v[58:59], v[58:59], v[40:41]
	v_rcp_f64_e32 v[54:55], v[52:53]
	v_div_scale_f64 v[64:65], s[12:13], v[56:57], v[56:57], v[42:43]
	v_div_scale_f64 v[60:61], vcc, v[40:41], v[58:59], v[40:41]
	v_fma_f64 v[62:63], -v[52:53], v[54:55], 1.0
	v_fmac_f64_e32 v[54:55], v[54:55], v[62:63]
	v_fma_f64 v[62:63], -v[52:53], v[54:55], 1.0
	v_fmac_f64_e32 v[54:55], v[54:55], v[62:63]
	v_rcp_f64_e32 v[66:67], v[64:65]
	v_mul_f64 v[62:63], v[60:61], v[54:55]
	v_fma_f64 v[52:53], -v[52:53], v[62:63], v[60:61]
	v_div_fmas_f64 v[52:53], v[52:53], v[54:55], v[62:63]
	v_div_fixup_f64 v[60:61], v[52:53], v[58:59], v[40:41]
	v_fma_f64 v[52:53], -v[64:65], v[66:67], 1.0
	v_fmac_f64_e32 v[66:67], v[66:67], v[52:53]
	v_fma_f64 v[52:53], -v[64:65], v[66:67], 1.0
	v_fmac_f64_e32 v[66:67], v[66:67], v[52:53]
	v_div_scale_f64 v[52:53], vcc, v[42:43], v[56:57], v[42:43]
	v_mul_f64 v[54:55], v[52:53], v[66:67]
	v_fma_f64 v[52:53], -v[64:65], v[54:55], v[52:53]
	s_nop 1
	v_div_fmas_f64 v[52:53], v[52:53], v[66:67], v[54:55]
	v_div_fixup_f64 v[54:55], v[52:53], v[56:57], v[42:43]
.LBB117_120:                            ;   in Loop: Header=BB117_114 Depth=1
	s_or_b64 exec, exec, s[2:3]
.LBB117_121:                            ;   in Loop: Header=BB117_114 Depth=1
	s_andn2_saveexec_b64 s[2:3], s[4:5]
	s_cbranch_execz .LBB117_123
; %bb.122:                              ;   in Loop: Header=BB117_114 Depth=1
	v_div_scale_f64 v[52:53], s[4:5], v[46:47], v[46:47], v[44:45]
	v_rcp_f64_e32 v[54:55], v[52:53]
	v_div_scale_f64 v[60:61], vcc, v[44:45], v[46:47], v[44:45]
	v_fma_f64 v[62:63], -v[52:53], v[54:55], 1.0
	v_fmac_f64_e32 v[54:55], v[54:55], v[62:63]
	v_fma_f64 v[62:63], -v[52:53], v[54:55], 1.0
	v_fmac_f64_e32 v[54:55], v[54:55], v[62:63]
	v_mul_f64 v[62:63], v[60:61], v[54:55]
	v_fma_f64 v[52:53], -v[52:53], v[62:63], v[60:61]
	v_div_fmas_f64 v[52:53], v[52:53], v[54:55], v[62:63]
	v_div_fixup_f64 v[52:53], v[52:53], v[46:47], v[44:45]
	v_fma_f64 v[54:55], v[44:45], v[52:53], v[46:47]
	v_div_scale_f64 v[60:61], s[4:5], v[54:55], v[54:55], 1.0
	v_rcp_f64_e32 v[62:63], v[60:61]
	v_fma_f64 v[64:65], -v[60:61], v[62:63], 1.0
	v_fmac_f64_e32 v[62:63], v[62:63], v[64:65]
	v_fma_f64 v[64:65], -v[60:61], v[62:63], 1.0
	v_fmac_f64_e32 v[62:63], v[62:63], v[64:65]
	v_div_scale_f64 v[64:65], vcc, 1.0, v[54:55], 1.0
	v_mul_f64 v[66:67], v[64:65], v[62:63]
	v_fma_f64 v[60:61], -v[60:61], v[66:67], v[64:65]
	s_nop 1
	v_div_fmas_f64 v[60:61], v[60:61], v[62:63], v[66:67]
	v_div_fixup_f64 v[54:55], v[60:61], v[54:55], 1.0
	s_waitcnt vmcnt(2)
	v_fma_f64 v[60:61], v[40:41], v[52:53], v[42:43]
	v_fma_f64 v[52:53], v[42:43], v[52:53], -v[40:41]
	v_mul_f64 v[60:61], v[60:61], v[54:55]
	v_mul_f64 v[54:55], v[52:53], v[54:55]
.LBB117_123:                            ;   in Loop: Header=BB117_114 Depth=1
	s_or_b64 exec, exec, s[2:3]
	v_mul_f64 v[52:53], s[18:19], v[54:55]
	v_mul_f64 v[54:55], s[16:17], v[54:55]
	v_fma_f64 v[52:53], s[16:17], v[60:61], -v[52:53]
	v_fmac_f64_e32 v[54:55], s[18:19], v[60:61]
	s_branch .LBB117_134
.LBB117_124:                            ;   in Loop: Header=BB117_114 Depth=1
                                        ; implicit-def: $vgpr54_vgpr55
                                        ; implicit-def: $vgpr52_vgpr53
	s_cbranch_execz .LBB117_134
; %bb.125:                              ;   in Loop: Header=BB117_114 Depth=1
                                        ; implicit-def: $vgpr54_vgpr55
                                        ; implicit-def: $vgpr52_vgpr53
	s_and_saveexec_b64 s[2:3], s[0:1]
	s_xor_b64 s[2:3], exec, s[2:3]
	s_cbranch_execz .LBB117_131
; %bb.126:                              ;   in Loop: Header=BB117_114 Depth=1
	v_cmp_neq_f64_e32 vcc, 0, v[44:45]
	v_cmp_neq_f64_e64 s[0:1], 0, v[46:47]
	s_or_b64 s[0:1], vcc, s[0:1]
                                        ; implicit-def: $vgpr54_vgpr55
                                        ; implicit-def: $vgpr52_vgpr53
	s_and_saveexec_b64 s[4:5], s[0:1]
	s_xor_b64 s[0:1], exec, s[4:5]
	s_cbranch_execz .LBB117_128
; %bb.127:                              ;   in Loop: Header=BB117_114 Depth=1
	v_div_scale_f64 v[52:53], s[4:5], v[44:45], v[44:45], v[46:47]
	v_rcp_f64_e32 v[54:55], v[52:53]
	v_div_scale_f64 v[56:57], vcc, v[46:47], v[44:45], v[46:47]
	v_fma_f64 v[58:59], -v[52:53], v[54:55], 1.0
	v_fmac_f64_e32 v[54:55], v[54:55], v[58:59]
	v_fma_f64 v[58:59], -v[52:53], v[54:55], 1.0
	v_fmac_f64_e32 v[54:55], v[54:55], v[58:59]
	v_mul_f64 v[58:59], v[56:57], v[54:55]
	v_fma_f64 v[52:53], -v[52:53], v[58:59], v[56:57]
	v_div_fmas_f64 v[52:53], v[52:53], v[54:55], v[58:59]
	v_div_fixup_f64 v[54:55], v[52:53], v[44:45], v[46:47]
	v_fmac_f64_e32 v[44:45], v[46:47], v[54:55]
	v_div_scale_f64 v[46:47], s[4:5], v[44:45], v[44:45], 1.0
	v_rcp_f64_e32 v[52:53], v[46:47]
	v_fma_f64 v[56:57], -v[46:47], v[52:53], 1.0
	v_fmac_f64_e32 v[52:53], v[52:53], v[56:57]
	v_fma_f64 v[56:57], -v[46:47], v[52:53], 1.0
	v_fmac_f64_e32 v[52:53], v[52:53], v[56:57]
	v_div_scale_f64 v[56:57], vcc, 1.0, v[44:45], 1.0
	v_mul_f64 v[58:59], v[56:57], v[52:53]
	v_fma_f64 v[46:47], -v[46:47], v[58:59], v[56:57]
                                        ; implicit-def: $vgpr56_vgpr57
	s_nop 1
	v_div_fmas_f64 v[46:47], v[46:47], v[52:53], v[58:59]
	v_div_fixup_f64 v[44:45], v[46:47], v[44:45], 1.0
	s_waitcnt vmcnt(2)
	v_fma_f64 v[46:47], v[42:43], v[54:55], v[40:41]
	v_fma_f64 v[40:41], -v[40:41], v[54:55], v[42:43]
	v_mul_f64 v[52:53], v[46:47], v[44:45]
	v_mul_f64 v[54:55], v[40:41], v[44:45]
                                        ; implicit-def: $vgpr58_vgpr59
                                        ; implicit-def: $vgpr40_vgpr41
.LBB117_128:                            ;   in Loop: Header=BB117_114 Depth=1
	s_andn2_saveexec_b64 s[0:1], s[0:1]
	s_cbranch_execz .LBB117_130
; %bb.129:                              ;   in Loop: Header=BB117_114 Depth=1
	s_waitcnt vmcnt(2)
	v_div_scale_f64 v[44:45], s[4:5], v[58:59], v[58:59], v[40:41]
	v_rcp_f64_e32 v[46:47], v[44:45]
	v_div_scale_f64 v[60:61], s[4:5], v[56:57], v[56:57], v[42:43]
	v_div_scale_f64 v[52:53], vcc, v[40:41], v[58:59], v[40:41]
	v_fma_f64 v[54:55], -v[44:45], v[46:47], 1.0
	v_fmac_f64_e32 v[46:47], v[46:47], v[54:55]
	v_fma_f64 v[54:55], -v[44:45], v[46:47], 1.0
	v_fmac_f64_e32 v[46:47], v[46:47], v[54:55]
	v_rcp_f64_e32 v[62:63], v[60:61]
	v_mul_f64 v[54:55], v[52:53], v[46:47]
	v_fma_f64 v[44:45], -v[44:45], v[54:55], v[52:53]
	v_div_fmas_f64 v[44:45], v[44:45], v[46:47], v[54:55]
	v_div_fixup_f64 v[52:53], v[44:45], v[58:59], v[40:41]
	v_fma_f64 v[40:41], -v[60:61], v[62:63], 1.0
	v_fmac_f64_e32 v[62:63], v[62:63], v[40:41]
	v_fma_f64 v[40:41], -v[60:61], v[62:63], 1.0
	v_fmac_f64_e32 v[62:63], v[62:63], v[40:41]
	v_div_scale_f64 v[40:41], vcc, v[42:43], v[56:57], v[42:43]
	v_mul_f64 v[44:45], v[40:41], v[62:63]
	v_fma_f64 v[40:41], -v[60:61], v[44:45], v[40:41]
	s_nop 1
	v_div_fmas_f64 v[40:41], v[40:41], v[62:63], v[44:45]
	v_div_fixup_f64 v[54:55], v[40:41], v[56:57], v[42:43]
.LBB117_130:                            ;   in Loop: Header=BB117_114 Depth=1
	s_or_b64 exec, exec, s[0:1]
                                        ; implicit-def: $vgpr46_vgpr47
                                        ; implicit-def: $vgpr40_vgpr41
.LBB117_131:                            ;   in Loop: Header=BB117_114 Depth=1
	s_andn2_saveexec_b64 s[0:1], s[2:3]
	s_cbranch_execz .LBB117_133
; %bb.132:                              ;   in Loop: Header=BB117_114 Depth=1
	v_div_scale_f64 v[52:53], s[2:3], v[46:47], v[46:47], v[44:45]
	v_rcp_f64_e32 v[54:55], v[52:53]
	v_div_scale_f64 v[56:57], vcc, v[44:45], v[46:47], v[44:45]
	v_fma_f64 v[58:59], -v[52:53], v[54:55], 1.0
	v_fmac_f64_e32 v[54:55], v[54:55], v[58:59]
	v_fma_f64 v[58:59], -v[52:53], v[54:55], 1.0
	v_fmac_f64_e32 v[54:55], v[54:55], v[58:59]
	v_mul_f64 v[58:59], v[56:57], v[54:55]
	v_fma_f64 v[52:53], -v[52:53], v[58:59], v[56:57]
	v_div_fmas_f64 v[52:53], v[52:53], v[54:55], v[58:59]
	v_div_fixup_f64 v[54:55], v[52:53], v[46:47], v[44:45]
	v_fmac_f64_e32 v[46:47], v[44:45], v[54:55]
	v_div_scale_f64 v[44:45], s[2:3], v[46:47], v[46:47], 1.0
	v_rcp_f64_e32 v[52:53], v[44:45]
	v_fma_f64 v[56:57], -v[44:45], v[52:53], 1.0
	v_fmac_f64_e32 v[52:53], v[52:53], v[56:57]
	v_fma_f64 v[56:57], -v[44:45], v[52:53], 1.0
	v_fmac_f64_e32 v[52:53], v[52:53], v[56:57]
	v_div_scale_f64 v[56:57], vcc, 1.0, v[46:47], 1.0
	v_mul_f64 v[58:59], v[56:57], v[52:53]
	v_fma_f64 v[44:45], -v[44:45], v[58:59], v[56:57]
	s_nop 1
	v_div_fmas_f64 v[44:45], v[44:45], v[52:53], v[58:59]
	v_div_fixup_f64 v[44:45], v[44:45], v[46:47], 1.0
	s_waitcnt vmcnt(2)
	v_fma_f64 v[46:47], v[40:41], v[54:55], v[42:43]
	v_fma_f64 v[40:41], v[42:43], v[54:55], -v[40:41]
	v_mul_f64 v[52:53], v[46:47], v[44:45]
	v_mul_f64 v[54:55], v[40:41], v[44:45]
.LBB117_133:                            ;   in Loop: Header=BB117_114 Depth=1
	s_or_b64 exec, exec, s[0:1]
.LBB117_134:                            ;   in Loop: Header=BB117_114 Depth=1
	s_waitcnt vmcnt(2)
	v_xor_b32_e32 v40, 0x80000000, v37
	v_cmp_gt_f64_e32 vcc, 0, v[36:37]
	v_cndmask_b32_e32 v47, v37, v40, vcc
	v_xor_b32_e32 v40, 0x80000000, v39
	v_cmp_gt_f64_e32 vcc, 0, v[38:39]
	v_mov_b32_e32 v46, v36
	v_cndmask_b32_e32 v45, v39, v40, vcc
	v_mov_b32_e32 v44, v38
	v_cndmask_b32_e64 v40, 0, 1, s[8:9]
	v_cmp_ne_u32_e64 s[0:1], 1, v40
	s_andn2_b64 vcc, exec, s[8:9]
	v_cmp_ge_f64_e64 s[2:3], v[46:47], v[44:45]
	s_cbranch_vccnz .LBB117_144
; %bb.135:                              ;   in Loop: Header=BB117_114 Depth=1
                                        ; implicit-def: $vgpr42_vgpr43
                                        ; implicit-def: $vgpr56_vgpr57
	s_and_saveexec_b64 s[4:5], s[2:3]
	s_xor_b64 s[12:13], exec, s[4:5]
	s_cbranch_execz .LBB117_141
; %bb.136:                              ;   in Loop: Header=BB117_114 Depth=1
	v_cmp_neq_f64_e32 vcc, 0, v[36:37]
	v_cmp_neq_f64_e64 s[4:5], 0, v[38:39]
	s_or_b64 s[4:5], vcc, s[4:5]
                                        ; implicit-def: $vgpr42_vgpr43
                                        ; implicit-def: $vgpr56_vgpr57
	s_and_saveexec_b64 s[24:25], s[4:5]
	s_xor_b64 s[4:5], exec, s[24:25]
	s_cbranch_execz .LBB117_138
; %bb.137:                              ;   in Loop: Header=BB117_114 Depth=1
	v_div_scale_f64 v[40:41], s[24:25], v[36:37], v[36:37], v[38:39]
	v_rcp_f64_e32 v[42:43], v[40:41]
	v_div_scale_f64 v[56:57], vcc, v[38:39], v[36:37], v[38:39]
	v_fma_f64 v[58:59], -v[40:41], v[42:43], 1.0
	v_fmac_f64_e32 v[42:43], v[42:43], v[58:59]
	v_fma_f64 v[58:59], -v[40:41], v[42:43], 1.0
	v_fmac_f64_e32 v[42:43], v[42:43], v[58:59]
	v_mul_f64 v[58:59], v[56:57], v[42:43]
	v_fma_f64 v[40:41], -v[40:41], v[58:59], v[56:57]
	v_div_fmas_f64 v[40:41], v[40:41], v[42:43], v[58:59]
	v_div_fixup_f64 v[40:41], v[40:41], v[36:37], v[38:39]
	v_fma_f64 v[42:43], v[38:39], v[40:41], v[36:37]
	v_div_scale_f64 v[56:57], s[24:25], v[42:43], v[42:43], 1.0
	v_rcp_f64_e32 v[58:59], v[56:57]
	v_fma_f64 v[60:61], -v[56:57], v[58:59], 1.0
	v_fmac_f64_e32 v[58:59], v[58:59], v[60:61]
	v_fma_f64 v[60:61], -v[56:57], v[58:59], 1.0
	v_fmac_f64_e32 v[58:59], v[58:59], v[60:61]
	v_div_scale_f64 v[60:61], vcc, 1.0, v[42:43], 1.0
	v_mul_f64 v[62:63], v[60:61], v[58:59]
	v_fma_f64 v[56:57], -v[56:57], v[62:63], v[60:61]
	s_nop 1
	v_div_fmas_f64 v[56:57], v[56:57], v[58:59], v[62:63]
	v_div_fixup_f64 v[42:43], v[56:57], v[42:43], 1.0
	v_fma_f64 v[56:57], v[34:35], v[40:41], v[32:33]
	v_fma_f64 v[40:41], -v[32:33], v[40:41], v[34:35]
	v_mul_f64 v[56:57], v[56:57], v[42:43]
	v_mul_f64 v[42:43], v[40:41], v[42:43]
.LBB117_138:                            ;   in Loop: Header=BB117_114 Depth=1
	s_andn2_saveexec_b64 s[4:5], s[4:5]
	s_cbranch_execz .LBB117_140
; %bb.139:                              ;   in Loop: Header=BB117_114 Depth=1
	v_div_scale_f64 v[40:41], s[24:25], v[46:47], v[46:47], v[32:33]
	v_rcp_f64_e32 v[42:43], v[40:41]
	v_div_scale_f64 v[60:61], s[24:25], v[44:45], v[44:45], v[34:35]
	v_div_scale_f64 v[56:57], vcc, v[32:33], v[46:47], v[32:33]
	v_fma_f64 v[58:59], -v[40:41], v[42:43], 1.0
	v_fmac_f64_e32 v[42:43], v[42:43], v[58:59]
	v_fma_f64 v[58:59], -v[40:41], v[42:43], 1.0
	v_fmac_f64_e32 v[42:43], v[42:43], v[58:59]
	v_rcp_f64_e32 v[62:63], v[60:61]
	v_mul_f64 v[58:59], v[56:57], v[42:43]
	v_fma_f64 v[40:41], -v[40:41], v[58:59], v[56:57]
	v_div_fmas_f64 v[40:41], v[40:41], v[42:43], v[58:59]
	v_div_fixup_f64 v[56:57], v[40:41], v[46:47], v[32:33]
	v_fma_f64 v[40:41], -v[60:61], v[62:63], 1.0
	v_fmac_f64_e32 v[62:63], v[62:63], v[40:41]
	v_fma_f64 v[40:41], -v[60:61], v[62:63], 1.0
	v_fmac_f64_e32 v[62:63], v[62:63], v[40:41]
	v_div_scale_f64 v[40:41], vcc, v[34:35], v[44:45], v[34:35]
	v_mul_f64 v[42:43], v[40:41], v[62:63]
	v_fma_f64 v[40:41], -v[60:61], v[42:43], v[40:41]
	s_nop 1
	v_div_fmas_f64 v[40:41], v[40:41], v[62:63], v[42:43]
	v_div_fixup_f64 v[42:43], v[40:41], v[44:45], v[34:35]
.LBB117_140:                            ;   in Loop: Header=BB117_114 Depth=1
	s_or_b64 exec, exec, s[4:5]
.LBB117_141:                            ;   in Loop: Header=BB117_114 Depth=1
	s_andn2_saveexec_b64 s[4:5], s[12:13]
	s_cbranch_execz .LBB117_143
; %bb.142:                              ;   in Loop: Header=BB117_114 Depth=1
	v_div_scale_f64 v[40:41], s[12:13], v[38:39], v[38:39], v[36:37]
	v_rcp_f64_e32 v[42:43], v[40:41]
	v_div_scale_f64 v[56:57], vcc, v[36:37], v[38:39], v[36:37]
	v_fma_f64 v[58:59], -v[40:41], v[42:43], 1.0
	v_fmac_f64_e32 v[42:43], v[42:43], v[58:59]
	v_fma_f64 v[58:59], -v[40:41], v[42:43], 1.0
	v_fmac_f64_e32 v[42:43], v[42:43], v[58:59]
	v_mul_f64 v[58:59], v[56:57], v[42:43]
	v_fma_f64 v[40:41], -v[40:41], v[58:59], v[56:57]
	v_div_fmas_f64 v[40:41], v[40:41], v[42:43], v[58:59]
	v_div_fixup_f64 v[40:41], v[40:41], v[38:39], v[36:37]
	v_fma_f64 v[42:43], v[36:37], v[40:41], v[38:39]
	v_div_scale_f64 v[56:57], s[12:13], v[42:43], v[42:43], 1.0
	v_rcp_f64_e32 v[58:59], v[56:57]
	v_fma_f64 v[60:61], -v[56:57], v[58:59], 1.0
	v_fmac_f64_e32 v[58:59], v[58:59], v[60:61]
	v_fma_f64 v[60:61], -v[56:57], v[58:59], 1.0
	v_fmac_f64_e32 v[58:59], v[58:59], v[60:61]
	v_div_scale_f64 v[60:61], vcc, 1.0, v[42:43], 1.0
	v_mul_f64 v[62:63], v[60:61], v[58:59]
	v_fma_f64 v[56:57], -v[56:57], v[62:63], v[60:61]
	s_nop 1
	v_div_fmas_f64 v[56:57], v[56:57], v[58:59], v[62:63]
	v_div_fixup_f64 v[42:43], v[56:57], v[42:43], 1.0
	v_fma_f64 v[56:57], v[32:33], v[40:41], v[34:35]
	v_fma_f64 v[40:41], v[34:35], v[40:41], -v[32:33]
	v_mul_f64 v[56:57], v[56:57], v[42:43]
	v_mul_f64 v[42:43], v[40:41], v[42:43]
.LBB117_143:                            ;   in Loop: Header=BB117_114 Depth=1
	s_or_b64 exec, exec, s[4:5]
	v_mul_f64 v[40:41], s[18:19], v[42:43]
	v_mul_f64 v[42:43], s[16:17], v[42:43]
	v_fma_f64 v[40:41], s[16:17], v[56:57], -v[40:41]
	v_fmac_f64_e32 v[42:43], s[18:19], v[56:57]
	s_branch .LBB117_154
.LBB117_144:                            ;   in Loop: Header=BB117_114 Depth=1
                                        ; implicit-def: $vgpr42_vgpr43
                                        ; implicit-def: $vgpr40_vgpr41
	s_cbranch_execz .LBB117_154
; %bb.145:                              ;   in Loop: Header=BB117_114 Depth=1
                                        ; implicit-def: $vgpr42_vgpr43
                                        ; implicit-def: $vgpr40_vgpr41
	s_and_saveexec_b64 s[4:5], s[2:3]
	s_xor_b64 s[4:5], exec, s[4:5]
	s_cbranch_execz .LBB117_151
; %bb.146:                              ;   in Loop: Header=BB117_114 Depth=1
	v_cmp_neq_f64_e32 vcc, 0, v[36:37]
	v_cmp_neq_f64_e64 s[2:3], 0, v[38:39]
	s_or_b64 s[2:3], vcc, s[2:3]
                                        ; implicit-def: $vgpr42_vgpr43
                                        ; implicit-def: $vgpr40_vgpr41
	s_and_saveexec_b64 s[12:13], s[2:3]
	s_xor_b64 s[2:3], exec, s[12:13]
	s_cbranch_execz .LBB117_148
; %bb.147:                              ;   in Loop: Header=BB117_114 Depth=1
	v_div_scale_f64 v[40:41], s[12:13], v[36:37], v[36:37], v[38:39]
	v_rcp_f64_e32 v[42:43], v[40:41]
	v_div_scale_f64 v[44:45], vcc, v[38:39], v[36:37], v[38:39]
	v_fma_f64 v[46:47], -v[40:41], v[42:43], 1.0
	v_fmac_f64_e32 v[42:43], v[42:43], v[46:47]
	v_fma_f64 v[46:47], -v[40:41], v[42:43], 1.0
	v_fmac_f64_e32 v[42:43], v[42:43], v[46:47]
	v_mul_f64 v[46:47], v[44:45], v[42:43]
	v_fma_f64 v[40:41], -v[40:41], v[46:47], v[44:45]
	v_div_fmas_f64 v[40:41], v[40:41], v[42:43], v[46:47]
	v_div_fixup_f64 v[42:43], v[40:41], v[36:37], v[38:39]
	v_fmac_f64_e32 v[36:37], v[38:39], v[42:43]
	v_div_scale_f64 v[38:39], s[12:13], v[36:37], v[36:37], 1.0
	v_rcp_f64_e32 v[40:41], v[38:39]
	v_fma_f64 v[44:45], -v[38:39], v[40:41], 1.0
	v_fmac_f64_e32 v[40:41], v[40:41], v[44:45]
	v_fma_f64 v[44:45], -v[38:39], v[40:41], 1.0
	v_fmac_f64_e32 v[40:41], v[40:41], v[44:45]
	v_div_scale_f64 v[44:45], vcc, 1.0, v[36:37], 1.0
	v_mul_f64 v[46:47], v[44:45], v[40:41]
	v_fma_f64 v[38:39], -v[38:39], v[46:47], v[44:45]
                                        ; implicit-def: $vgpr44_vgpr45
	s_nop 1
	v_div_fmas_f64 v[38:39], v[38:39], v[40:41], v[46:47]
	v_div_fixup_f64 v[36:37], v[38:39], v[36:37], 1.0
	v_fma_f64 v[38:39], v[34:35], v[42:43], v[32:33]
	v_fma_f64 v[32:33], -v[32:33], v[42:43], v[34:35]
	v_mul_f64 v[40:41], v[38:39], v[36:37]
	v_mul_f64 v[42:43], v[32:33], v[36:37]
                                        ; implicit-def: $vgpr46_vgpr47
                                        ; implicit-def: $vgpr32_vgpr33
.LBB117_148:                            ;   in Loop: Header=BB117_114 Depth=1
	s_andn2_saveexec_b64 s[2:3], s[2:3]
	s_cbranch_execz .LBB117_150
; %bb.149:                              ;   in Loop: Header=BB117_114 Depth=1
	v_div_scale_f64 v[36:37], s[12:13], v[46:47], v[46:47], v[32:33]
	v_rcp_f64_e32 v[38:39], v[36:37]
	v_div_scale_f64 v[56:57], s[12:13], v[44:45], v[44:45], v[34:35]
	v_div_scale_f64 v[40:41], vcc, v[32:33], v[46:47], v[32:33]
	v_fma_f64 v[42:43], -v[36:37], v[38:39], 1.0
	v_fmac_f64_e32 v[38:39], v[38:39], v[42:43]
	v_fma_f64 v[42:43], -v[36:37], v[38:39], 1.0
	v_fmac_f64_e32 v[38:39], v[38:39], v[42:43]
	v_rcp_f64_e32 v[58:59], v[56:57]
	v_mul_f64 v[42:43], v[40:41], v[38:39]
	v_fma_f64 v[36:37], -v[36:37], v[42:43], v[40:41]
	v_div_fmas_f64 v[36:37], v[36:37], v[38:39], v[42:43]
	v_div_fixup_f64 v[40:41], v[36:37], v[46:47], v[32:33]
	v_fma_f64 v[32:33], -v[56:57], v[58:59], 1.0
	v_fmac_f64_e32 v[58:59], v[58:59], v[32:33]
	v_fma_f64 v[32:33], -v[56:57], v[58:59], 1.0
	v_fmac_f64_e32 v[58:59], v[58:59], v[32:33]
	v_div_scale_f64 v[32:33], vcc, v[34:35], v[44:45], v[34:35]
	v_mul_f64 v[36:37], v[32:33], v[58:59]
	v_fma_f64 v[32:33], -v[56:57], v[36:37], v[32:33]
	s_nop 1
	v_div_fmas_f64 v[32:33], v[32:33], v[58:59], v[36:37]
	v_div_fixup_f64 v[42:43], v[32:33], v[44:45], v[34:35]
.LBB117_150:                            ;   in Loop: Header=BB117_114 Depth=1
	s_or_b64 exec, exec, s[2:3]
                                        ; implicit-def: $vgpr38_vgpr39
                                        ; implicit-def: $vgpr32_vgpr33
.LBB117_151:                            ;   in Loop: Header=BB117_114 Depth=1
	s_andn2_saveexec_b64 s[2:3], s[4:5]
	s_cbranch_execz .LBB117_153
; %bb.152:                              ;   in Loop: Header=BB117_114 Depth=1
	v_div_scale_f64 v[40:41], s[4:5], v[38:39], v[38:39], v[36:37]
	v_rcp_f64_e32 v[42:43], v[40:41]
	v_div_scale_f64 v[44:45], vcc, v[36:37], v[38:39], v[36:37]
	v_fma_f64 v[46:47], -v[40:41], v[42:43], 1.0
	v_fmac_f64_e32 v[42:43], v[42:43], v[46:47]
	v_fma_f64 v[46:47], -v[40:41], v[42:43], 1.0
	v_fmac_f64_e32 v[42:43], v[42:43], v[46:47]
	v_mul_f64 v[46:47], v[44:45], v[42:43]
	v_fma_f64 v[40:41], -v[40:41], v[46:47], v[44:45]
	v_div_fmas_f64 v[40:41], v[40:41], v[42:43], v[46:47]
	v_div_fixup_f64 v[42:43], v[40:41], v[38:39], v[36:37]
	v_fmac_f64_e32 v[38:39], v[36:37], v[42:43]
	v_div_scale_f64 v[36:37], s[4:5], v[38:39], v[38:39], 1.0
	v_rcp_f64_e32 v[40:41], v[36:37]
	v_fma_f64 v[44:45], -v[36:37], v[40:41], 1.0
	v_fmac_f64_e32 v[40:41], v[40:41], v[44:45]
	v_fma_f64 v[44:45], -v[36:37], v[40:41], 1.0
	v_fmac_f64_e32 v[40:41], v[40:41], v[44:45]
	v_div_scale_f64 v[44:45], vcc, 1.0, v[38:39], 1.0
	v_mul_f64 v[46:47], v[44:45], v[40:41]
	v_fma_f64 v[36:37], -v[36:37], v[46:47], v[44:45]
	s_nop 1
	v_div_fmas_f64 v[36:37], v[36:37], v[40:41], v[46:47]
	v_div_fixup_f64 v[36:37], v[36:37], v[38:39], 1.0
	v_fma_f64 v[38:39], v[32:33], v[42:43], v[34:35]
	v_fma_f64 v[32:33], v[34:35], v[42:43], -v[32:33]
	v_mul_f64 v[40:41], v[38:39], v[36:37]
	v_mul_f64 v[42:43], v[32:33], v[36:37]
.LBB117_153:                            ;   in Loop: Header=BB117_114 Depth=1
	s_or_b64 exec, exec, s[2:3]
.LBB117_154:                            ;   in Loop: Header=BB117_114 Depth=1
	s_waitcnt vmcnt(0)
	v_xor_b32_e32 v32, 0x80000000, v29
	v_cmp_gt_f64_e32 vcc, 0, v[28:29]
	v_cndmask_b32_e32 v39, v29, v32, vcc
	v_xor_b32_e32 v32, 0x80000000, v31
	v_cmp_gt_f64_e32 vcc, 0, v[30:31]
	v_mov_b32_e32 v38, v28
	v_cndmask_b32_e32 v37, v31, v32, vcc
	v_mov_b32_e32 v36, v30
	s_and_b64 vcc, exec, s[0:1]
	v_cmp_ge_f64_e64 s[2:3], v[38:39], v[36:37]
	s_cbranch_vccnz .LBB117_164
; %bb.155:                              ;   in Loop: Header=BB117_114 Depth=1
                                        ; implicit-def: $vgpr34_vgpr35
                                        ; implicit-def: $vgpr44_vgpr45
	s_and_saveexec_b64 s[4:5], s[2:3]
	s_xor_b64 s[12:13], exec, s[4:5]
	s_cbranch_execz .LBB117_161
; %bb.156:                              ;   in Loop: Header=BB117_114 Depth=1
	v_cmp_neq_f64_e32 vcc, 0, v[28:29]
	v_cmp_neq_f64_e64 s[4:5], 0, v[30:31]
	s_or_b64 s[4:5], vcc, s[4:5]
                                        ; implicit-def: $vgpr34_vgpr35
                                        ; implicit-def: $vgpr44_vgpr45
	s_and_saveexec_b64 s[24:25], s[4:5]
	s_xor_b64 s[4:5], exec, s[24:25]
	s_cbranch_execz .LBB117_158
; %bb.157:                              ;   in Loop: Header=BB117_114 Depth=1
	v_div_scale_f64 v[32:33], s[24:25], v[28:29], v[28:29], v[30:31]
	v_rcp_f64_e32 v[34:35], v[32:33]
	v_div_scale_f64 v[44:45], vcc, v[30:31], v[28:29], v[30:31]
	v_fma_f64 v[46:47], -v[32:33], v[34:35], 1.0
	v_fmac_f64_e32 v[34:35], v[34:35], v[46:47]
	v_fma_f64 v[46:47], -v[32:33], v[34:35], 1.0
	v_fmac_f64_e32 v[34:35], v[34:35], v[46:47]
	v_mul_f64 v[46:47], v[44:45], v[34:35]
	v_fma_f64 v[32:33], -v[32:33], v[46:47], v[44:45]
	v_div_fmas_f64 v[32:33], v[32:33], v[34:35], v[46:47]
	v_div_fixup_f64 v[32:33], v[32:33], v[28:29], v[30:31]
	v_fma_f64 v[34:35], v[30:31], v[32:33], v[28:29]
	v_div_scale_f64 v[44:45], s[24:25], v[34:35], v[34:35], 1.0
	v_rcp_f64_e32 v[46:47], v[44:45]
	v_fma_f64 v[56:57], -v[44:45], v[46:47], 1.0
	v_fmac_f64_e32 v[46:47], v[46:47], v[56:57]
	v_fma_f64 v[56:57], -v[44:45], v[46:47], 1.0
	v_fmac_f64_e32 v[46:47], v[46:47], v[56:57]
	v_div_scale_f64 v[56:57], vcc, 1.0, v[34:35], 1.0
	v_mul_f64 v[58:59], v[56:57], v[46:47]
	v_fma_f64 v[44:45], -v[44:45], v[58:59], v[56:57]
	s_nop 1
	v_div_fmas_f64 v[44:45], v[44:45], v[46:47], v[58:59]
	v_div_fixup_f64 v[34:35], v[44:45], v[34:35], 1.0
	v_fma_f64 v[44:45], v[26:27], v[32:33], v[24:25]
	v_fma_f64 v[32:33], -v[24:25], v[32:33], v[26:27]
	v_mul_f64 v[44:45], v[44:45], v[34:35]
	v_mul_f64 v[34:35], v[32:33], v[34:35]
.LBB117_158:                            ;   in Loop: Header=BB117_114 Depth=1
	s_andn2_saveexec_b64 s[4:5], s[4:5]
	s_cbranch_execz .LBB117_160
; %bb.159:                              ;   in Loop: Header=BB117_114 Depth=1
	v_div_scale_f64 v[32:33], s[24:25], v[38:39], v[38:39], v[24:25]
	v_rcp_f64_e32 v[34:35], v[32:33]
	v_div_scale_f64 v[56:57], s[24:25], v[36:37], v[36:37], v[26:27]
	v_div_scale_f64 v[44:45], vcc, v[24:25], v[38:39], v[24:25]
	v_fma_f64 v[46:47], -v[32:33], v[34:35], 1.0
	v_fmac_f64_e32 v[34:35], v[34:35], v[46:47]
	v_fma_f64 v[46:47], -v[32:33], v[34:35], 1.0
	v_fmac_f64_e32 v[34:35], v[34:35], v[46:47]
	v_rcp_f64_e32 v[58:59], v[56:57]
	v_mul_f64 v[46:47], v[44:45], v[34:35]
	v_fma_f64 v[32:33], -v[32:33], v[46:47], v[44:45]
	v_div_fmas_f64 v[32:33], v[32:33], v[34:35], v[46:47]
	v_div_fixup_f64 v[44:45], v[32:33], v[38:39], v[24:25]
	v_fma_f64 v[32:33], -v[56:57], v[58:59], 1.0
	v_fmac_f64_e32 v[58:59], v[58:59], v[32:33]
	v_fma_f64 v[32:33], -v[56:57], v[58:59], 1.0
	v_fmac_f64_e32 v[58:59], v[58:59], v[32:33]
	v_div_scale_f64 v[32:33], vcc, v[26:27], v[36:37], v[26:27]
	v_mul_f64 v[34:35], v[32:33], v[58:59]
	v_fma_f64 v[32:33], -v[56:57], v[34:35], v[32:33]
	s_nop 1
	v_div_fmas_f64 v[32:33], v[32:33], v[58:59], v[34:35]
	v_div_fixup_f64 v[34:35], v[32:33], v[36:37], v[26:27]
.LBB117_160:                            ;   in Loop: Header=BB117_114 Depth=1
	s_or_b64 exec, exec, s[4:5]
.LBB117_161:                            ;   in Loop: Header=BB117_114 Depth=1
	s_andn2_saveexec_b64 s[4:5], s[12:13]
	s_cbranch_execz .LBB117_163
; %bb.162:                              ;   in Loop: Header=BB117_114 Depth=1
	v_div_scale_f64 v[32:33], s[12:13], v[30:31], v[30:31], v[28:29]
	v_rcp_f64_e32 v[34:35], v[32:33]
	v_div_scale_f64 v[44:45], vcc, v[28:29], v[30:31], v[28:29]
	v_fma_f64 v[46:47], -v[32:33], v[34:35], 1.0
	v_fmac_f64_e32 v[34:35], v[34:35], v[46:47]
	v_fma_f64 v[46:47], -v[32:33], v[34:35], 1.0
	v_fmac_f64_e32 v[34:35], v[34:35], v[46:47]
	v_mul_f64 v[46:47], v[44:45], v[34:35]
	v_fma_f64 v[32:33], -v[32:33], v[46:47], v[44:45]
	v_div_fmas_f64 v[32:33], v[32:33], v[34:35], v[46:47]
	v_div_fixup_f64 v[32:33], v[32:33], v[30:31], v[28:29]
	v_fma_f64 v[34:35], v[28:29], v[32:33], v[30:31]
	v_div_scale_f64 v[44:45], s[12:13], v[34:35], v[34:35], 1.0
	v_rcp_f64_e32 v[46:47], v[44:45]
	v_fma_f64 v[56:57], -v[44:45], v[46:47], 1.0
	v_fmac_f64_e32 v[46:47], v[46:47], v[56:57]
	v_fma_f64 v[56:57], -v[44:45], v[46:47], 1.0
	v_fmac_f64_e32 v[46:47], v[46:47], v[56:57]
	v_div_scale_f64 v[56:57], vcc, 1.0, v[34:35], 1.0
	v_mul_f64 v[58:59], v[56:57], v[46:47]
	v_fma_f64 v[44:45], -v[44:45], v[58:59], v[56:57]
	s_nop 1
	v_div_fmas_f64 v[44:45], v[44:45], v[46:47], v[58:59]
	v_div_fixup_f64 v[34:35], v[44:45], v[34:35], 1.0
	v_fma_f64 v[44:45], v[24:25], v[32:33], v[26:27]
	v_fma_f64 v[32:33], v[26:27], v[32:33], -v[24:25]
	v_mul_f64 v[44:45], v[44:45], v[34:35]
	v_mul_f64 v[34:35], v[32:33], v[34:35]
.LBB117_163:                            ;   in Loop: Header=BB117_114 Depth=1
	s_or_b64 exec, exec, s[4:5]
	v_mul_f64 v[32:33], s[18:19], v[34:35]
	v_mul_f64 v[34:35], s[16:17], v[34:35]
	v_fma_f64 v[32:33], s[16:17], v[44:45], -v[32:33]
	v_fmac_f64_e32 v[34:35], s[18:19], v[44:45]
	s_branch .LBB117_174
.LBB117_164:                            ;   in Loop: Header=BB117_114 Depth=1
                                        ; implicit-def: $vgpr34_vgpr35
                                        ; implicit-def: $vgpr32_vgpr33
	s_cbranch_execz .LBB117_174
; %bb.165:                              ;   in Loop: Header=BB117_114 Depth=1
                                        ; implicit-def: $vgpr34_vgpr35
                                        ; implicit-def: $vgpr32_vgpr33
	s_and_saveexec_b64 s[4:5], s[2:3]
	s_xor_b64 s[4:5], exec, s[4:5]
	s_cbranch_execz .LBB117_171
; %bb.166:                              ;   in Loop: Header=BB117_114 Depth=1
	v_cmp_neq_f64_e32 vcc, 0, v[28:29]
	v_cmp_neq_f64_e64 s[2:3], 0, v[30:31]
	s_or_b64 s[2:3], vcc, s[2:3]
                                        ; implicit-def: $vgpr34_vgpr35
                                        ; implicit-def: $vgpr32_vgpr33
	s_and_saveexec_b64 s[12:13], s[2:3]
	s_xor_b64 s[2:3], exec, s[12:13]
	s_cbranch_execz .LBB117_168
; %bb.167:                              ;   in Loop: Header=BB117_114 Depth=1
	v_div_scale_f64 v[32:33], s[12:13], v[28:29], v[28:29], v[30:31]
	v_rcp_f64_e32 v[34:35], v[32:33]
	v_div_scale_f64 v[36:37], vcc, v[30:31], v[28:29], v[30:31]
	v_fma_f64 v[38:39], -v[32:33], v[34:35], 1.0
	v_fmac_f64_e32 v[34:35], v[34:35], v[38:39]
	v_fma_f64 v[38:39], -v[32:33], v[34:35], 1.0
	v_fmac_f64_e32 v[34:35], v[34:35], v[38:39]
	v_mul_f64 v[38:39], v[36:37], v[34:35]
	v_fma_f64 v[32:33], -v[32:33], v[38:39], v[36:37]
	v_div_fmas_f64 v[32:33], v[32:33], v[34:35], v[38:39]
	v_div_fixup_f64 v[34:35], v[32:33], v[28:29], v[30:31]
	v_fmac_f64_e32 v[28:29], v[30:31], v[34:35]
	v_div_scale_f64 v[30:31], s[12:13], v[28:29], v[28:29], 1.0
	v_rcp_f64_e32 v[32:33], v[30:31]
	v_fma_f64 v[36:37], -v[30:31], v[32:33], 1.0
	v_fmac_f64_e32 v[32:33], v[32:33], v[36:37]
	v_fma_f64 v[36:37], -v[30:31], v[32:33], 1.0
	v_fmac_f64_e32 v[32:33], v[32:33], v[36:37]
	v_div_scale_f64 v[36:37], vcc, 1.0, v[28:29], 1.0
	v_mul_f64 v[38:39], v[36:37], v[32:33]
	v_fma_f64 v[30:31], -v[30:31], v[38:39], v[36:37]
                                        ; implicit-def: $vgpr36_vgpr37
	s_nop 1
	v_div_fmas_f64 v[30:31], v[30:31], v[32:33], v[38:39]
	v_div_fixup_f64 v[28:29], v[30:31], v[28:29], 1.0
	v_fma_f64 v[30:31], v[26:27], v[34:35], v[24:25]
	v_fma_f64 v[24:25], -v[24:25], v[34:35], v[26:27]
	v_mul_f64 v[32:33], v[30:31], v[28:29]
	v_mul_f64 v[34:35], v[24:25], v[28:29]
                                        ; implicit-def: $vgpr38_vgpr39
                                        ; implicit-def: $vgpr24_vgpr25
.LBB117_168:                            ;   in Loop: Header=BB117_114 Depth=1
	s_andn2_saveexec_b64 s[2:3], s[2:3]
	s_cbranch_execz .LBB117_170
; %bb.169:                              ;   in Loop: Header=BB117_114 Depth=1
	v_div_scale_f64 v[28:29], s[12:13], v[38:39], v[38:39], v[24:25]
	v_rcp_f64_e32 v[30:31], v[28:29]
	v_div_scale_f64 v[44:45], s[12:13], v[36:37], v[36:37], v[26:27]
	v_div_scale_f64 v[32:33], vcc, v[24:25], v[38:39], v[24:25]
	v_fma_f64 v[34:35], -v[28:29], v[30:31], 1.0
	v_fmac_f64_e32 v[30:31], v[30:31], v[34:35]
	v_fma_f64 v[34:35], -v[28:29], v[30:31], 1.0
	v_fmac_f64_e32 v[30:31], v[30:31], v[34:35]
	v_rcp_f64_e32 v[46:47], v[44:45]
	v_mul_f64 v[34:35], v[32:33], v[30:31]
	v_fma_f64 v[28:29], -v[28:29], v[34:35], v[32:33]
	v_div_fmas_f64 v[28:29], v[28:29], v[30:31], v[34:35]
	v_div_fixup_f64 v[32:33], v[28:29], v[38:39], v[24:25]
	v_fma_f64 v[24:25], -v[44:45], v[46:47], 1.0
	v_fmac_f64_e32 v[46:47], v[46:47], v[24:25]
	v_fma_f64 v[24:25], -v[44:45], v[46:47], 1.0
	v_fmac_f64_e32 v[46:47], v[46:47], v[24:25]
	v_div_scale_f64 v[24:25], vcc, v[26:27], v[36:37], v[26:27]
	v_mul_f64 v[28:29], v[24:25], v[46:47]
	v_fma_f64 v[24:25], -v[44:45], v[28:29], v[24:25]
	s_nop 1
	v_div_fmas_f64 v[24:25], v[24:25], v[46:47], v[28:29]
	v_div_fixup_f64 v[34:35], v[24:25], v[36:37], v[26:27]
.LBB117_170:                            ;   in Loop: Header=BB117_114 Depth=1
	s_or_b64 exec, exec, s[2:3]
                                        ; implicit-def: $vgpr30_vgpr31
                                        ; implicit-def: $vgpr24_vgpr25
.LBB117_171:                            ;   in Loop: Header=BB117_114 Depth=1
	s_andn2_saveexec_b64 s[2:3], s[4:5]
	s_cbranch_execz .LBB117_173
; %bb.172:                              ;   in Loop: Header=BB117_114 Depth=1
	v_div_scale_f64 v[32:33], s[4:5], v[30:31], v[30:31], v[28:29]
	v_rcp_f64_e32 v[34:35], v[32:33]
	v_div_scale_f64 v[36:37], vcc, v[28:29], v[30:31], v[28:29]
	v_fma_f64 v[38:39], -v[32:33], v[34:35], 1.0
	v_fmac_f64_e32 v[34:35], v[34:35], v[38:39]
	v_fma_f64 v[38:39], -v[32:33], v[34:35], 1.0
	v_fmac_f64_e32 v[34:35], v[34:35], v[38:39]
	v_mul_f64 v[38:39], v[36:37], v[34:35]
	v_fma_f64 v[32:33], -v[32:33], v[38:39], v[36:37]
	v_div_fmas_f64 v[32:33], v[32:33], v[34:35], v[38:39]
	v_div_fixup_f64 v[34:35], v[32:33], v[30:31], v[28:29]
	v_fmac_f64_e32 v[30:31], v[28:29], v[34:35]
	v_div_scale_f64 v[28:29], s[4:5], v[30:31], v[30:31], 1.0
	v_rcp_f64_e32 v[32:33], v[28:29]
	v_fma_f64 v[36:37], -v[28:29], v[32:33], 1.0
	v_fmac_f64_e32 v[32:33], v[32:33], v[36:37]
	v_fma_f64 v[36:37], -v[28:29], v[32:33], 1.0
	v_fmac_f64_e32 v[32:33], v[32:33], v[36:37]
	v_div_scale_f64 v[36:37], vcc, 1.0, v[30:31], 1.0
	v_mul_f64 v[38:39], v[36:37], v[32:33]
	v_fma_f64 v[28:29], -v[28:29], v[38:39], v[36:37]
	s_nop 1
	v_div_fmas_f64 v[28:29], v[28:29], v[32:33], v[38:39]
	v_div_fixup_f64 v[28:29], v[28:29], v[30:31], 1.0
	v_fma_f64 v[30:31], v[24:25], v[34:35], v[26:27]
	v_fma_f64 v[24:25], v[26:27], v[34:35], -v[24:25]
	v_mul_f64 v[32:33], v[30:31], v[28:29]
	v_mul_f64 v[34:35], v[24:25], v[28:29]
.LBB117_173:                            ;   in Loop: Header=BB117_114 Depth=1
	s_or_b64 exec, exec, s[2:3]
.LBB117_174:                            ;   in Loop: Header=BB117_114 Depth=1
	v_xor_b32_e32 v24, 0x80000000, v21
	v_cmp_gt_f64_e32 vcc, 0, v[20:21]
	v_cndmask_b32_e32 v27, v21, v24, vcc
	v_xor_b32_e32 v24, 0x80000000, v23
	v_cmp_gt_f64_e32 vcc, 0, v[22:23]
	v_mov_b32_e32 v26, v20
	v_cndmask_b32_e32 v25, v23, v24, vcc
	v_mov_b32_e32 v24, v22
	s_and_b64 vcc, exec, s[0:1]
	v_cmp_ge_f64_e64 s[0:1], v[26:27], v[24:25]
	s_cbranch_vccnz .LBB117_184
; %bb.175:                              ;   in Loop: Header=BB117_114 Depth=1
                                        ; implicit-def: $vgpr30_vgpr31
                                        ; implicit-def: $vgpr36_vgpr37
	s_and_saveexec_b64 s[2:3], s[0:1]
	s_xor_b64 s[4:5], exec, s[2:3]
	s_cbranch_execz .LBB117_181
; %bb.176:                              ;   in Loop: Header=BB117_114 Depth=1
	v_cmp_neq_f64_e32 vcc, 0, v[20:21]
	v_cmp_neq_f64_e64 s[2:3], 0, v[22:23]
	s_or_b64 s[2:3], vcc, s[2:3]
                                        ; implicit-def: $vgpr30_vgpr31
                                        ; implicit-def: $vgpr36_vgpr37
	s_and_saveexec_b64 s[12:13], s[2:3]
	s_xor_b64 s[2:3], exec, s[12:13]
	s_cbranch_execz .LBB117_178
; %bb.177:                              ;   in Loop: Header=BB117_114 Depth=1
	v_div_scale_f64 v[28:29], s[12:13], v[20:21], v[20:21], v[22:23]
	v_rcp_f64_e32 v[30:31], v[28:29]
	v_div_scale_f64 v[36:37], vcc, v[22:23], v[20:21], v[22:23]
	v_fma_f64 v[38:39], -v[28:29], v[30:31], 1.0
	v_fmac_f64_e32 v[30:31], v[30:31], v[38:39]
	v_fma_f64 v[38:39], -v[28:29], v[30:31], 1.0
	v_fmac_f64_e32 v[30:31], v[30:31], v[38:39]
	v_mul_f64 v[38:39], v[36:37], v[30:31]
	v_fma_f64 v[28:29], -v[28:29], v[38:39], v[36:37]
	v_div_fmas_f64 v[28:29], v[28:29], v[30:31], v[38:39]
	v_div_fixup_f64 v[28:29], v[28:29], v[20:21], v[22:23]
	v_fma_f64 v[30:31], v[22:23], v[28:29], v[20:21]
	v_div_scale_f64 v[36:37], s[12:13], v[30:31], v[30:31], 1.0
	v_rcp_f64_e32 v[38:39], v[36:37]
	v_fma_f64 v[44:45], -v[36:37], v[38:39], 1.0
	v_fmac_f64_e32 v[38:39], v[38:39], v[44:45]
	v_fma_f64 v[44:45], -v[36:37], v[38:39], 1.0
	v_fmac_f64_e32 v[38:39], v[38:39], v[44:45]
	v_div_scale_f64 v[44:45], vcc, 1.0, v[30:31], 1.0
	v_mul_f64 v[46:47], v[44:45], v[38:39]
	v_fma_f64 v[36:37], -v[36:37], v[46:47], v[44:45]
	s_nop 1
	v_div_fmas_f64 v[36:37], v[36:37], v[38:39], v[46:47]
	v_div_fixup_f64 v[30:31], v[36:37], v[30:31], 1.0
	v_fma_f64 v[36:37], v[18:19], v[28:29], v[16:17]
	v_fma_f64 v[28:29], -v[16:17], v[28:29], v[18:19]
	v_mul_f64 v[36:37], v[36:37], v[30:31]
	v_mul_f64 v[30:31], v[28:29], v[30:31]
.LBB117_178:                            ;   in Loop: Header=BB117_114 Depth=1
	s_andn2_saveexec_b64 s[2:3], s[2:3]
	s_cbranch_execz .LBB117_180
; %bb.179:                              ;   in Loop: Header=BB117_114 Depth=1
	v_div_scale_f64 v[28:29], s[12:13], v[26:27], v[26:27], v[16:17]
	v_rcp_f64_e32 v[30:31], v[28:29]
	v_div_scale_f64 v[44:45], s[12:13], v[24:25], v[24:25], v[18:19]
	v_div_scale_f64 v[36:37], vcc, v[16:17], v[26:27], v[16:17]
	v_fma_f64 v[38:39], -v[28:29], v[30:31], 1.0
	v_fmac_f64_e32 v[30:31], v[30:31], v[38:39]
	v_fma_f64 v[38:39], -v[28:29], v[30:31], 1.0
	v_fmac_f64_e32 v[30:31], v[30:31], v[38:39]
	v_rcp_f64_e32 v[46:47], v[44:45]
	v_mul_f64 v[38:39], v[36:37], v[30:31]
	v_fma_f64 v[28:29], -v[28:29], v[38:39], v[36:37]
	v_div_fmas_f64 v[28:29], v[28:29], v[30:31], v[38:39]
	v_div_fixup_f64 v[36:37], v[28:29], v[26:27], v[16:17]
	v_fma_f64 v[28:29], -v[44:45], v[46:47], 1.0
	v_fmac_f64_e32 v[46:47], v[46:47], v[28:29]
	v_fma_f64 v[28:29], -v[44:45], v[46:47], 1.0
	v_fmac_f64_e32 v[46:47], v[46:47], v[28:29]
	v_div_scale_f64 v[28:29], vcc, v[18:19], v[24:25], v[18:19]
	v_mul_f64 v[30:31], v[28:29], v[46:47]
	v_fma_f64 v[28:29], -v[44:45], v[30:31], v[28:29]
	s_nop 1
	v_div_fmas_f64 v[28:29], v[28:29], v[46:47], v[30:31]
	v_div_fixup_f64 v[30:31], v[28:29], v[24:25], v[18:19]
.LBB117_180:                            ;   in Loop: Header=BB117_114 Depth=1
	s_or_b64 exec, exec, s[2:3]
.LBB117_181:                            ;   in Loop: Header=BB117_114 Depth=1
	s_andn2_saveexec_b64 s[2:3], s[4:5]
	s_cbranch_execz .LBB117_183
; %bb.182:                              ;   in Loop: Header=BB117_114 Depth=1
	v_div_scale_f64 v[28:29], s[4:5], v[22:23], v[22:23], v[20:21]
	v_rcp_f64_e32 v[30:31], v[28:29]
	v_div_scale_f64 v[36:37], vcc, v[20:21], v[22:23], v[20:21]
	v_fma_f64 v[38:39], -v[28:29], v[30:31], 1.0
	v_fmac_f64_e32 v[30:31], v[30:31], v[38:39]
	v_fma_f64 v[38:39], -v[28:29], v[30:31], 1.0
	v_fmac_f64_e32 v[30:31], v[30:31], v[38:39]
	v_mul_f64 v[38:39], v[36:37], v[30:31]
	v_fma_f64 v[28:29], -v[28:29], v[38:39], v[36:37]
	v_div_fmas_f64 v[28:29], v[28:29], v[30:31], v[38:39]
	v_div_fixup_f64 v[28:29], v[28:29], v[22:23], v[20:21]
	v_fma_f64 v[30:31], v[20:21], v[28:29], v[22:23]
	v_div_scale_f64 v[36:37], s[4:5], v[30:31], v[30:31], 1.0
	v_rcp_f64_e32 v[38:39], v[36:37]
	v_fma_f64 v[44:45], -v[36:37], v[38:39], 1.0
	v_fmac_f64_e32 v[38:39], v[38:39], v[44:45]
	v_fma_f64 v[44:45], -v[36:37], v[38:39], 1.0
	v_fmac_f64_e32 v[38:39], v[38:39], v[44:45]
	v_div_scale_f64 v[44:45], vcc, 1.0, v[30:31], 1.0
	v_mul_f64 v[46:47], v[44:45], v[38:39]
	v_fma_f64 v[36:37], -v[36:37], v[46:47], v[44:45]
	s_nop 1
	v_div_fmas_f64 v[36:37], v[36:37], v[38:39], v[46:47]
	v_div_fixup_f64 v[30:31], v[36:37], v[30:31], 1.0
	v_fma_f64 v[36:37], v[16:17], v[28:29], v[18:19]
	v_fma_f64 v[28:29], v[18:19], v[28:29], -v[16:17]
	v_mul_f64 v[36:37], v[36:37], v[30:31]
	v_mul_f64 v[30:31], v[28:29], v[30:31]
.LBB117_183:                            ;   in Loop: Header=BB117_114 Depth=1
	s_or_b64 exec, exec, s[2:3]
	v_mul_f64 v[28:29], s[18:19], v[30:31]
	v_mul_f64 v[30:31], s[16:17], v[30:31]
	v_fma_f64 v[28:29], s[16:17], v[36:37], -v[28:29]
	v_fmac_f64_e32 v[30:31], s[18:19], v[36:37]
	s_branch .LBB117_113
.LBB117_184:                            ;   in Loop: Header=BB117_114 Depth=1
                                        ; implicit-def: $vgpr30_vgpr31
                                        ; implicit-def: $vgpr28_vgpr29
	s_cbranch_execz .LBB117_113
; %bb.185:                              ;   in Loop: Header=BB117_114 Depth=1
                                        ; implicit-def: $vgpr30_vgpr31
                                        ; implicit-def: $vgpr28_vgpr29
	s_and_saveexec_b64 s[2:3], s[0:1]
	s_xor_b64 s[2:3], exec, s[2:3]
	s_cbranch_execz .LBB117_191
; %bb.186:                              ;   in Loop: Header=BB117_114 Depth=1
	v_cmp_neq_f64_e32 vcc, 0, v[20:21]
	v_cmp_neq_f64_e64 s[0:1], 0, v[22:23]
	s_or_b64 s[0:1], vcc, s[0:1]
                                        ; implicit-def: $vgpr30_vgpr31
                                        ; implicit-def: $vgpr28_vgpr29
	s_and_saveexec_b64 s[4:5], s[0:1]
	s_xor_b64 s[0:1], exec, s[4:5]
	s_cbranch_execz .LBB117_188
; %bb.187:                              ;   in Loop: Header=BB117_114 Depth=1
	v_div_scale_f64 v[24:25], s[4:5], v[20:21], v[20:21], v[22:23]
	v_rcp_f64_e32 v[26:27], v[24:25]
	v_div_scale_f64 v[28:29], vcc, v[22:23], v[20:21], v[22:23]
	v_fma_f64 v[30:31], -v[24:25], v[26:27], 1.0
	v_fmac_f64_e32 v[26:27], v[26:27], v[30:31]
	v_fma_f64 v[30:31], -v[24:25], v[26:27], 1.0
	v_fmac_f64_e32 v[26:27], v[26:27], v[30:31]
	v_mul_f64 v[30:31], v[28:29], v[26:27]
	v_fma_f64 v[24:25], -v[24:25], v[30:31], v[28:29]
	v_div_fmas_f64 v[24:25], v[24:25], v[26:27], v[30:31]
	v_div_fixup_f64 v[24:25], v[24:25], v[20:21], v[22:23]
	v_fmac_f64_e32 v[20:21], v[22:23], v[24:25]
	v_div_scale_f64 v[22:23], s[4:5], v[20:21], v[20:21], 1.0
	v_rcp_f64_e32 v[26:27], v[22:23]
	v_fma_f64 v[28:29], -v[22:23], v[26:27], 1.0
	v_fmac_f64_e32 v[26:27], v[26:27], v[28:29]
	v_fma_f64 v[28:29], -v[22:23], v[26:27], 1.0
	v_fmac_f64_e32 v[26:27], v[26:27], v[28:29]
	v_div_scale_f64 v[28:29], vcc, 1.0, v[20:21], 1.0
	v_mul_f64 v[30:31], v[28:29], v[26:27]
	v_fma_f64 v[22:23], -v[22:23], v[30:31], v[28:29]
	s_nop 1
	v_div_fmas_f64 v[22:23], v[22:23], v[26:27], v[30:31]
	v_div_fixup_f64 v[20:21], v[22:23], v[20:21], 1.0
	v_fma_f64 v[22:23], v[18:19], v[24:25], v[16:17]
	v_fma_f64 v[16:17], -v[16:17], v[24:25], v[18:19]
	v_mul_f64 v[28:29], v[22:23], v[20:21]
	v_mul_f64 v[30:31], v[16:17], v[20:21]
                                        ; implicit-def: $vgpr26_vgpr27
                                        ; implicit-def: $vgpr16_vgpr17
                                        ; implicit-def: $vgpr24_vgpr25
.LBB117_188:                            ;   in Loop: Header=BB117_114 Depth=1
	s_andn2_saveexec_b64 s[0:1], s[0:1]
	s_cbranch_execz .LBB117_190
; %bb.189:                              ;   in Loop: Header=BB117_114 Depth=1
	v_div_scale_f64 v[20:21], s[4:5], v[26:27], v[26:27], v[16:17]
	v_rcp_f64_e32 v[22:23], v[20:21]
	v_div_scale_f64 v[36:37], s[4:5], v[24:25], v[24:25], v[18:19]
	v_div_scale_f64 v[28:29], vcc, v[16:17], v[26:27], v[16:17]
	v_fma_f64 v[30:31], -v[20:21], v[22:23], 1.0
	v_fmac_f64_e32 v[22:23], v[22:23], v[30:31]
	v_fma_f64 v[30:31], -v[20:21], v[22:23], 1.0
	v_fmac_f64_e32 v[22:23], v[22:23], v[30:31]
	v_rcp_f64_e32 v[38:39], v[36:37]
	v_mul_f64 v[30:31], v[28:29], v[22:23]
	v_fma_f64 v[20:21], -v[20:21], v[30:31], v[28:29]
	v_div_fmas_f64 v[20:21], v[20:21], v[22:23], v[30:31]
	v_div_fixup_f64 v[28:29], v[20:21], v[26:27], v[16:17]
	v_fma_f64 v[16:17], -v[36:37], v[38:39], 1.0
	v_fmac_f64_e32 v[38:39], v[38:39], v[16:17]
	v_fma_f64 v[16:17], -v[36:37], v[38:39], 1.0
	v_fmac_f64_e32 v[38:39], v[38:39], v[16:17]
	v_div_scale_f64 v[16:17], vcc, v[18:19], v[24:25], v[18:19]
	v_mul_f64 v[20:21], v[16:17], v[38:39]
	v_fma_f64 v[16:17], -v[36:37], v[20:21], v[16:17]
	s_nop 1
	v_div_fmas_f64 v[16:17], v[16:17], v[38:39], v[20:21]
	v_div_fixup_f64 v[30:31], v[16:17], v[24:25], v[18:19]
.LBB117_190:                            ;   in Loop: Header=BB117_114 Depth=1
	s_or_b64 exec, exec, s[0:1]
                                        ; implicit-def: $vgpr22_vgpr23
                                        ; implicit-def: $vgpr16_vgpr17
.LBB117_191:                            ;   in Loop: Header=BB117_114 Depth=1
	s_andn2_saveexec_b64 s[0:1], s[2:3]
	s_cbranch_execz .LBB117_112
; %bb.192:                              ;   in Loop: Header=BB117_114 Depth=1
	v_div_scale_f64 v[24:25], s[2:3], v[22:23], v[22:23], v[20:21]
	v_rcp_f64_e32 v[26:27], v[24:25]
	v_div_scale_f64 v[28:29], vcc, v[20:21], v[22:23], v[20:21]
	v_fma_f64 v[30:31], -v[24:25], v[26:27], 1.0
	v_fmac_f64_e32 v[26:27], v[26:27], v[30:31]
	v_fma_f64 v[30:31], -v[24:25], v[26:27], 1.0
	v_fmac_f64_e32 v[26:27], v[26:27], v[30:31]
	v_mul_f64 v[30:31], v[28:29], v[26:27]
	v_fma_f64 v[24:25], -v[24:25], v[30:31], v[28:29]
	v_div_fmas_f64 v[24:25], v[24:25], v[26:27], v[30:31]
	v_div_fixup_f64 v[24:25], v[24:25], v[22:23], v[20:21]
	v_fmac_f64_e32 v[22:23], v[20:21], v[24:25]
	v_div_scale_f64 v[20:21], s[2:3], v[22:23], v[22:23], 1.0
	v_rcp_f64_e32 v[26:27], v[20:21]
	v_fma_f64 v[28:29], -v[20:21], v[26:27], 1.0
	v_fmac_f64_e32 v[26:27], v[26:27], v[28:29]
	v_fma_f64 v[28:29], -v[20:21], v[26:27], 1.0
	v_fmac_f64_e32 v[26:27], v[26:27], v[28:29]
	v_div_scale_f64 v[28:29], vcc, 1.0, v[22:23], 1.0
	v_mul_f64 v[30:31], v[28:29], v[26:27]
	v_fma_f64 v[20:21], -v[20:21], v[30:31], v[28:29]
	s_nop 1
	v_div_fmas_f64 v[20:21], v[20:21], v[26:27], v[30:31]
	v_div_fixup_f64 v[20:21], v[20:21], v[22:23], 1.0
	v_fma_f64 v[22:23], v[16:17], v[24:25], v[18:19]
	v_fma_f64 v[16:17], v[18:19], v[24:25], -v[16:17]
	v_mul_f64 v[28:29], v[22:23], v[20:21]
	v_mul_f64 v[30:31], v[16:17], v[20:21]
	s_branch .LBB117_112
.LBB117_193:
	s_endpgm
	.section	.rodata,"a",@progbits
	.p2align	6, 0x0
	.amdhsa_kernel _ZN2at6native12_GLOBAL__N_125multi_tensor_apply_kernelINS1_28TensorListScalarListMetadataIN3c107complexIdEELi4EEENS1_28PointwiseOpScalarListFunctorIS6_Li4ELi3ELi3EEEJSt7dividesIS6_EEEEvT_T0_DpT1_
		.amdhsa_group_segment_fixed_size 0
		.amdhsa_private_segment_fixed_size 0
		.amdhsa_kernarg_size 3880
		.amdhsa_user_sgpr_count 6
		.amdhsa_user_sgpr_private_segment_buffer 1
		.amdhsa_user_sgpr_dispatch_ptr 0
		.amdhsa_user_sgpr_queue_ptr 0
		.amdhsa_user_sgpr_kernarg_segment_ptr 1
		.amdhsa_user_sgpr_dispatch_id 0
		.amdhsa_user_sgpr_flat_scratch_init 0
		.amdhsa_user_sgpr_kernarg_preload_length 0
		.amdhsa_user_sgpr_kernarg_preload_offset 0
		.amdhsa_user_sgpr_private_segment_size 0
		.amdhsa_uses_dynamic_stack 0
		.amdhsa_system_sgpr_private_segment_wavefront_offset 0
		.amdhsa_system_sgpr_workgroup_id_x 1
		.amdhsa_system_sgpr_workgroup_id_y 0
		.amdhsa_system_sgpr_workgroup_id_z 0
		.amdhsa_system_sgpr_workgroup_info 0
		.amdhsa_system_vgpr_workitem_id 0
		.amdhsa_next_free_vgpr 100
		.amdhsa_next_free_sgpr 54
		.amdhsa_accum_offset 100
		.amdhsa_reserve_vcc 1
		.amdhsa_reserve_flat_scratch 0
		.amdhsa_float_round_mode_32 0
		.amdhsa_float_round_mode_16_64 0
		.amdhsa_float_denorm_mode_32 3
		.amdhsa_float_denorm_mode_16_64 3
		.amdhsa_dx10_clamp 1
		.amdhsa_ieee_mode 1
		.amdhsa_fp16_overflow 0
		.amdhsa_tg_split 0
		.amdhsa_exception_fp_ieee_invalid_op 0
		.amdhsa_exception_fp_denorm_src 0
		.amdhsa_exception_fp_ieee_div_zero 0
		.amdhsa_exception_fp_ieee_overflow 0
		.amdhsa_exception_fp_ieee_underflow 0
		.amdhsa_exception_fp_ieee_inexact 0
		.amdhsa_exception_int_div_zero 0
	.end_amdhsa_kernel
	.section	.text._ZN2at6native12_GLOBAL__N_125multi_tensor_apply_kernelINS1_28TensorListScalarListMetadataIN3c107complexIdEELi4EEENS1_28PointwiseOpScalarListFunctorIS6_Li4ELi3ELi3EEEJSt7dividesIS6_EEEEvT_T0_DpT1_,"axG",@progbits,_ZN2at6native12_GLOBAL__N_125multi_tensor_apply_kernelINS1_28TensorListScalarListMetadataIN3c107complexIdEELi4EEENS1_28PointwiseOpScalarListFunctorIS6_Li4ELi3ELi3EEEJSt7dividesIS6_EEEEvT_T0_DpT1_,comdat
.Lfunc_end117:
	.size	_ZN2at6native12_GLOBAL__N_125multi_tensor_apply_kernelINS1_28TensorListScalarListMetadataIN3c107complexIdEELi4EEENS1_28PointwiseOpScalarListFunctorIS6_Li4ELi3ELi3EEEJSt7dividesIS6_EEEEvT_T0_DpT1_, .Lfunc_end117-_ZN2at6native12_GLOBAL__N_125multi_tensor_apply_kernelINS1_28TensorListScalarListMetadataIN3c107complexIdEELi4EEENS1_28PointwiseOpScalarListFunctorIS6_Li4ELi3ELi3EEEJSt7dividesIS6_EEEEvT_T0_DpT1_
                                        ; -- End function
	.section	.AMDGPU.csdata,"",@progbits
; Kernel info:
; codeLenInByte = 12584
; NumSgprs: 58
; NumVgprs: 100
; NumAgprs: 0
; TotalNumVgprs: 100
; ScratchSize: 0
; MemoryBound: 1
; FloatMode: 240
; IeeeMode: 1
; LDSByteSize: 0 bytes/workgroup (compile time only)
; SGPRBlocks: 7
; VGPRBlocks: 12
; NumSGPRsForWavesPerEU: 58
; NumVGPRsForWavesPerEU: 100
; AccumOffset: 100
; Occupancy: 4
; WaveLimiterHint : 0
; COMPUTE_PGM_RSRC2:SCRATCH_EN: 0
; COMPUTE_PGM_RSRC2:USER_SGPR: 6
; COMPUTE_PGM_RSRC2:TRAP_HANDLER: 0
; COMPUTE_PGM_RSRC2:TGID_X_EN: 1
; COMPUTE_PGM_RSRC2:TGID_Y_EN: 0
; COMPUTE_PGM_RSRC2:TGID_Z_EN: 0
; COMPUTE_PGM_RSRC2:TIDIG_COMP_CNT: 0
; COMPUTE_PGM_RSRC3_GFX90A:ACCUM_OFFSET: 24
; COMPUTE_PGM_RSRC3_GFX90A:TG_SPLIT: 0
	.section	.text._ZN2at6native12_GLOBAL__N_125multi_tensor_apply_kernelINS1_28TensorListScalarListMetadataIN3c107complexIfEELi4EEENS1_28PointwiseOpScalarListFunctorIS6_Li4ELi3ELi3EEEJSt7dividesIS6_EEEEvT_T0_DpT1_,"axG",@progbits,_ZN2at6native12_GLOBAL__N_125multi_tensor_apply_kernelINS1_28TensorListScalarListMetadataIN3c107complexIfEELi4EEENS1_28PointwiseOpScalarListFunctorIS6_Li4ELi3ELi3EEEJSt7dividesIS6_EEEEvT_T0_DpT1_,comdat
	.globl	_ZN2at6native12_GLOBAL__N_125multi_tensor_apply_kernelINS1_28TensorListScalarListMetadataIN3c107complexIfEELi4EEENS1_28PointwiseOpScalarListFunctorIS6_Li4ELi3ELi3EEEJSt7dividesIS6_EEEEvT_T0_DpT1_ ; -- Begin function _ZN2at6native12_GLOBAL__N_125multi_tensor_apply_kernelINS1_28TensorListScalarListMetadataIN3c107complexIfEELi4EEENS1_28PointwiseOpScalarListFunctorIS6_Li4ELi3ELi3EEEJSt7dividesIS6_EEEEvT_T0_DpT1_
	.p2align	8
	.type	_ZN2at6native12_GLOBAL__N_125multi_tensor_apply_kernelINS1_28TensorListScalarListMetadataIN3c107complexIfEELi4EEENS1_28PointwiseOpScalarListFunctorIS6_Li4ELi3ELi3EEEJSt7dividesIS6_EEEEvT_T0_DpT1_,@function
_ZN2at6native12_GLOBAL__N_125multi_tensor_apply_kernelINS1_28TensorListScalarListMetadataIN3c107complexIfEELi4EEENS1_28PointwiseOpScalarListFunctorIS6_Li4ELi3ELi3EEEJSt7dividesIS6_EEEEvT_T0_DpT1_: ; @_ZN2at6native12_GLOBAL__N_125multi_tensor_apply_kernelINS1_28TensorListScalarListMetadataIN3c107complexIfEELi4EEENS1_28PointwiseOpScalarListFunctorIS6_Li4ELi3ELi3EEEJSt7dividesIS6_EEEEvT_T0_DpT1_
; %bb.0:
	v_mov_b32_e32 v1, s6
	global_load_ubyte v1, v1, s[4:5] offset:1728
	s_add_u32 s0, s4, s6
	s_mul_hi_u32 s1, s6, 3
	s_mul_i32 s6, s6, 3
	s_addc_u32 s2, s5, 0
	s_add_u32 s0, s0, s6
	s_addc_u32 s1, s2, s1
	s_load_dword s14, s[0:1], 0x800
	s_mov_b32 s11, 0
	s_mov_b32 s13, s11
	s_waitcnt lgkmcnt(0)
	s_ashr_i32 s15, s14, 31
	s_lshl_b64 s[20:21], s[14:15], 19
	s_waitcnt vmcnt(0)
	v_readfirstlane_b32 s0, v1
	s_lshl_b32 s10, s0, 3
	s_load_dwordx2 s[22:23], s[4:5], s10 offset:0x480
	s_load_dwordx2 s[16:17], s[4:5], s10 offset:0x5a0
	;; [unrolled: 1-line block ×6, first 2 shown]
	s_waitcnt lgkmcnt(0)
	s_add_u32 s33, s6, s20
	s_addc_u32 s36, s7, s21
	s_add_u32 s37, s2, s20
	s_addc_u32 s38, s3, s21
	s_and_b32 s10, s37, 31
	s_add_u32 s39, s0, s20
	s_addc_u32 s40, s1, s21
	s_add_u32 s41, s8, s20
	s_addc_u32 s42, s9, s21
	s_or_b32 s12, s41, s39
	s_and_b32 s12, s12, 31
	s_cmp_eq_u32 s12, 0
	s_cselect_b64 s[18:19], -1, 0
	s_and_b32 s12, s33, 31
	s_cmp_eq_u64 s[10:11], 0
	s_cselect_b64 s[24:25], -1, 0
	s_lshl_b64 s[14:15], s[14:15], 16
	s_and_b64 s[24:25], s[18:19], s[24:25]
	s_sub_u32 s18, s22, s14
	s_subb_u32 s19, s23, s15
	s_and_b32 s10, s22, 3
	s_or_b64 s[10:11], s[12:13], s[10:11]
	s_cmp_eq_u64 s[10:11], 0
	s_cselect_b64 s[10:11], -1, 0
	s_and_b64 s[12:13], s[24:25], s[10:11]
	s_mov_b64 s[10:11], -1
	s_and_b64 vcc, exec, s[12:13]
	s_cbranch_vccnz .LBB118_109
; %bb.1:
	v_cmp_lt_i64_e64 s[10:11], s[18:19], 1
	s_and_b64 vcc, exec, s[10:11]
	s_cbranch_vccnz .LBB118_108
; %bb.2:
	s_load_dword s10, s[4:5], 0xd14
	v_mov_b32_e32 v2, 0x10000
	v_mov_b32_e32 v3, 0
	v_cmp_lt_u64_e32 vcc, s[18:19], v[2:3]
	v_lshlrev_b32_e32 v30, 3, v0
	s_waitcnt lgkmcnt(0)
	s_and_b32 s44, s10, 0xffff
	s_and_b64 s[10:11], vcc, exec
	v_mov_b32_e32 v27, s7
	v_add_co_u32_e32 v2, vcc, s6, v30
	v_addc_co_u32_e32 v3, vcc, 0, v27, vcc
	v_mov_b32_e32 v29, s3
	v_add_co_u32_e32 v4, vcc, s2, v30
	v_addc_co_u32_e32 v5, vcc, 0, v29, vcc
	s_cselect_b32 s23, s19, 0
	s_cselect_b32 s22, s18, 0x10000
	s_lshl_b32 s45, s44, 1
	s_and_b32 s10, s17, 0x7fffffff
	v_mov_b32_e32 v24, s9
	v_add_co_u32_e32 v6, vcc, s8, v30
	v_mov_b32_e32 v1, 0
	s_cmp_lg_u32 s10, 0
	v_addc_co_u32_e32 v7, vcc, 0, v24, vcc
	s_cselect_b64 s[10:11], -1, 0
	v_cmp_neq_f32_e64 s[12:13], s16, 1.0
	v_mov_b32_e32 v31, v1
	v_add_co_u32_e32 v6, vcc, 4, v6
	s_or_b64 s[24:25], s[12:13], s[10:11]
	v_addc_co_u32_e32 v7, vcc, 0, v7, vcc
	v_mad_u64_u32 v[14:15], s[10:11], s44, 24, v[30:31]
	v_add_co_u32_e32 v8, vcc, s6, v14
	v_addc_co_u32_e32 v9, vcc, v27, v15, vcc
	v_add_co_u32_e32 v10, vcc, s2, v14
	v_addc_co_u32_e32 v11, vcc, v29, v15, vcc
	v_mov_b32_e32 v33, s1
	v_add_co_u32_e32 v12, vcc, s0, v14
	v_addc_co_u32_e32 v13, vcc, v33, v15, vcc
	v_add_co_u32_e32 v14, vcc, s8, v14
	v_addc_co_u32_e32 v15, vcc, v15, v24, vcc
	;; [unrolled: 2-line block ×3, first 2 shown]
	s_lshl_b32 s1, s44, 4
	v_add_co_u32_e32 v25, vcc, s1, v30
	v_addc_co_u32_e64 v26, s[10:11], 0, 0, vcc
	v_add_co_u32_e32 v16, vcc, s6, v25
	v_addc_co_u32_e32 v17, vcc, v27, v26, vcc
	v_add_co_u32_e32 v18, vcc, s2, v25
	v_addc_co_u32_e32 v19, vcc, v29, v26, vcc
	;; [unrolled: 2-line block ×3, first 2 shown]
	v_add_lshl_u32 v32, v0, s44, 3
	v_mov_b32_e32 v23, s9
	v_add_co_u32_e32 v22, vcc, s8, v32
	v_addc_co_u32_e32 v23, vcc, 0, v23, vcc
	v_add_co_u32_e32 v25, vcc, s8, v25
	v_addc_co_u32_e32 v26, vcc, v26, v24, vcc
	;; [unrolled: 2-line block ×5, first 2 shown]
	v_add_co_u32_e32 v30, vcc, s0, v30
	s_mov_b32 s43, 0
	v_addc_co_u32_e32 v31, vcc, 0, v33, vcc
	s_lshl_b32 s26, s44, 2
	s_mov_b32 s27, s43
	v_add_co_u32_e32 v32, vcc, s0, v32
	s_mov_b32 s46, s43
	s_mul_i32 s47, s44, 3
	s_mov_b32 s48, s43
	s_mov_b32 s28, s17
	;; [unrolled: 1-line block ×3, first 2 shown]
	s_lshl_b32 s49, s44, 5
	s_mov_b32 s50, s43
	s_mov_b64 s[30:31], s[26:27]
	v_addc_co_u32_e32 v33, vcc, 0, v33, vcc
	v_pk_mov_b32 v[34:35], v[0:1], v[0:1] op_sel:[0,1]
	s_branch .LBB118_4
.LBB118_3:                              ;   in Loop: Header=BB118_4 Depth=1
	s_or_b64 exec, exec, s[0:1]
	v_mov_b32_e32 v1, s27
	v_add_co_u32_e64 v34, s[2:3], s26, v34
	v_addc_co_u32_e64 v35, s[2:3], v35, v1, s[2:3]
	v_mov_b32_e32 v1, s50
	v_add_co_u32_e64 v2, s[2:3], s49, v2
	v_addc_co_u32_e64 v3, s[2:3], v3, v1, s[2:3]
	v_add_co_u32_e64 v4, s[2:3], s49, v4
	v_addc_co_u32_e64 v5, s[2:3], v5, v1, s[2:3]
	;; [unrolled: 2-line block ×12, first 2 shown]
	v_add_co_u32_e64 v24, s[2:3], s49, v24
	v_pk_mov_b32 v[36:37], s[18:19], s[18:19] op_sel:[0,1]
	v_addc_co_u32_e64 v25, s[2:3], v25, v1, s[2:3]
	v_cmp_ge_i64_e32 vcc, s[30:31], v[36:37]
	v_mov_b32_e32 v36, 0xffff
	v_add_co_u32_e64 v26, s[2:3], s49, v26
	v_mov_b32_e32 v37, 0
	v_addc_co_u32_e64 v27, s[2:3], v27, v1, s[2:3]
	v_cmp_gt_u64_e64 s[0:1], s[30:31], v[36:37]
	v_add_co_u32_e64 v28, s[2:3], s49, v28
	v_addc_co_u32_e64 v29, s[2:3], v29, v1, s[2:3]
	s_or_b64 s[0:1], vcc, s[0:1]
	v_add_co_u32_e64 v32, s[2:3], s49, v32
	s_add_u32 s30, s30, s26
	v_addc_co_u32_e64 v33, s[2:3], v33, v1, s[2:3]
	s_addc_u32 s31, s31, 0
	s_and_b64 vcc, exec, s[0:1]
	s_cbranch_vccnz .LBB118_108
.LBB118_4:                              ; =>This Inner Loop Header: Depth=1
	v_cmp_gt_u64_e64 s[0:1], s[22:23], v[34:35]
	v_mov_b32_e32 v37, 0
	v_mov_b32_e32 v36, 0
	;; [unrolled: 1-line block ×4, first 2 shown]
	s_and_saveexec_b64 s[2:3], s[0:1]
	s_cbranch_execz .LBB118_6
; %bb.5:                                ;   in Loop: Header=BB118_4 Depth=1
	v_mov_b32_e32 v1, s21
	v_add_co_u32_e32 v36, vcc, s20, v4
	v_addc_co_u32_e32 v37, vcc, v5, v1, vcc
	global_load_dwordx2 v[38:39], v[36:37], off
	v_add_co_u32_e32 v36, vcc, s20, v2
	v_addc_co_u32_e32 v37, vcc, v3, v1, vcc
	global_load_dwordx2 v[36:37], v[36:37], off
	s_waitcnt vmcnt(1)
	v_mov_b32_e32 v54, v39
	v_mov_b32_e32 v55, v38
.LBB118_6:                              ;   in Loop: Header=BB118_4 Depth=1
	s_or_b64 exec, exec, s[2:3]
	v_mov_b32_e32 v39, 0
	v_mov_b32_e32 v61, 0
	v_mov_b32_e32 v60, 0
	s_and_saveexec_b64 s[2:3], s[0:1]
	s_cbranch_execz .LBB118_8
; %bb.7:                                ;   in Loop: Header=BB118_4 Depth=1
	v_mov_b32_e32 v1, s21
	v_add_co_u32_e32 v40, vcc, s20, v30
	v_addc_co_u32_e32 v41, vcc, v31, v1, vcc
	global_load_dwordx2 v[60:61], v[40:41], off
.LBB118_8:                              ;   in Loop: Header=BB118_4 Depth=1
	s_or_b64 exec, exec, s[2:3]
	v_mov_b32_e32 v1, s43
	v_add_co_u32_e32 v40, vcc, s44, v34
	v_addc_co_u32_e32 v41, vcc, v1, v35, vcc
	v_cmp_gt_u64_e64 s[2:3], s[22:23], v[40:41]
	v_mov_b32_e32 v38, 0
	v_mov_b32_e32 v56, 0
	;; [unrolled: 1-line block ×3, first 2 shown]
	s_and_saveexec_b64 s[6:7], s[2:3]
	s_cbranch_execz .LBB118_10
; %bb.9:                                ;   in Loop: Header=BB118_4 Depth=1
	v_mov_b32_e32 v1, s21
	v_add_co_u32_e32 v38, vcc, s20, v28
	v_addc_co_u32_e32 v39, vcc, v29, v1, vcc
	global_load_dwordx2 v[40:41], v[38:39], off
	v_add_co_u32_e32 v38, vcc, s20, v26
	v_addc_co_u32_e32 v39, vcc, v27, v1, vcc
	global_load_dwordx2 v[38:39], v[38:39], off
	s_waitcnt vmcnt(1)
	v_mov_b32_e32 v56, v41
	v_mov_b32_e32 v57, v40
.LBB118_10:                             ;   in Loop: Header=BB118_4 Depth=1
	s_or_b64 exec, exec, s[6:7]
	v_mov_b32_e32 v41, 0
	v_mov_b32_e32 v59, 0
	;; [unrolled: 1-line block ×3, first 2 shown]
	s_and_saveexec_b64 s[6:7], s[2:3]
	s_cbranch_execz .LBB118_12
; %bb.11:                               ;   in Loop: Header=BB118_4 Depth=1
	v_mov_b32_e32 v1, s21
	v_add_co_u32_e32 v42, vcc, s20, v32
	v_addc_co_u32_e32 v43, vcc, v33, v1, vcc
	global_load_dwordx2 v[58:59], v[42:43], off
.LBB118_12:                             ;   in Loop: Header=BB118_4 Depth=1
	s_or_b64 exec, exec, s[6:7]
	v_mov_b32_e32 v1, s46
	v_add_co_u32_e32 v42, vcc, s45, v34
	v_addc_co_u32_e32 v43, vcc, v1, v35, vcc
	v_cmp_gt_u64_e64 s[6:7], s[22:23], v[42:43]
	v_mov_b32_e32 v40, 0
	v_mov_b32_e32 v50, 0
	;; [unrolled: 1-line block ×3, first 2 shown]
	s_and_saveexec_b64 s[8:9], s[6:7]
	s_cbranch_execz .LBB118_14
; %bb.13:                               ;   in Loop: Header=BB118_4 Depth=1
	v_mov_b32_e32 v1, s21
	v_add_co_u32_e32 v40, vcc, s20, v18
	v_addc_co_u32_e32 v41, vcc, v19, v1, vcc
	global_load_dwordx2 v[42:43], v[40:41], off
	v_add_co_u32_e32 v40, vcc, s20, v16
	v_addc_co_u32_e32 v41, vcc, v17, v1, vcc
	global_load_dwordx2 v[40:41], v[40:41], off
	s_waitcnt vmcnt(1)
	v_mov_b32_e32 v50, v43
	v_mov_b32_e32 v51, v42
.LBB118_14:                             ;   in Loop: Header=BB118_4 Depth=1
	s_or_b64 exec, exec, s[8:9]
	v_mov_b32_e32 v43, 0
	v_mov_b32_e32 v53, 0
	;; [unrolled: 1-line block ×3, first 2 shown]
	s_and_saveexec_b64 s[8:9], s[6:7]
	s_cbranch_execz .LBB118_16
; %bb.15:                               ;   in Loop: Header=BB118_4 Depth=1
	v_mov_b32_e32 v1, s21
	v_add_co_u32_e32 v44, vcc, s20, v20
	v_addc_co_u32_e32 v45, vcc, v21, v1, vcc
	global_load_dwordx2 v[52:53], v[44:45], off
.LBB118_16:                             ;   in Loop: Header=BB118_4 Depth=1
	s_or_b64 exec, exec, s[8:9]
	v_mov_b32_e32 v1, s48
	v_add_co_u32_e32 v44, vcc, s47, v34
	v_addc_co_u32_e32 v45, vcc, v1, v35, vcc
	v_cmp_gt_u64_e64 s[8:9], s[22:23], v[44:45]
	v_mov_b32_e32 v42, 0
	v_mov_b32_e32 v44, 0
	;; [unrolled: 1-line block ×3, first 2 shown]
	s_and_saveexec_b64 s[10:11], s[8:9]
	s_cbranch_execz .LBB118_18
; %bb.17:                               ;   in Loop: Header=BB118_4 Depth=1
	v_mov_b32_e32 v1, s21
	v_add_co_u32_e32 v42, vcc, s20, v10
	v_addc_co_u32_e32 v43, vcc, v11, v1, vcc
	global_load_dwordx2 v[46:47], v[42:43], off
	v_add_co_u32_e32 v42, vcc, s20, v8
	v_addc_co_u32_e32 v43, vcc, v9, v1, vcc
	global_load_dwordx2 v[42:43], v[42:43], off
	s_waitcnt vmcnt(1)
	v_mov_b32_e32 v44, v47
	v_mov_b32_e32 v45, v46
.LBB118_18:                             ;   in Loop: Header=BB118_4 Depth=1
	s_or_b64 exec, exec, s[10:11]
	v_mov_b32_e32 v47, 0
	v_mov_b32_e32 v46, 0
	s_and_saveexec_b64 s[10:11], s[8:9]
	s_cbranch_execz .LBB118_20
; %bb.19:                               ;   in Loop: Header=BB118_4 Depth=1
	v_mov_b32_e32 v1, s21
	v_add_co_u32_e32 v46, vcc, s20, v12
	v_addc_co_u32_e32 v47, vcc, v13, v1, vcc
	global_load_dwordx2 v[46:47], v[46:47], off
.LBB118_20:                             ;   in Loop: Header=BB118_4 Depth=1
	s_or_b64 exec, exec, s[10:11]
	s_waitcnt vmcnt(0)
	v_cmp_gt_f32_e32 vcc, 0, v60
	v_cndmask_b32_e64 v1, v60, -v60, vcc
	v_cmp_gt_f32_e32 vcc, 0, v61
	v_cndmask_b32_e64 v63, v61, -v61, vcc
	v_cmp_ge_f32_e64 s[10:11], v1, v63
	s_and_b64 vcc, exec, s[24:25]
	s_cbranch_vccz .LBB118_30
; %bb.21:                               ;   in Loop: Header=BB118_4 Depth=1
                                        ; implicit-def: $vgpr62
                                        ; implicit-def: $vgpr48
	s_and_saveexec_b64 s[12:13], s[10:11]
	s_xor_b64 s[14:15], exec, s[12:13]
	s_cbranch_execz .LBB118_27
; %bb.22:                               ;   in Loop: Header=BB118_4 Depth=1
	v_cmp_neq_f32_e32 vcc, 0, v60
	v_cmp_neq_f32_e64 s[12:13], 0, v61
	s_or_b64 s[12:13], s[12:13], vcc
                                        ; implicit-def: $vgpr62
                                        ; implicit-def: $vgpr48
	s_and_saveexec_b64 s[34:35], s[12:13]
	s_xor_b64 s[12:13], exec, s[34:35]
	s_cbranch_execz .LBB118_24
; %bb.23:                               ;   in Loop: Header=BB118_4 Depth=1
	v_div_scale_f32 v48, s[34:35], v60, v60, v61
	v_rcp_f32_e32 v49, v48
	v_div_scale_f32 v62, vcc, v61, v60, v61
	v_fma_f32 v64, -v48, v49, 1.0
	v_fmac_f32_e32 v49, v64, v49
	v_mul_f32_e32 v64, v62, v49
	v_fma_f32 v65, -v48, v64, v62
	v_fmac_f32_e32 v64, v65, v49
	v_fma_f32 v48, -v48, v64, v62
	v_div_fmas_f32 v48, v48, v49, v64
	v_div_fixup_f32 v49, v48, v60, v61
	v_fma_f32 v48, v61, v49, v60
	v_div_scale_f32 v62, s[34:35], v48, v48, 1.0
	v_rcp_f32_e32 v64, v62
	v_fma_f32 v65, -v62, v64, 1.0
	v_fmac_f32_e32 v64, v65, v64
	v_div_scale_f32 v65, vcc, 1.0, v48, 1.0
	v_mul_f32_e32 v66, v65, v64
	v_fma_f32 v67, -v62, v66, v65
	v_fmac_f32_e32 v66, v67, v64
	v_fma_f32 v62, -v62, v66, v65
	v_div_fmas_f32 v62, v62, v64, v66
	v_div_fixup_f32 v62, v62, v48, 1.0
	v_fma_f32 v48, v54, v49, v55
	v_fma_f32 v49, -v55, v49, v54
	v_mul_f32_e32 v48, v48, v62
	v_mul_f32_e32 v62, v49, v62
.LBB118_24:                             ;   in Loop: Header=BB118_4 Depth=1
	s_andn2_saveexec_b64 s[12:13], s[12:13]
	s_cbranch_execz .LBB118_26
; %bb.25:                               ;   in Loop: Header=BB118_4 Depth=1
	v_div_scale_f32 v48, s[34:35], v1, v1, v55
	v_rcp_f32_e32 v49, v48
	v_div_scale_f32 v62, vcc, v55, v1, v55
	v_fma_f32 v64, -v48, v49, 1.0
	v_fmac_f32_e32 v49, v64, v49
	v_mul_f32_e32 v64, v62, v49
	v_fma_f32 v65, -v48, v64, v62
	v_fmac_f32_e32 v64, v65, v49
	v_fma_f32 v48, -v48, v64, v62
	v_div_scale_f32 v62, s[34:35], v63, v63, v54
	v_rcp_f32_e32 v65, v62
	v_div_fmas_f32 v48, v48, v49, v64
	v_div_fixup_f32 v48, v48, v1, v55
	v_fma_f32 v49, -v62, v65, 1.0
	v_fmac_f32_e32 v65, v49, v65
	v_div_scale_f32 v49, vcc, v54, v63, v54
	v_mul_f32_e32 v64, v49, v65
	v_fma_f32 v66, -v62, v64, v49
	v_fmac_f32_e32 v64, v66, v65
	v_fma_f32 v49, -v62, v64, v49
	v_div_fmas_f32 v49, v49, v65, v64
	v_div_fixup_f32 v62, v49, v63, v54
.LBB118_26:                             ;   in Loop: Header=BB118_4 Depth=1
	s_or_b64 exec, exec, s[12:13]
.LBB118_27:                             ;   in Loop: Header=BB118_4 Depth=1
	s_andn2_saveexec_b64 s[12:13], s[14:15]
	s_cbranch_execz .LBB118_29
; %bb.28:                               ;   in Loop: Header=BB118_4 Depth=1
	v_div_scale_f32 v48, s[14:15], v61, v61, v60
	v_rcp_f32_e32 v49, v48
	v_div_scale_f32 v62, vcc, v60, v61, v60
	v_fma_f32 v64, -v48, v49, 1.0
	v_fmac_f32_e32 v49, v64, v49
	v_mul_f32_e32 v64, v62, v49
	v_fma_f32 v65, -v48, v64, v62
	v_fmac_f32_e32 v64, v65, v49
	v_fma_f32 v48, -v48, v64, v62
	v_div_fmas_f32 v48, v48, v49, v64
	v_div_fixup_f32 v49, v48, v61, v60
	v_fma_f32 v48, v60, v49, v61
	v_div_scale_f32 v62, s[14:15], v48, v48, 1.0
	v_rcp_f32_e32 v64, v62
	v_fma_f32 v65, -v62, v64, 1.0
	v_fmac_f32_e32 v64, v65, v64
	v_div_scale_f32 v65, vcc, 1.0, v48, 1.0
	v_mul_f32_e32 v66, v65, v64
	v_fma_f32 v67, -v62, v66, v65
	v_fmac_f32_e32 v66, v67, v64
	v_fma_f32 v62, -v62, v66, v65
	v_div_fmas_f32 v62, v62, v64, v66
	v_div_fixup_f32 v62, v62, v48, 1.0
	v_fma_f32 v48, v55, v49, v54
	v_fma_f32 v49, v54, v49, -v55
	v_mul_f32_e32 v48, v48, v62
	v_mul_f32_e32 v62, v49, v62
.LBB118_29:                             ;   in Loop: Header=BB118_4 Depth=1
	s_or_b64 exec, exec, s[12:13]
	v_pk_mul_f32 v[66:67], v[48:49], s[16:17] op_sel_hi:[0,1]
	v_pk_mul_f32 v[64:65], v[62:63], s[16:17] op_sel_hi:[0,1]
	v_pk_fma_f32 v[48:49], v[62:63], s[16:17], v[66:67] op_sel:[0,0,1] op_sel_hi:[0,1,0] neg_lo:[1,0,0] neg_hi:[1,0,0]
	v_add_f32_e32 v48, v67, v64
	s_branch .LBB118_40
.LBB118_30:                             ;   in Loop: Header=BB118_4 Depth=1
                                        ; implicit-def: $vgpr49
	s_cbranch_execz .LBB118_40
; %bb.31:                               ;   in Loop: Header=BB118_4 Depth=1
                                        ; implicit-def: $vgpr49
	s_and_saveexec_b64 s[12:13], s[10:11]
	s_xor_b64 s[12:13], exec, s[12:13]
	s_cbranch_execz .LBB118_37
; %bb.32:                               ;   in Loop: Header=BB118_4 Depth=1
	v_cmp_neq_f32_e32 vcc, 0, v60
	v_cmp_neq_f32_e64 s[10:11], 0, v61
	s_or_b64 s[10:11], s[10:11], vcc
                                        ; implicit-def: $vgpr49
	s_and_saveexec_b64 s[14:15], s[10:11]
	s_xor_b64 s[10:11], exec, s[14:15]
	s_cbranch_execz .LBB118_34
; %bb.33:                               ;   in Loop: Header=BB118_4 Depth=1
	v_div_scale_f32 v1, s[14:15], v60, v60, v61
	v_rcp_f32_e32 v48, v1
	v_div_scale_f32 v49, vcc, v61, v60, v61
	v_fma_f32 v62, -v1, v48, 1.0
	v_fmac_f32_e32 v48, v62, v48
	v_mul_f32_e32 v62, v49, v48
	v_fma_f32 v63, -v1, v62, v49
	v_fmac_f32_e32 v62, v63, v48
	v_fma_f32 v1, -v1, v62, v49
	v_div_fmas_f32 v1, v1, v48, v62
	v_div_fixup_f32 v48, v1, v60, v61
	v_fmac_f32_e32 v60, v61, v48
	v_div_scale_f32 v1, s[14:15], v60, v60, 1.0
	v_rcp_f32_e32 v49, v1
	v_fma_f32 v61, -v1, v49, 1.0
	v_fmac_f32_e32 v49, v61, v49
	v_div_scale_f32 v61, vcc, 1.0, v60, 1.0
	v_mul_f32_e32 v62, v61, v49
	v_fma_f32 v63, -v1, v62, v61
	v_fmac_f32_e32 v62, v63, v49
	v_fma_f32 v1, -v1, v62, v61
	v_div_fmas_f32 v1, v1, v49, v62
	v_pk_mul_f32 v[48:49], v[54:55], v[48:49] op_sel_hi:[1,0]
	v_pk_add_f32 v[62:63], v[54:55], v[48:49] op_sel:[0,1] op_sel_hi:[1,0] neg_lo:[0,1] neg_hi:[0,1]
	v_pk_add_f32 v[48:49], v[54:55], v[48:49] op_sel:[0,1] op_sel_hi:[1,0]
	v_div_fixup_f32 v60, v1, v60, 1.0
	v_mov_b32_e32 v63, v49
	v_pk_mul_f32 v[48:49], v[62:63], v[60:61] op_sel_hi:[1,0]
                                        ; implicit-def: $vgpr63
                                        ; implicit-def: $vgpr54_vgpr55
                                        ; implicit-def: $vgpr1
.LBB118_34:                             ;   in Loop: Header=BB118_4 Depth=1
	s_andn2_saveexec_b64 s[10:11], s[10:11]
	s_cbranch_execz .LBB118_36
; %bb.35:                               ;   in Loop: Header=BB118_4 Depth=1
	v_div_scale_f32 v48, s[14:15], v63, v63, v54
	v_rcp_f32_e32 v49, v48
	v_div_scale_f32 v60, vcc, v54, v63, v54
	v_fma_f32 v61, -v48, v49, 1.0
	v_fmac_f32_e32 v49, v61, v49
	v_mul_f32_e32 v61, v60, v49
	v_fma_f32 v62, -v48, v61, v60
	v_fmac_f32_e32 v61, v62, v49
	v_fma_f32 v48, -v48, v61, v60
	v_div_scale_f32 v60, s[14:15], v1, v1, v55
	v_rcp_f32_e32 v62, v60
	v_div_fmas_f32 v48, v48, v49, v61
	v_div_fixup_f32 v48, v48, v63, v54
	v_fma_f32 v49, -v60, v62, 1.0
	v_fmac_f32_e32 v62, v49, v62
	v_div_scale_f32 v49, vcc, v55, v1, v55
	v_mul_f32_e32 v54, v49, v62
	v_fma_f32 v61, -v60, v54, v49
	v_fmac_f32_e32 v54, v61, v62
	v_fma_f32 v49, -v60, v54, v49
	v_div_fmas_f32 v49, v49, v62, v54
	v_div_fixup_f32 v49, v49, v1, v55
.LBB118_36:                             ;   in Loop: Header=BB118_4 Depth=1
	s_or_b64 exec, exec, s[10:11]
                                        ; implicit-def: $vgpr61
                                        ; implicit-def: $vgpr54_vgpr55
.LBB118_37:                             ;   in Loop: Header=BB118_4 Depth=1
	s_andn2_saveexec_b64 s[10:11], s[12:13]
	s_cbranch_execz .LBB118_39
; %bb.38:                               ;   in Loop: Header=BB118_4 Depth=1
	v_div_scale_f32 v1, s[12:13], v61, v61, v60
	v_rcp_f32_e32 v48, v1
	v_div_scale_f32 v49, vcc, v60, v61, v60
	v_fma_f32 v62, -v1, v48, 1.0
	v_fmac_f32_e32 v48, v62, v48
	v_mul_f32_e32 v62, v49, v48
	v_fma_f32 v63, -v1, v62, v49
	v_fmac_f32_e32 v62, v63, v48
	v_fma_f32 v1, -v1, v62, v49
	v_div_fmas_f32 v1, v1, v48, v62
	v_div_fixup_f32 v48, v1, v61, v60
	v_fmac_f32_e32 v61, v60, v48
	v_div_scale_f32 v1, s[12:13], v61, v61, 1.0
	v_rcp_f32_e32 v49, v1
	v_fma_f32 v60, -v1, v49, 1.0
	v_fmac_f32_e32 v49, v60, v49
	v_div_scale_f32 v60, vcc, 1.0, v61, 1.0
	v_mul_f32_e32 v62, v60, v49
	v_fma_f32 v63, -v1, v62, v60
	v_fmac_f32_e32 v62, v63, v49
	v_fma_f32 v1, -v1, v62, v60
	v_div_fmas_f32 v1, v1, v49, v62
	v_pk_fma_f32 v[62:63], v[54:55], v[48:49], v[54:55] op_sel:[0,0,1] op_sel_hi:[1,1,0] neg_lo:[0,0,1] neg_hi:[0,0,1]
	v_pk_fma_f32 v[48:49], v[54:55], v[48:49], v[54:55] op_sel:[0,0,1] op_sel_hi:[1,0,0]
	v_div_fixup_f32 v60, v1, v61, 1.0
	v_mov_b32_e32 v63, v49
	v_pk_mul_f32 v[48:49], v[62:63], v[60:61] op_sel_hi:[1,0]
.LBB118_39:                             ;   in Loop: Header=BB118_4 Depth=1
	s_or_b64 exec, exec, s[10:11]
.LBB118_40:                             ;   in Loop: Header=BB118_4 Depth=1
	v_cmp_gt_f32_e32 vcc, 0, v58
	v_cndmask_b32_e64 v1, v58, -v58, vcc
	v_cmp_gt_f32_e32 vcc, 0, v59
	v_cndmask_b32_e64 v61, v59, -v59, vcc
	v_cndmask_b32_e64 v54, 0, 1, s[24:25]
	v_cmp_ne_u32_e64 s[10:11], 1, v54
	s_andn2_b64 vcc, exec, s[24:25]
	v_cmp_ge_f32_e64 s[12:13], v1, v61
	s_cbranch_vccnz .LBB118_50
; %bb.41:                               ;   in Loop: Header=BB118_4 Depth=1
                                        ; implicit-def: $vgpr60
                                        ; implicit-def: $vgpr54
	s_and_saveexec_b64 s[14:15], s[12:13]
	s_xor_b64 s[34:35], exec, s[14:15]
	s_cbranch_execz .LBB118_47
; %bb.42:                               ;   in Loop: Header=BB118_4 Depth=1
	v_cmp_neq_f32_e32 vcc, 0, v58
	v_cmp_neq_f32_e64 s[14:15], 0, v59
	s_or_b64 s[14:15], s[14:15], vcc
                                        ; implicit-def: $vgpr60
                                        ; implicit-def: $vgpr54
	s_and_saveexec_b64 s[52:53], s[14:15]
	s_xor_b64 s[14:15], exec, s[52:53]
	s_cbranch_execz .LBB118_44
; %bb.43:                               ;   in Loop: Header=BB118_4 Depth=1
	v_div_scale_f32 v54, s[52:53], v58, v58, v59
	v_rcp_f32_e32 v55, v54
	v_div_scale_f32 v60, vcc, v59, v58, v59
	v_fma_f32 v62, -v54, v55, 1.0
	v_fmac_f32_e32 v55, v62, v55
	v_mul_f32_e32 v62, v60, v55
	v_fma_f32 v63, -v54, v62, v60
	v_fmac_f32_e32 v62, v63, v55
	v_fma_f32 v54, -v54, v62, v60
	v_div_fmas_f32 v54, v54, v55, v62
	v_div_fixup_f32 v55, v54, v58, v59
	v_fma_f32 v54, v59, v55, v58
	v_div_scale_f32 v60, s[52:53], v54, v54, 1.0
	v_rcp_f32_e32 v62, v60
	v_fma_f32 v63, -v60, v62, 1.0
	v_fmac_f32_e32 v62, v63, v62
	v_div_scale_f32 v63, vcc, 1.0, v54, 1.0
	v_mul_f32_e32 v64, v63, v62
	v_fma_f32 v65, -v60, v64, v63
	v_fmac_f32_e32 v64, v65, v62
	v_fma_f32 v60, -v60, v64, v63
	v_div_fmas_f32 v60, v60, v62, v64
	v_div_fixup_f32 v60, v60, v54, 1.0
	v_fma_f32 v54, v56, v55, v57
	v_fma_f32 v55, -v57, v55, v56
	v_mul_f32_e32 v54, v54, v60
	v_mul_f32_e32 v60, v55, v60
.LBB118_44:                             ;   in Loop: Header=BB118_4 Depth=1
	s_andn2_saveexec_b64 s[14:15], s[14:15]
	s_cbranch_execz .LBB118_46
; %bb.45:                               ;   in Loop: Header=BB118_4 Depth=1
	v_div_scale_f32 v54, s[52:53], v1, v1, v57
	v_rcp_f32_e32 v55, v54
	v_div_scale_f32 v60, vcc, v57, v1, v57
	v_fma_f32 v62, -v54, v55, 1.0
	v_fmac_f32_e32 v55, v62, v55
	v_mul_f32_e32 v62, v60, v55
	v_fma_f32 v63, -v54, v62, v60
	v_fmac_f32_e32 v62, v63, v55
	v_fma_f32 v54, -v54, v62, v60
	v_div_scale_f32 v60, s[52:53], v61, v61, v56
	v_rcp_f32_e32 v63, v60
	v_div_fmas_f32 v54, v54, v55, v62
	v_div_fixup_f32 v54, v54, v1, v57
	v_fma_f32 v55, -v60, v63, 1.0
	v_fmac_f32_e32 v63, v55, v63
	v_div_scale_f32 v55, vcc, v56, v61, v56
	v_mul_f32_e32 v62, v55, v63
	v_fma_f32 v64, -v60, v62, v55
	v_fmac_f32_e32 v62, v64, v63
	v_fma_f32 v55, -v60, v62, v55
	v_div_fmas_f32 v55, v55, v63, v62
	v_div_fixup_f32 v60, v55, v61, v56
.LBB118_46:                             ;   in Loop: Header=BB118_4 Depth=1
	s_or_b64 exec, exec, s[14:15]
.LBB118_47:                             ;   in Loop: Header=BB118_4 Depth=1
	s_andn2_saveexec_b64 s[14:15], s[34:35]
	s_cbranch_execz .LBB118_49
; %bb.48:                               ;   in Loop: Header=BB118_4 Depth=1
	v_div_scale_f32 v54, s[34:35], v59, v59, v58
	v_rcp_f32_e32 v55, v54
	v_div_scale_f32 v60, vcc, v58, v59, v58
	v_fma_f32 v62, -v54, v55, 1.0
	v_fmac_f32_e32 v55, v62, v55
	v_mul_f32_e32 v62, v60, v55
	v_fma_f32 v63, -v54, v62, v60
	v_fmac_f32_e32 v62, v63, v55
	v_fma_f32 v54, -v54, v62, v60
	v_div_fmas_f32 v54, v54, v55, v62
	v_div_fixup_f32 v55, v54, v59, v58
	v_fma_f32 v54, v58, v55, v59
	v_div_scale_f32 v60, s[34:35], v54, v54, 1.0
	v_rcp_f32_e32 v62, v60
	v_fma_f32 v63, -v60, v62, 1.0
	v_fmac_f32_e32 v62, v63, v62
	v_div_scale_f32 v63, vcc, 1.0, v54, 1.0
	v_mul_f32_e32 v64, v63, v62
	v_fma_f32 v65, -v60, v64, v63
	v_fmac_f32_e32 v64, v65, v62
	v_fma_f32 v60, -v60, v64, v63
	v_div_fmas_f32 v60, v60, v62, v64
	v_div_fixup_f32 v60, v60, v54, 1.0
	v_fma_f32 v54, v57, v55, v56
	v_fma_f32 v55, v56, v55, -v57
	v_mul_f32_e32 v54, v54, v60
	v_mul_f32_e32 v60, v55, v60
.LBB118_49:                             ;   in Loop: Header=BB118_4 Depth=1
	s_or_b64 exec, exec, s[14:15]
	v_pk_mul_f32 v[64:65], v[54:55], s[16:17] op_sel_hi:[0,1]
	v_pk_mul_f32 v[62:63], v[60:61], s[16:17] op_sel_hi:[0,1]
	v_pk_fma_f32 v[54:55], v[60:61], s[16:17], v[64:65] op_sel:[0,0,1] op_sel_hi:[0,1,0] neg_lo:[1,0,0] neg_hi:[1,0,0]
	v_add_f32_e32 v54, v65, v62
	s_branch .LBB118_60
.LBB118_50:                             ;   in Loop: Header=BB118_4 Depth=1
                                        ; implicit-def: $vgpr55
	s_cbranch_execz .LBB118_60
; %bb.51:                               ;   in Loop: Header=BB118_4 Depth=1
                                        ; implicit-def: $vgpr55
	s_and_saveexec_b64 s[14:15], s[12:13]
	s_xor_b64 s[14:15], exec, s[14:15]
	s_cbranch_execz .LBB118_57
; %bb.52:                               ;   in Loop: Header=BB118_4 Depth=1
	v_cmp_neq_f32_e32 vcc, 0, v58
	v_cmp_neq_f32_e64 s[12:13], 0, v59
	s_or_b64 s[12:13], s[12:13], vcc
                                        ; implicit-def: $vgpr55
	s_and_saveexec_b64 s[34:35], s[12:13]
	s_xor_b64 s[12:13], exec, s[34:35]
	s_cbranch_execz .LBB118_54
; %bb.53:                               ;   in Loop: Header=BB118_4 Depth=1
	v_div_scale_f32 v1, s[34:35], v58, v58, v59
	v_rcp_f32_e32 v54, v1
	v_div_scale_f32 v55, vcc, v59, v58, v59
	v_fma_f32 v60, -v1, v54, 1.0
	v_fmac_f32_e32 v54, v60, v54
	v_mul_f32_e32 v60, v55, v54
	v_fma_f32 v61, -v1, v60, v55
	v_fmac_f32_e32 v60, v61, v54
	v_fma_f32 v1, -v1, v60, v55
	v_div_fmas_f32 v1, v1, v54, v60
	v_div_fixup_f32 v54, v1, v58, v59
	v_fmac_f32_e32 v58, v59, v54
	v_div_scale_f32 v1, s[34:35], v58, v58, 1.0
	v_rcp_f32_e32 v55, v1
	v_fma_f32 v59, -v1, v55, 1.0
	v_fmac_f32_e32 v55, v59, v55
	v_div_scale_f32 v59, vcc, 1.0, v58, 1.0
	v_mul_f32_e32 v60, v59, v55
	v_fma_f32 v61, -v1, v60, v59
	v_fmac_f32_e32 v60, v61, v55
	v_fma_f32 v1, -v1, v60, v59
	v_div_fmas_f32 v1, v1, v55, v60
	v_pk_mul_f32 v[54:55], v[56:57], v[54:55] op_sel_hi:[1,0]
	v_pk_add_f32 v[60:61], v[56:57], v[54:55] op_sel:[0,1] op_sel_hi:[1,0] neg_lo:[0,1] neg_hi:[0,1]
	v_pk_add_f32 v[54:55], v[56:57], v[54:55] op_sel:[0,1] op_sel_hi:[1,0]
	v_div_fixup_f32 v58, v1, v58, 1.0
	v_mov_b32_e32 v61, v55
	v_pk_mul_f32 v[54:55], v[60:61], v[58:59] op_sel_hi:[1,0]
                                        ; implicit-def: $vgpr61
                                        ; implicit-def: $vgpr56_vgpr57
                                        ; implicit-def: $vgpr1
.LBB118_54:                             ;   in Loop: Header=BB118_4 Depth=1
	s_andn2_saveexec_b64 s[12:13], s[12:13]
	s_cbranch_execz .LBB118_56
; %bb.55:                               ;   in Loop: Header=BB118_4 Depth=1
	v_div_scale_f32 v54, s[34:35], v61, v61, v56
	v_rcp_f32_e32 v55, v54
	v_div_scale_f32 v58, vcc, v56, v61, v56
	v_fma_f32 v59, -v54, v55, 1.0
	v_fmac_f32_e32 v55, v59, v55
	v_mul_f32_e32 v59, v58, v55
	v_fma_f32 v60, -v54, v59, v58
	v_fmac_f32_e32 v59, v60, v55
	v_fma_f32 v54, -v54, v59, v58
	v_div_scale_f32 v58, s[34:35], v1, v1, v57
	v_rcp_f32_e32 v60, v58
	v_div_fmas_f32 v54, v54, v55, v59
	v_div_fixup_f32 v54, v54, v61, v56
	v_fma_f32 v55, -v58, v60, 1.0
	v_fmac_f32_e32 v60, v55, v60
	v_div_scale_f32 v55, vcc, v57, v1, v57
	v_mul_f32_e32 v56, v55, v60
	v_fma_f32 v59, -v58, v56, v55
	v_fmac_f32_e32 v56, v59, v60
	v_fma_f32 v55, -v58, v56, v55
	v_div_fmas_f32 v55, v55, v60, v56
	v_div_fixup_f32 v55, v55, v1, v57
.LBB118_56:                             ;   in Loop: Header=BB118_4 Depth=1
	s_or_b64 exec, exec, s[12:13]
                                        ; implicit-def: $vgpr59
                                        ; implicit-def: $vgpr56_vgpr57
.LBB118_57:                             ;   in Loop: Header=BB118_4 Depth=1
	s_andn2_saveexec_b64 s[12:13], s[14:15]
	s_cbranch_execz .LBB118_59
; %bb.58:                               ;   in Loop: Header=BB118_4 Depth=1
	v_div_scale_f32 v1, s[14:15], v59, v59, v58
	v_rcp_f32_e32 v54, v1
	v_div_scale_f32 v55, vcc, v58, v59, v58
	v_fma_f32 v60, -v1, v54, 1.0
	v_fmac_f32_e32 v54, v60, v54
	v_mul_f32_e32 v60, v55, v54
	v_fma_f32 v61, -v1, v60, v55
	v_fmac_f32_e32 v60, v61, v54
	v_fma_f32 v1, -v1, v60, v55
	v_div_fmas_f32 v1, v1, v54, v60
	v_div_fixup_f32 v54, v1, v59, v58
	v_fmac_f32_e32 v59, v58, v54
	v_div_scale_f32 v1, s[14:15], v59, v59, 1.0
	v_rcp_f32_e32 v55, v1
	v_fma_f32 v58, -v1, v55, 1.0
	v_fmac_f32_e32 v55, v58, v55
	v_div_scale_f32 v58, vcc, 1.0, v59, 1.0
	v_mul_f32_e32 v60, v58, v55
	v_fma_f32 v61, -v1, v60, v58
	v_fmac_f32_e32 v60, v61, v55
	v_fma_f32 v1, -v1, v60, v58
	v_div_fmas_f32 v1, v1, v55, v60
	v_pk_fma_f32 v[60:61], v[56:57], v[54:55], v[56:57] op_sel:[0,0,1] op_sel_hi:[1,1,0] neg_lo:[0,0,1] neg_hi:[0,0,1]
	v_pk_fma_f32 v[54:55], v[56:57], v[54:55], v[56:57] op_sel:[0,0,1] op_sel_hi:[1,0,0]
	v_div_fixup_f32 v58, v1, v59, 1.0
	v_mov_b32_e32 v61, v55
	v_pk_mul_f32 v[54:55], v[60:61], v[58:59] op_sel_hi:[1,0]
.LBB118_59:                             ;   in Loop: Header=BB118_4 Depth=1
	s_or_b64 exec, exec, s[12:13]
.LBB118_60:                             ;   in Loop: Header=BB118_4 Depth=1
	v_cmp_gt_f32_e32 vcc, 0, v52
	v_cndmask_b32_e64 v1, v52, -v52, vcc
	v_cmp_gt_f32_e32 vcc, 0, v53
	v_cndmask_b32_e64 v59, v53, -v53, vcc
	s_and_b64 vcc, exec, s[10:11]
	v_cmp_ge_f32_e64 s[12:13], v1, v59
	s_cbranch_vccnz .LBB118_70
; %bb.61:                               ;   in Loop: Header=BB118_4 Depth=1
                                        ; implicit-def: $vgpr58
                                        ; implicit-def: $vgpr56
	s_and_saveexec_b64 s[14:15], s[12:13]
	s_xor_b64 s[34:35], exec, s[14:15]
	s_cbranch_execz .LBB118_67
; %bb.62:                               ;   in Loop: Header=BB118_4 Depth=1
	v_cmp_neq_f32_e32 vcc, 0, v52
	v_cmp_neq_f32_e64 s[14:15], 0, v53
	s_or_b64 s[14:15], s[14:15], vcc
                                        ; implicit-def: $vgpr58
                                        ; implicit-def: $vgpr56
	s_and_saveexec_b64 s[52:53], s[14:15]
	s_xor_b64 s[14:15], exec, s[52:53]
	s_cbranch_execz .LBB118_64
; %bb.63:                               ;   in Loop: Header=BB118_4 Depth=1
	v_div_scale_f32 v56, s[52:53], v52, v52, v53
	v_rcp_f32_e32 v57, v56
	v_div_scale_f32 v58, vcc, v53, v52, v53
	v_fma_f32 v60, -v56, v57, 1.0
	v_fmac_f32_e32 v57, v60, v57
	v_mul_f32_e32 v60, v58, v57
	v_fma_f32 v61, -v56, v60, v58
	v_fmac_f32_e32 v60, v61, v57
	v_fma_f32 v56, -v56, v60, v58
	v_div_fmas_f32 v56, v56, v57, v60
	v_div_fixup_f32 v57, v56, v52, v53
	v_fma_f32 v56, v53, v57, v52
	v_div_scale_f32 v58, s[52:53], v56, v56, 1.0
	v_rcp_f32_e32 v60, v58
	v_fma_f32 v61, -v58, v60, 1.0
	v_fmac_f32_e32 v60, v61, v60
	v_div_scale_f32 v61, vcc, 1.0, v56, 1.0
	v_mul_f32_e32 v62, v61, v60
	v_fma_f32 v63, -v58, v62, v61
	v_fmac_f32_e32 v62, v63, v60
	v_fma_f32 v58, -v58, v62, v61
	v_div_fmas_f32 v58, v58, v60, v62
	v_div_fixup_f32 v58, v58, v56, 1.0
	v_fma_f32 v56, v50, v57, v51
	v_fma_f32 v57, -v51, v57, v50
	v_mul_f32_e32 v56, v56, v58
	v_mul_f32_e32 v58, v57, v58
.LBB118_64:                             ;   in Loop: Header=BB118_4 Depth=1
	s_andn2_saveexec_b64 s[14:15], s[14:15]
	s_cbranch_execz .LBB118_66
; %bb.65:                               ;   in Loop: Header=BB118_4 Depth=1
	v_div_scale_f32 v56, s[52:53], v1, v1, v51
	v_rcp_f32_e32 v57, v56
	v_div_scale_f32 v58, vcc, v51, v1, v51
	v_fma_f32 v60, -v56, v57, 1.0
	v_fmac_f32_e32 v57, v60, v57
	v_mul_f32_e32 v60, v58, v57
	v_fma_f32 v61, -v56, v60, v58
	v_fmac_f32_e32 v60, v61, v57
	v_fma_f32 v56, -v56, v60, v58
	v_div_scale_f32 v58, s[52:53], v59, v59, v50
	v_rcp_f32_e32 v61, v58
	v_div_fmas_f32 v56, v56, v57, v60
	v_div_fixup_f32 v56, v56, v1, v51
	v_fma_f32 v57, -v58, v61, 1.0
	v_fmac_f32_e32 v61, v57, v61
	v_div_scale_f32 v57, vcc, v50, v59, v50
	v_mul_f32_e32 v60, v57, v61
	v_fma_f32 v62, -v58, v60, v57
	v_fmac_f32_e32 v60, v62, v61
	v_fma_f32 v57, -v58, v60, v57
	v_div_fmas_f32 v57, v57, v61, v60
	v_div_fixup_f32 v58, v57, v59, v50
.LBB118_66:                             ;   in Loop: Header=BB118_4 Depth=1
	s_or_b64 exec, exec, s[14:15]
.LBB118_67:                             ;   in Loop: Header=BB118_4 Depth=1
	s_andn2_saveexec_b64 s[14:15], s[34:35]
	s_cbranch_execz .LBB118_69
; %bb.68:                               ;   in Loop: Header=BB118_4 Depth=1
	v_div_scale_f32 v56, s[34:35], v53, v53, v52
	v_rcp_f32_e32 v57, v56
	v_div_scale_f32 v58, vcc, v52, v53, v52
	v_fma_f32 v60, -v56, v57, 1.0
	v_fmac_f32_e32 v57, v60, v57
	v_mul_f32_e32 v60, v58, v57
	v_fma_f32 v61, -v56, v60, v58
	v_fmac_f32_e32 v60, v61, v57
	v_fma_f32 v56, -v56, v60, v58
	v_div_fmas_f32 v56, v56, v57, v60
	v_div_fixup_f32 v57, v56, v53, v52
	v_fma_f32 v56, v52, v57, v53
	v_div_scale_f32 v58, s[34:35], v56, v56, 1.0
	v_rcp_f32_e32 v60, v58
	v_fma_f32 v61, -v58, v60, 1.0
	v_fmac_f32_e32 v60, v61, v60
	v_div_scale_f32 v61, vcc, 1.0, v56, 1.0
	v_mul_f32_e32 v62, v61, v60
	v_fma_f32 v63, -v58, v62, v61
	v_fmac_f32_e32 v62, v63, v60
	v_fma_f32 v58, -v58, v62, v61
	v_div_fmas_f32 v58, v58, v60, v62
	v_div_fixup_f32 v58, v58, v56, 1.0
	v_fma_f32 v56, v51, v57, v50
	v_fma_f32 v57, v50, v57, -v51
	v_mul_f32_e32 v56, v56, v58
	v_mul_f32_e32 v58, v57, v58
.LBB118_69:                             ;   in Loop: Header=BB118_4 Depth=1
	s_or_b64 exec, exec, s[14:15]
	v_pk_mul_f32 v[62:63], v[56:57], s[16:17] op_sel_hi:[0,1]
	v_pk_mul_f32 v[60:61], v[58:59], s[16:17] op_sel_hi:[0,1]
	v_pk_fma_f32 v[56:57], v[58:59], s[16:17], v[62:63] op_sel:[0,0,1] op_sel_hi:[0,1,0] neg_lo:[1,0,0] neg_hi:[1,0,0]
	v_add_f32_e32 v56, v63, v60
	s_branch .LBB118_80
.LBB118_70:                             ;   in Loop: Header=BB118_4 Depth=1
                                        ; implicit-def: $vgpr57
	s_cbranch_execz .LBB118_80
; %bb.71:                               ;   in Loop: Header=BB118_4 Depth=1
                                        ; implicit-def: $vgpr57
	s_and_saveexec_b64 s[14:15], s[12:13]
	s_xor_b64 s[14:15], exec, s[14:15]
	s_cbranch_execz .LBB118_77
; %bb.72:                               ;   in Loop: Header=BB118_4 Depth=1
	v_cmp_neq_f32_e32 vcc, 0, v52
	v_cmp_neq_f32_e64 s[12:13], 0, v53
	s_or_b64 s[12:13], s[12:13], vcc
                                        ; implicit-def: $vgpr57
	s_and_saveexec_b64 s[34:35], s[12:13]
	s_xor_b64 s[12:13], exec, s[34:35]
	s_cbranch_execz .LBB118_74
; %bb.73:                               ;   in Loop: Header=BB118_4 Depth=1
	v_div_scale_f32 v1, s[34:35], v52, v52, v53
	v_rcp_f32_e32 v56, v1
	v_div_scale_f32 v57, vcc, v53, v52, v53
	v_fma_f32 v58, -v1, v56, 1.0
	v_fmac_f32_e32 v56, v58, v56
	v_mul_f32_e32 v58, v57, v56
	v_fma_f32 v59, -v1, v58, v57
	v_fmac_f32_e32 v58, v59, v56
	v_fma_f32 v1, -v1, v58, v57
	v_div_fmas_f32 v1, v1, v56, v58
	v_div_fixup_f32 v56, v1, v52, v53
	v_fmac_f32_e32 v52, v53, v56
	v_div_scale_f32 v1, s[34:35], v52, v52, 1.0
	v_rcp_f32_e32 v53, v1
	v_fma_f32 v57, -v1, v53, 1.0
	v_fmac_f32_e32 v53, v57, v53
	v_div_scale_f32 v57, vcc, 1.0, v52, 1.0
	v_mul_f32_e32 v58, v57, v53
	v_fma_f32 v59, -v1, v58, v57
	v_fmac_f32_e32 v58, v59, v53
	v_fma_f32 v1, -v1, v58, v57
	v_pk_mul_f32 v[56:57], v[50:51], v[56:57] op_sel_hi:[1,0]
	v_div_fmas_f32 v1, v1, v53, v58
	v_pk_add_f32 v[58:59], v[50:51], v[56:57] op_sel:[0,1] op_sel_hi:[1,0] neg_lo:[0,1] neg_hi:[0,1]
	v_pk_add_f32 v[50:51], v[50:51], v[56:57] op_sel:[0,1] op_sel_hi:[1,0]
	v_div_fixup_f32 v52, v1, v52, 1.0
	v_mov_b32_e32 v59, v51
	v_pk_mul_f32 v[56:57], v[58:59], v[52:53] op_sel_hi:[1,0]
                                        ; implicit-def: $vgpr59
                                        ; implicit-def: $vgpr50_vgpr51
                                        ; implicit-def: $vgpr1
.LBB118_74:                             ;   in Loop: Header=BB118_4 Depth=1
	s_andn2_saveexec_b64 s[12:13], s[12:13]
	s_cbranch_execz .LBB118_76
; %bb.75:                               ;   in Loop: Header=BB118_4 Depth=1
	v_div_scale_f32 v52, s[34:35], v59, v59, v50
	v_rcp_f32_e32 v53, v52
	v_div_scale_f32 v56, vcc, v50, v59, v50
	v_fma_f32 v57, -v52, v53, 1.0
	v_fmac_f32_e32 v53, v57, v53
	v_mul_f32_e32 v57, v56, v53
	v_fma_f32 v58, -v52, v57, v56
	v_fmac_f32_e32 v57, v58, v53
	v_div_scale_f32 v58, s[34:35], v1, v1, v51
	v_rcp_f32_e32 v60, v58
	v_fma_f32 v52, -v52, v57, v56
	v_div_fmas_f32 v52, v52, v53, v57
	v_div_fixup_f32 v56, v52, v59, v50
	v_fma_f32 v50, -v58, v60, 1.0
	v_fmac_f32_e32 v60, v50, v60
	v_div_scale_f32 v50, vcc, v51, v1, v51
	v_mul_f32_e32 v52, v50, v60
	v_fma_f32 v53, -v58, v52, v50
	v_fmac_f32_e32 v52, v53, v60
	v_fma_f32 v50, -v58, v52, v50
	v_div_fmas_f32 v50, v50, v60, v52
	v_div_fixup_f32 v57, v50, v1, v51
.LBB118_76:                             ;   in Loop: Header=BB118_4 Depth=1
	s_or_b64 exec, exec, s[12:13]
                                        ; implicit-def: $vgpr53
                                        ; implicit-def: $vgpr50_vgpr51
.LBB118_77:                             ;   in Loop: Header=BB118_4 Depth=1
	s_andn2_saveexec_b64 s[12:13], s[14:15]
	s_cbranch_execz .LBB118_79
; %bb.78:                               ;   in Loop: Header=BB118_4 Depth=1
	v_div_scale_f32 v1, s[14:15], v53, v53, v52
	v_rcp_f32_e32 v56, v1
	v_div_scale_f32 v57, vcc, v52, v53, v52
	v_fma_f32 v58, -v1, v56, 1.0
	v_fmac_f32_e32 v56, v58, v56
	v_mul_f32_e32 v58, v57, v56
	v_fma_f32 v59, -v1, v58, v57
	v_fmac_f32_e32 v58, v59, v56
	v_fma_f32 v1, -v1, v58, v57
	v_div_fmas_f32 v1, v1, v56, v58
	v_div_fixup_f32 v56, v1, v53, v52
	v_fmac_f32_e32 v53, v52, v56
	v_div_scale_f32 v1, s[14:15], v53, v53, 1.0
	v_rcp_f32_e32 v52, v1
	v_fma_f32 v57, -v1, v52, 1.0
	v_fmac_f32_e32 v52, v57, v52
	v_div_scale_f32 v57, vcc, 1.0, v53, 1.0
	v_mul_f32_e32 v58, v57, v52
	v_fma_f32 v59, -v1, v58, v57
	v_fmac_f32_e32 v58, v59, v52
	v_fma_f32 v1, -v1, v58, v57
	v_div_fmas_f32 v1, v1, v52, v58
	v_pk_fma_f32 v[58:59], v[50:51], v[56:57], v[50:51] op_sel:[0,0,1] op_sel_hi:[1,1,0] neg_lo:[0,0,1] neg_hi:[0,0,1]
	v_pk_fma_f32 v[50:51], v[50:51], v[56:57], v[50:51] op_sel:[0,0,1] op_sel_hi:[1,0,0]
	v_div_fixup_f32 v52, v1, v53, 1.0
	v_mov_b32_e32 v59, v51
	v_pk_mul_f32 v[56:57], v[58:59], v[52:53] op_sel_hi:[1,0]
.LBB118_79:                             ;   in Loop: Header=BB118_4 Depth=1
	s_or_b64 exec, exec, s[12:13]
.LBB118_80:                             ;   in Loop: Header=BB118_4 Depth=1
	v_cmp_gt_f32_e32 vcc, 0, v46
	v_cndmask_b32_e64 v1, v46, -v46, vcc
	v_cmp_gt_f32_e32 vcc, 0, v47
	v_cndmask_b32_e64 v51, v47, -v47, vcc
	s_and_b64 vcc, exec, s[10:11]
	v_cmp_ge_f32_e64 s[10:11], v1, v51
	s_cbranch_vccnz .LBB118_90
; %bb.81:                               ;   in Loop: Header=BB118_4 Depth=1
                                        ; implicit-def: $vgpr52
                                        ; implicit-def: $vgpr50
	s_and_saveexec_b64 s[12:13], s[10:11]
	s_xor_b64 s[14:15], exec, s[12:13]
	s_cbranch_execz .LBB118_87
; %bb.82:                               ;   in Loop: Header=BB118_4 Depth=1
	v_cmp_neq_f32_e32 vcc, 0, v46
	v_cmp_neq_f32_e64 s[12:13], 0, v47
	s_or_b64 s[12:13], s[12:13], vcc
                                        ; implicit-def: $vgpr52
                                        ; implicit-def: $vgpr50
	s_and_saveexec_b64 s[34:35], s[12:13]
	s_xor_b64 s[12:13], exec, s[34:35]
	s_cbranch_execz .LBB118_84
; %bb.83:                               ;   in Loop: Header=BB118_4 Depth=1
	v_div_scale_f32 v50, s[34:35], v46, v46, v47
	v_rcp_f32_e32 v52, v50
	v_div_scale_f32 v53, vcc, v47, v46, v47
	v_fma_f32 v58, -v50, v52, 1.0
	v_fmac_f32_e32 v52, v58, v52
	v_mul_f32_e32 v58, v53, v52
	v_fma_f32 v59, -v50, v58, v53
	v_fmac_f32_e32 v58, v59, v52
	v_fma_f32 v50, -v50, v58, v53
	v_div_fmas_f32 v50, v50, v52, v58
	v_div_fixup_f32 v52, v50, v46, v47
	v_fma_f32 v50, v47, v52, v46
	v_div_scale_f32 v53, s[34:35], v50, v50, 1.0
	v_rcp_f32_e32 v58, v53
	v_fma_f32 v59, -v53, v58, 1.0
	v_fmac_f32_e32 v58, v59, v58
	v_div_scale_f32 v59, vcc, 1.0, v50, 1.0
	v_mul_f32_e32 v60, v59, v58
	v_fma_f32 v61, -v53, v60, v59
	v_fmac_f32_e32 v60, v61, v58
	v_fma_f32 v53, -v53, v60, v59
	v_div_fmas_f32 v53, v53, v58, v60
	v_div_fixup_f32 v53, v53, v50, 1.0
	v_fma_f32 v50, v44, v52, v45
	v_fma_f32 v52, -v45, v52, v44
	v_mul_f32_e32 v50, v50, v53
	v_mul_f32_e32 v52, v52, v53
.LBB118_84:                             ;   in Loop: Header=BB118_4 Depth=1
	s_andn2_saveexec_b64 s[12:13], s[12:13]
	s_cbranch_execz .LBB118_86
; %bb.85:                               ;   in Loop: Header=BB118_4 Depth=1
	v_div_scale_f32 v50, s[34:35], v1, v1, v45
	v_rcp_f32_e32 v52, v50
	v_div_scale_f32 v53, vcc, v45, v1, v45
	v_fma_f32 v58, -v50, v52, 1.0
	v_fmac_f32_e32 v52, v58, v52
	v_mul_f32_e32 v58, v53, v52
	v_fma_f32 v59, -v50, v58, v53
	v_fmac_f32_e32 v58, v59, v52
	v_fma_f32 v50, -v50, v58, v53
	v_div_scale_f32 v53, s[34:35], v51, v51, v44
	v_rcp_f32_e32 v59, v53
	v_div_fmas_f32 v50, v50, v52, v58
	v_div_fixup_f32 v50, v50, v1, v45
	v_fma_f32 v52, -v53, v59, 1.0
	v_fmac_f32_e32 v59, v52, v59
	v_div_scale_f32 v52, vcc, v44, v51, v44
	v_mul_f32_e32 v58, v52, v59
	v_fma_f32 v60, -v53, v58, v52
	v_fmac_f32_e32 v58, v60, v59
	v_fma_f32 v52, -v53, v58, v52
	v_div_fmas_f32 v52, v52, v59, v58
	v_div_fixup_f32 v52, v52, v51, v44
.LBB118_86:                             ;   in Loop: Header=BB118_4 Depth=1
	s_or_b64 exec, exec, s[12:13]
.LBB118_87:                             ;   in Loop: Header=BB118_4 Depth=1
	s_andn2_saveexec_b64 s[12:13], s[14:15]
	s_cbranch_execz .LBB118_89
; %bb.88:                               ;   in Loop: Header=BB118_4 Depth=1
	v_div_scale_f32 v50, s[14:15], v47, v47, v46
	v_rcp_f32_e32 v52, v50
	v_div_scale_f32 v53, vcc, v46, v47, v46
	v_fma_f32 v58, -v50, v52, 1.0
	v_fmac_f32_e32 v52, v58, v52
	v_mul_f32_e32 v58, v53, v52
	v_fma_f32 v59, -v50, v58, v53
	v_fmac_f32_e32 v58, v59, v52
	v_fma_f32 v50, -v50, v58, v53
	v_div_fmas_f32 v50, v50, v52, v58
	v_div_fixup_f32 v52, v50, v47, v46
	v_fma_f32 v50, v46, v52, v47
	v_div_scale_f32 v53, s[14:15], v50, v50, 1.0
	v_rcp_f32_e32 v58, v53
	v_fma_f32 v59, -v53, v58, 1.0
	v_fmac_f32_e32 v58, v59, v58
	v_div_scale_f32 v59, vcc, 1.0, v50, 1.0
	v_mul_f32_e32 v60, v59, v58
	v_fma_f32 v61, -v53, v60, v59
	v_fmac_f32_e32 v60, v61, v58
	v_fma_f32 v53, -v53, v60, v59
	v_div_fmas_f32 v53, v53, v58, v60
	v_div_fixup_f32 v53, v53, v50, 1.0
	v_fma_f32 v50, v45, v52, v44
	v_fma_f32 v52, v44, v52, -v45
	v_mul_f32_e32 v50, v50, v53
	v_mul_f32_e32 v52, v52, v53
.LBB118_89:                             ;   in Loop: Header=BB118_4 Depth=1
	s_or_b64 exec, exec, s[12:13]
	v_pk_mul_f32 v[58:59], v[50:51], s[16:17] op_sel_hi:[0,1]
	v_pk_mul_f32 v[60:61], v[52:53], s[28:29] op_sel_hi:[0,1]
	v_pk_fma_f32 v[52:53], v[50:51], s[16:17], v[60:61] op_sel_hi:[0,1,1] neg_lo:[0,0,1] neg_hi:[0,0,1]
	v_add_f32_e32 v50, v59, v61
	s_branch .LBB118_100
.LBB118_90:                             ;   in Loop: Header=BB118_4 Depth=1
                                        ; implicit-def: $vgpr52
                                        ; implicit-def: $vgpr50
	s_cbranch_execz .LBB118_100
; %bb.91:                               ;   in Loop: Header=BB118_4 Depth=1
                                        ; implicit-def: $vgpr52
                                        ; implicit-def: $vgpr50
	s_and_saveexec_b64 s[12:13], s[10:11]
	s_xor_b64 s[12:13], exec, s[12:13]
	s_cbranch_execz .LBB118_97
; %bb.92:                               ;   in Loop: Header=BB118_4 Depth=1
	v_cmp_neq_f32_e32 vcc, 0, v46
	v_cmp_neq_f32_e64 s[10:11], 0, v47
	s_or_b64 s[10:11], s[10:11], vcc
                                        ; implicit-def: $vgpr52
                                        ; implicit-def: $vgpr50
	s_and_saveexec_b64 s[14:15], s[10:11]
	s_xor_b64 s[10:11], exec, s[14:15]
	s_cbranch_execz .LBB118_94
; %bb.93:                               ;   in Loop: Header=BB118_4 Depth=1
	v_div_scale_f32 v1, s[14:15], v46, v46, v47
	v_rcp_f32_e32 v50, v1
	v_div_scale_f32 v51, vcc, v47, v46, v47
	v_fma_f32 v52, -v1, v50, 1.0
	v_fmac_f32_e32 v50, v52, v50
	v_mul_f32_e32 v52, v51, v50
	v_fma_f32 v53, -v1, v52, v51
	v_fmac_f32_e32 v52, v53, v50
	v_fma_f32 v1, -v1, v52, v51
	v_div_fmas_f32 v1, v1, v50, v52
	v_div_fixup_f32 v50, v1, v46, v47
	v_fmac_f32_e32 v46, v47, v50
	v_div_scale_f32 v1, s[14:15], v46, v46, 1.0
	v_rcp_f32_e32 v47, v1
	v_fma_f32 v51, -v1, v47, 1.0
	v_fmac_f32_e32 v47, v51, v47
	v_div_scale_f32 v51, vcc, 1.0, v46, 1.0
	v_mul_f32_e32 v52, v51, v47
	v_fma_f32 v53, -v1, v52, v51
	v_fmac_f32_e32 v52, v53, v47
	v_fma_f32 v1, -v1, v52, v51
	v_pk_mul_f32 v[50:51], v[44:45], v[50:51] op_sel_hi:[1,0]
	v_div_fmas_f32 v1, v1, v47, v52
	v_pk_add_f32 v[52:53], v[44:45], v[50:51] op_sel:[0,1] op_sel_hi:[1,0] neg_lo:[0,1] neg_hi:[0,1]
	v_pk_add_f32 v[44:45], v[44:45], v[50:51] op_sel:[0,1] op_sel_hi:[1,0]
	v_div_fixup_f32 v46, v1, v46, 1.0
	v_mov_b32_e32 v53, v45
	v_pk_mul_f32 v[50:51], v[52:53], v[46:47] op_sel_hi:[1,0]
	v_mov_b32_e32 v52, v51
                                        ; implicit-def: $vgpr51
                                        ; implicit-def: $vgpr44_vgpr45
                                        ; implicit-def: $vgpr1
.LBB118_94:                             ;   in Loop: Header=BB118_4 Depth=1
	s_andn2_saveexec_b64 s[10:11], s[10:11]
	s_cbranch_execz .LBB118_96
; %bb.95:                               ;   in Loop: Header=BB118_4 Depth=1
	v_div_scale_f32 v46, s[14:15], v51, v51, v44
	v_rcp_f32_e32 v47, v46
	v_div_scale_f32 v50, vcc, v44, v51, v44
	v_fma_f32 v52, -v46, v47, 1.0
	v_fmac_f32_e32 v47, v52, v47
	v_mul_f32_e32 v52, v50, v47
	v_fma_f32 v53, -v46, v52, v50
	v_fmac_f32_e32 v52, v53, v47
	v_div_scale_f32 v53, s[14:15], v1, v1, v45
	v_rcp_f32_e32 v58, v53
	v_fma_f32 v46, -v46, v52, v50
	v_div_fmas_f32 v46, v46, v47, v52
	v_div_fixup_f32 v50, v46, v51, v44
	v_fma_f32 v44, -v53, v58, 1.0
	v_fmac_f32_e32 v58, v44, v58
	v_div_scale_f32 v44, vcc, v45, v1, v45
	v_mul_f32_e32 v46, v44, v58
	v_fma_f32 v47, -v53, v46, v44
	v_fmac_f32_e32 v46, v47, v58
	v_fma_f32 v44, -v53, v46, v44
	v_div_fmas_f32 v44, v44, v58, v46
	v_div_fixup_f32 v52, v44, v1, v45
.LBB118_96:                             ;   in Loop: Header=BB118_4 Depth=1
	s_or_b64 exec, exec, s[10:11]
                                        ; implicit-def: $vgpr47
                                        ; implicit-def: $vgpr44_vgpr45
.LBB118_97:                             ;   in Loop: Header=BB118_4 Depth=1
	s_andn2_saveexec_b64 s[10:11], s[12:13]
	s_cbranch_execz .LBB118_99
; %bb.98:                               ;   in Loop: Header=BB118_4 Depth=1
	v_div_scale_f32 v1, s[12:13], v47, v47, v46
	v_rcp_f32_e32 v50, v1
	v_div_scale_f32 v51, vcc, v46, v47, v46
	v_fma_f32 v52, -v1, v50, 1.0
	v_fmac_f32_e32 v50, v52, v50
	v_mul_f32_e32 v52, v51, v50
	v_fma_f32 v53, -v1, v52, v51
	v_fmac_f32_e32 v52, v53, v50
	v_fma_f32 v1, -v1, v52, v51
	v_div_fmas_f32 v1, v1, v50, v52
	v_div_fixup_f32 v50, v1, v47, v46
	v_fmac_f32_e32 v47, v46, v50
	v_div_scale_f32 v1, s[12:13], v47, v47, 1.0
	v_rcp_f32_e32 v46, v1
	v_fma_f32 v51, -v1, v46, 1.0
	v_fmac_f32_e32 v46, v51, v46
	v_div_scale_f32 v51, vcc, 1.0, v47, 1.0
	v_mul_f32_e32 v52, v51, v46
	v_fma_f32 v53, -v1, v52, v51
	v_fmac_f32_e32 v52, v53, v46
	v_fma_f32 v1, -v1, v52, v51
	v_div_fmas_f32 v1, v1, v46, v52
	v_pk_fma_f32 v[52:53], v[44:45], v[50:51], v[44:45] op_sel:[0,0,1] op_sel_hi:[1,1,0] neg_lo:[0,0,1] neg_hi:[0,0,1]
	v_pk_fma_f32 v[44:45], v[44:45], v[50:51], v[44:45] op_sel:[0,0,1] op_sel_hi:[1,0,0]
	v_div_fixup_f32 v46, v1, v47, 1.0
	v_mov_b32_e32 v53, v45
	v_pk_mul_f32 v[50:51], v[52:53], v[46:47] op_sel_hi:[1,0]
	v_mov_b32_e32 v52, v51
.LBB118_99:                             ;   in Loop: Header=BB118_4 Depth=1
	s_or_b64 exec, exec, s[10:11]
.LBB118_100:                            ;   in Loop: Header=BB118_4 Depth=1
	s_and_saveexec_b64 s[10:11], s[0:1]
	s_xor_b64 s[0:1], exec, s[10:11]
	s_cbranch_execnz .LBB118_104
; %bb.101:                              ;   in Loop: Header=BB118_4 Depth=1
	s_or_b64 exec, exec, s[0:1]
	s_and_saveexec_b64 s[0:1], s[2:3]
	s_cbranch_execnz .LBB118_105
.LBB118_102:                            ;   in Loop: Header=BB118_4 Depth=1
	s_or_b64 exec, exec, s[0:1]
	s_and_saveexec_b64 s[0:1], s[6:7]
	s_cbranch_execnz .LBB118_106
.LBB118_103:                            ;   in Loop: Header=BB118_4 Depth=1
	s_or_b64 exec, exec, s[0:1]
	s_and_saveexec_b64 s[0:1], s[8:9]
	s_cbranch_execz .LBB118_3
	s_branch .LBB118_107
.LBB118_104:                            ;   in Loop: Header=BB118_4 Depth=1
	v_mov_b32_e32 v1, s21
	v_add_co_u32_e32 v44, vcc, s20, v6
	v_add_f32_e32 v36, v36, v49
	v_add_f32_e32 v37, v37, v48
	v_addc_co_u32_e32 v45, vcc, v7, v1, vcc
	global_store_dwordx2 v[44:45], v[36:37], off offset:-4
	s_or_b64 exec, exec, s[0:1]
	s_and_saveexec_b64 s[0:1], s[2:3]
	s_cbranch_execz .LBB118_102
.LBB118_105:                            ;   in Loop: Header=BB118_4 Depth=1
	v_add_f32_e32 v36, v38, v55
	v_mov_b32_e32 v1, s21
	v_add_co_u32_e32 v38, vcc, s20, v22
	v_add_f32_e32 v37, v39, v54
	v_addc_co_u32_e32 v39, vcc, v23, v1, vcc
	global_store_dwordx2 v[38:39], v[36:37], off
	s_or_b64 exec, exec, s[0:1]
	s_and_saveexec_b64 s[0:1], s[6:7]
	s_cbranch_execz .LBB118_103
.LBB118_106:                            ;   in Loop: Header=BB118_4 Depth=1
	v_mov_b32_e32 v1, s21
	v_add_co_u32_e32 v38, vcc, s20, v24
	v_add_f32_e32 v36, v40, v57
	v_add_f32_e32 v37, v41, v56
	v_addc_co_u32_e32 v39, vcc, v25, v1, vcc
	global_store_dwordx2 v[38:39], v[36:37], off offset:-4
	s_or_b64 exec, exec, s[0:1]
	s_and_saveexec_b64 s[0:1], s[8:9]
	s_cbranch_execz .LBB118_3
.LBB118_107:                            ;   in Loop: Header=BB118_4 Depth=1
	v_mov_b32_e32 v1, s21
	v_add_co_u32_e32 v38, vcc, s20, v14
	v_add_f32_e32 v36, v42, v52
	v_add_f32_e32 v37, v43, v50
	v_addc_co_u32_e32 v39, vcc, v15, v1, vcc
	global_store_dwordx2 v[38:39], v[36:37], off offset:-4
	s_branch .LBB118_3
.LBB118_108:
	s_mov_b64 s[10:11], 0
.LBB118_109:
	s_andn2_b64 vcc, exec, s[10:11]
	s_cbranch_vccnz .LBB118_193
; %bb.110:
	v_mov_b32_e32 v25, 0
	v_lshlrev_b32_e32 v24, 2, v0
	s_mov_b32 s14, 0
	v_cmp_gt_i64_e32 vcc, s[18:19], v[24:25]
	s_and_saveexec_b64 s[0:1], vcc
	s_cbranch_execz .LBB118_193
; %bb.111:
	s_load_dword s4, s[4:5], 0xd14
	s_and_b32 s2, s17, 0x7fffffff
	s_cmp_lg_u32 s2, 0
	v_cmp_neq_f32_e64 s[0:1], s16, 1.0
	s_cselect_b64 s[2:3], -1, 0
	s_or_b64 s[6:7], s[0:1], s[2:3]
	s_waitcnt lgkmcnt(0)
	s_and_b32 s0, s4, 0xffff
	v_add_lshl_u32 v24, v0, s0, 2
	s_lshl_b32 s15, s0, 2
	v_lshlrev_b32_e32 v26, 5, v0
	s_lshl_b32 s20, s0, 5
	s_mov_b64 s[8:9], 0
	s_mov_b64 s[10:11], 0xffff
	s_branch .LBB118_114
.LBB118_112:                            ;   in Loop: Header=BB118_114 Depth=1
	s_or_b64 exec, exec, s[0:1]
.LBB118_113:                            ;   in Loop: Header=BB118_114 Depth=1
	v_add_f32_e32 v2, v2, v8
	v_add_f32_e32 v3, v3, v9
	v_mov_b32_e32 v9, s42
	v_add_co_u32_e32 v8, vcc, s41, v26
	v_addc_co_u32_e32 v9, vcc, 0, v9, vcc
	v_cmp_le_i64_e32 vcc, s[18:19], v[24:25]
	v_cmp_lt_u64_e64 s[0:1], s[10:11], v[24:25]
	s_or_b64 s[0:1], vcc, s[0:1]
	s_add_u32 s33, s33, s20
	s_addc_u32 s36, s36, 0
	s_add_u32 s41, s41, s20
	s_addc_u32 s42, s42, 0
	;; [unrolled: 2-line block ×3, first 2 shown]
	s_add_u32 s39, s39, s20
	v_add_f32_e32 v0, v0, v16
	v_add_f32_e32 v6, v6, v29
	;; [unrolled: 1-line block ×5, first 2 shown]
	s_addc_u32 s40, s40, 0
	v_add_f32_e32 v1, v1, v17
	global_store_dwordx4 v[8:9], v[4:7], off
	global_store_dwordx4 v[8:9], v[0:3], off offset:16
	s_and_b64 s[0:1], exec, s[0:1]
	v_mov_b32_e32 v0, s14
	v_add_co_u32_e32 v24, vcc, s15, v24
	s_or_b64 s[8:9], s[0:1], s[8:9]
	v_addc_co_u32_e32 v25, vcc, v25, v0, vcc
	s_andn2_b64 exec, exec, s[8:9]
	s_cbranch_execz .LBB118_193
.LBB118_114:                            ; =>This Inner Loop Header: Depth=1
	v_mov_b32_e32 v0, s36
	v_add_co_u32_e32 v8, vcc, s33, v26
	v_addc_co_u32_e32 v9, vcc, 0, v0, vcc
	global_load_dwordx4 v[0:3], v[8:9], off offset:16
	global_load_dwordx4 v[4:7], v[8:9], off
	v_mov_b32_e32 v9, s40
	v_add_co_u32_e32 v8, vcc, s39, v26
	v_addc_co_u32_e32 v9, vcc, 0, v9, vcc
	global_load_dwordx4 v[12:15], v[8:9], off offset:16
	global_load_dwordx4 v[20:23], v[8:9], off
	;; [unrolled: 5-line block ×3, first 2 shown]
	s_and_b64 vcc, exec, s[6:7]
	s_waitcnt vmcnt(2)
	v_cmp_gt_f32_e64 s[0:1], 0, v20
	v_cndmask_b32_e64 v30, v20, -v20, s[0:1]
	v_cmp_gt_f32_e64 s[0:1], 0, v21
	v_cndmask_b32_e64 v29, v21, -v21, s[0:1]
	v_cmp_ge_f32_e64 s[0:1], v30, v29
	s_cbranch_vccz .LBB118_124
; %bb.115:                              ;   in Loop: Header=BB118_114 Depth=1
                                        ; implicit-def: $vgpr28
                                        ; implicit-def: $vgpr31
	s_and_saveexec_b64 s[2:3], s[0:1]
	s_xor_b64 s[4:5], exec, s[2:3]
	s_cbranch_execz .LBB118_121
; %bb.116:                              ;   in Loop: Header=BB118_114 Depth=1
	v_cmp_neq_f32_e32 vcc, 0, v20
	v_cmp_neq_f32_e64 s[2:3], 0, v21
	s_or_b64 s[2:3], vcc, s[2:3]
                                        ; implicit-def: $vgpr28
                                        ; implicit-def: $vgpr31
	s_and_saveexec_b64 s[12:13], s[2:3]
	s_xor_b64 s[2:3], exec, s[12:13]
	s_cbranch_execz .LBB118_118
; %bb.117:                              ;   in Loop: Header=BB118_114 Depth=1
	v_div_scale_f32 v27, s[12:13], v20, v20, v21
	v_rcp_f32_e32 v28, v27
	v_div_scale_f32 v31, vcc, v21, v20, v21
	v_fma_f32 v32, -v27, v28, 1.0
	v_fmac_f32_e32 v28, v32, v28
	v_mul_f32_e32 v32, v31, v28
	v_fma_f32 v33, -v27, v32, v31
	v_fmac_f32_e32 v32, v33, v28
	v_fma_f32 v27, -v27, v32, v31
	v_div_fmas_f32 v27, v27, v28, v32
	v_div_fixup_f32 v27, v27, v20, v21
	v_fma_f32 v28, v21, v27, v20
	v_div_scale_f32 v31, s[12:13], v28, v28, 1.0
	v_rcp_f32_e32 v32, v31
	v_fma_f32 v33, -v31, v32, 1.0
	v_fmac_f32_e32 v32, v33, v32
	v_div_scale_f32 v33, vcc, 1.0, v28, 1.0
	v_mul_f32_e32 v34, v33, v32
	v_fma_f32 v35, -v31, v34, v33
	v_fmac_f32_e32 v34, v35, v32
	v_fma_f32 v31, -v31, v34, v33
	v_div_fmas_f32 v31, v31, v32, v34
	v_div_fixup_f32 v28, v31, v28, 1.0
	s_waitcnt vmcnt(0)
	v_fma_f32 v31, v17, v27, v16
	v_fma_f32 v27, -v16, v27, v17
	v_mul_f32_e32 v31, v31, v28
	v_mul_f32_e32 v28, v27, v28
.LBB118_118:                            ;   in Loop: Header=BB118_114 Depth=1
	s_andn2_saveexec_b64 s[2:3], s[2:3]
	s_cbranch_execz .LBB118_120
; %bb.119:                              ;   in Loop: Header=BB118_114 Depth=1
	s_waitcnt vmcnt(0)
	v_div_scale_f32 v27, s[12:13], v30, v30, v16
	v_rcp_f32_e32 v28, v27
	v_div_scale_f32 v31, vcc, v16, v30, v16
	v_fma_f32 v32, -v27, v28, 1.0
	v_fmac_f32_e32 v28, v32, v28
	v_mul_f32_e32 v32, v31, v28
	v_fma_f32 v33, -v27, v32, v31
	v_fmac_f32_e32 v32, v33, v28
	v_div_scale_f32 v33, s[12:13], v29, v29, v17
	v_rcp_f32_e32 v34, v33
	v_fma_f32 v27, -v27, v32, v31
	v_div_fmas_f32 v27, v27, v28, v32
	v_div_fixup_f32 v31, v27, v30, v16
	v_fma_f32 v27, -v33, v34, 1.0
	v_fmac_f32_e32 v34, v27, v34
	v_div_scale_f32 v27, vcc, v17, v29, v17
	v_mul_f32_e32 v28, v27, v34
	v_fma_f32 v32, -v33, v28, v27
	v_fmac_f32_e32 v28, v32, v34
	v_fma_f32 v27, -v33, v28, v27
	v_div_fmas_f32 v27, v27, v34, v28
	v_div_fixup_f32 v28, v27, v29, v17
.LBB118_120:                            ;   in Loop: Header=BB118_114 Depth=1
	s_or_b64 exec, exec, s[2:3]
.LBB118_121:                            ;   in Loop: Header=BB118_114 Depth=1
	s_andn2_saveexec_b64 s[2:3], s[4:5]
	s_cbranch_execz .LBB118_123
; %bb.122:                              ;   in Loop: Header=BB118_114 Depth=1
	v_div_scale_f32 v27, s[4:5], v21, v21, v20
	v_rcp_f32_e32 v28, v27
	v_div_scale_f32 v31, vcc, v20, v21, v20
	v_fma_f32 v32, -v27, v28, 1.0
	v_fmac_f32_e32 v28, v32, v28
	v_mul_f32_e32 v32, v31, v28
	v_fma_f32 v33, -v27, v32, v31
	v_fmac_f32_e32 v32, v33, v28
	v_fma_f32 v27, -v27, v32, v31
	v_div_fmas_f32 v27, v27, v28, v32
	v_div_fixup_f32 v27, v27, v21, v20
	v_fma_f32 v28, v20, v27, v21
	v_div_scale_f32 v31, s[4:5], v28, v28, 1.0
	v_rcp_f32_e32 v32, v31
	v_fma_f32 v33, -v31, v32, 1.0
	v_fmac_f32_e32 v32, v33, v32
	v_div_scale_f32 v33, vcc, 1.0, v28, 1.0
	v_mul_f32_e32 v34, v33, v32
	v_fma_f32 v35, -v31, v34, v33
	v_fmac_f32_e32 v34, v35, v32
	v_fma_f32 v31, -v31, v34, v33
	v_div_fmas_f32 v31, v31, v32, v34
	v_div_fixup_f32 v28, v31, v28, 1.0
	s_waitcnt vmcnt(0)
	v_fma_f32 v31, v16, v27, v17
	v_fma_f32 v27, v17, v27, -v16
	v_mul_f32_e32 v31, v31, v28
	v_mul_f32_e32 v28, v27, v28
.LBB118_123:                            ;   in Loop: Header=BB118_114 Depth=1
	s_or_b64 exec, exec, s[2:3]
	v_mul_f32_e32 v27, s17, v28
	v_mul_f32_e32 v28, s16, v28
	v_fma_f32 v27, v31, s16, -v27
	v_fmac_f32_e32 v28, s17, v31
	s_branch .LBB118_134
.LBB118_124:                            ;   in Loop: Header=BB118_114 Depth=1
                                        ; implicit-def: $vgpr28
                                        ; implicit-def: $vgpr27
	s_cbranch_execz .LBB118_134
; %bb.125:                              ;   in Loop: Header=BB118_114 Depth=1
                                        ; implicit-def: $vgpr28
                                        ; implicit-def: $vgpr27
	s_and_saveexec_b64 s[2:3], s[0:1]
	s_xor_b64 s[2:3], exec, s[2:3]
	s_cbranch_execz .LBB118_131
; %bb.126:                              ;   in Loop: Header=BB118_114 Depth=1
	v_cmp_neq_f32_e32 vcc, 0, v20
	v_cmp_neq_f32_e64 s[0:1], 0, v21
	s_or_b64 s[0:1], vcc, s[0:1]
                                        ; implicit-def: $vgpr28
                                        ; implicit-def: $vgpr27
	s_and_saveexec_b64 s[4:5], s[0:1]
	s_xor_b64 s[0:1], exec, s[4:5]
	s_cbranch_execz .LBB118_128
; %bb.127:                              ;   in Loop: Header=BB118_114 Depth=1
	v_div_scale_f32 v27, s[4:5], v20, v20, v21
	v_rcp_f32_e32 v28, v27
	v_div_scale_f32 v29, vcc, v21, v20, v21
	v_fma_f32 v30, -v27, v28, 1.0
	v_fmac_f32_e32 v28, v30, v28
	v_mul_f32_e32 v30, v29, v28
	v_fma_f32 v31, -v27, v30, v29
	v_fmac_f32_e32 v30, v31, v28
	v_fma_f32 v27, -v27, v30, v29
	v_div_fmas_f32 v27, v27, v28, v30
	v_div_fixup_f32 v28, v27, v20, v21
	v_fma_f32 v27, v21, v28, v20
	v_div_scale_f32 v29, s[4:5], v27, v27, 1.0
	v_rcp_f32_e32 v30, v29
	v_fma_f32 v31, -v29, v30, 1.0
	v_fmac_f32_e32 v30, v31, v30
	v_div_scale_f32 v31, vcc, 1.0, v27, 1.0
	v_mul_f32_e32 v32, v31, v30
	v_fma_f32 v33, -v29, v32, v31
	v_fmac_f32_e32 v32, v33, v30
	v_fma_f32 v29, -v29, v32, v31
	v_div_fmas_f32 v29, v29, v30, v32
	v_div_fixup_f32 v29, v29, v27, 1.0
	s_waitcnt vmcnt(0)
	v_fma_f32 v27, v17, v28, v16
	v_fma_f32 v28, -v16, v28, v17
	v_mul_f32_e32 v27, v27, v29
	v_mul_f32_e32 v28, v28, v29
                                        ; implicit-def: $vgpr30
                                        ; implicit-def: $vgpr29
.LBB118_128:                            ;   in Loop: Header=BB118_114 Depth=1
	s_andn2_saveexec_b64 s[0:1], s[0:1]
	s_cbranch_execz .LBB118_130
; %bb.129:                              ;   in Loop: Header=BB118_114 Depth=1
	s_waitcnt vmcnt(0)
	v_div_scale_f32 v27, s[4:5], v30, v30, v16
	v_rcp_f32_e32 v28, v27
	v_div_scale_f32 v31, vcc, v16, v30, v16
	v_fma_f32 v32, -v27, v28, 1.0
	v_fmac_f32_e32 v28, v32, v28
	v_mul_f32_e32 v32, v31, v28
	v_fma_f32 v33, -v27, v32, v31
	v_fmac_f32_e32 v32, v33, v28
	v_fma_f32 v27, -v27, v32, v31
	v_div_scale_f32 v31, s[4:5], v29, v29, v17
	v_rcp_f32_e32 v33, v31
	v_div_fmas_f32 v27, v27, v28, v32
	v_div_fixup_f32 v27, v27, v30, v16
	v_fma_f32 v28, -v31, v33, 1.0
	v_fmac_f32_e32 v33, v28, v33
	v_div_scale_f32 v28, vcc, v17, v29, v17
	v_mul_f32_e32 v30, v28, v33
	v_fma_f32 v32, -v31, v30, v28
	v_fmac_f32_e32 v30, v32, v33
	v_fma_f32 v28, -v31, v30, v28
	v_div_fmas_f32 v28, v28, v33, v30
	v_div_fixup_f32 v28, v28, v29, v17
.LBB118_130:                            ;   in Loop: Header=BB118_114 Depth=1
	s_or_b64 exec, exec, s[0:1]
.LBB118_131:                            ;   in Loop: Header=BB118_114 Depth=1
	s_andn2_saveexec_b64 s[0:1], s[2:3]
	s_cbranch_execz .LBB118_133
; %bb.132:                              ;   in Loop: Header=BB118_114 Depth=1
	v_div_scale_f32 v27, s[2:3], v21, v21, v20
	v_rcp_f32_e32 v28, v27
	v_div_scale_f32 v29, vcc, v20, v21, v20
	v_fma_f32 v30, -v27, v28, 1.0
	v_fmac_f32_e32 v28, v30, v28
	v_mul_f32_e32 v30, v29, v28
	v_fma_f32 v31, -v27, v30, v29
	v_fmac_f32_e32 v30, v31, v28
	v_fma_f32 v27, -v27, v30, v29
	v_div_fmas_f32 v27, v27, v28, v30
	v_div_fixup_f32 v28, v27, v21, v20
	v_fma_f32 v20, v20, v28, v21
	v_div_scale_f32 v21, s[2:3], v20, v20, 1.0
	v_rcp_f32_e32 v27, v21
	v_fma_f32 v29, -v21, v27, 1.0
	v_fmac_f32_e32 v27, v29, v27
	v_div_scale_f32 v29, vcc, 1.0, v20, 1.0
	v_mul_f32_e32 v30, v29, v27
	v_fma_f32 v31, -v21, v30, v29
	v_fmac_f32_e32 v30, v31, v27
	v_fma_f32 v21, -v21, v30, v29
	v_div_fmas_f32 v21, v21, v27, v30
	v_div_fixup_f32 v20, v21, v20, 1.0
	s_waitcnt vmcnt(0)
	v_fma_f32 v21, v16, v28, v17
	v_fma_f32 v16, v17, v28, -v16
	v_mul_f32_e32 v27, v21, v20
	v_mul_f32_e32 v28, v16, v20
.LBB118_133:                            ;   in Loop: Header=BB118_114 Depth=1
	s_or_b64 exec, exec, s[0:1]
.LBB118_134:                            ;   in Loop: Header=BB118_114 Depth=1
	v_cmp_gt_f32_e32 vcc, 0, v22
	v_cndmask_b32_e64 v20, v22, -v22, vcc
	v_cmp_gt_f32_e32 vcc, 0, v23
	s_waitcnt vmcnt(0)
	v_cndmask_b32_e64 v16, v23, -v23, vcc
	v_cndmask_b32_e64 v17, 0, 1, s[6:7]
	v_cmp_ne_u32_e64 s[0:1], 1, v17
	s_andn2_b64 vcc, exec, s[6:7]
	v_cmp_ge_f32_e64 s[2:3], v20, v16
	s_cbranch_vccnz .LBB118_144
; %bb.135:                              ;   in Loop: Header=BB118_114 Depth=1
                                        ; implicit-def: $vgpr21
                                        ; implicit-def: $vgpr17
	s_and_saveexec_b64 s[4:5], s[2:3]
	s_xor_b64 s[12:13], exec, s[4:5]
	s_cbranch_execz .LBB118_141
; %bb.136:                              ;   in Loop: Header=BB118_114 Depth=1
	v_cmp_neq_f32_e32 vcc, 0, v22
	v_cmp_neq_f32_e64 s[4:5], 0, v23
	s_or_b64 s[4:5], vcc, s[4:5]
                                        ; implicit-def: $vgpr21
                                        ; implicit-def: $vgpr17
	s_and_saveexec_b64 s[22:23], s[4:5]
	s_xor_b64 s[4:5], exec, s[22:23]
	s_cbranch_execz .LBB118_138
; %bb.137:                              ;   in Loop: Header=BB118_114 Depth=1
	v_div_scale_f32 v17, s[22:23], v22, v22, v23
	v_rcp_f32_e32 v21, v17
	v_div_scale_f32 v29, vcc, v23, v22, v23
	v_fma_f32 v30, -v17, v21, 1.0
	v_fmac_f32_e32 v21, v30, v21
	v_mul_f32_e32 v30, v29, v21
	v_fma_f32 v31, -v17, v30, v29
	v_fmac_f32_e32 v30, v31, v21
	v_fma_f32 v17, -v17, v30, v29
	v_div_fmas_f32 v17, v17, v21, v30
	v_div_fixup_f32 v21, v17, v22, v23
	v_fma_f32 v17, v23, v21, v22
	v_div_scale_f32 v29, s[22:23], v17, v17, 1.0
	v_rcp_f32_e32 v30, v29
	v_fma_f32 v31, -v29, v30, 1.0
	v_fmac_f32_e32 v30, v31, v30
	v_div_scale_f32 v31, vcc, 1.0, v17, 1.0
	v_mul_f32_e32 v32, v31, v30
	v_fma_f32 v33, -v29, v32, v31
	v_fmac_f32_e32 v32, v33, v30
	v_fma_f32 v29, -v29, v32, v31
	v_div_fmas_f32 v29, v29, v30, v32
	v_div_fixup_f32 v29, v29, v17, 1.0
	v_fma_f32 v17, v19, v21, v18
	v_fma_f32 v21, -v18, v21, v19
	v_mul_f32_e32 v17, v17, v29
	v_mul_f32_e32 v21, v21, v29
.LBB118_138:                            ;   in Loop: Header=BB118_114 Depth=1
	s_andn2_saveexec_b64 s[4:5], s[4:5]
	s_cbranch_execz .LBB118_140
; %bb.139:                              ;   in Loop: Header=BB118_114 Depth=1
	v_div_scale_f32 v17, s[22:23], v20, v20, v18
	v_rcp_f32_e32 v21, v17
	v_div_scale_f32 v29, vcc, v18, v20, v18
	v_fma_f32 v30, -v17, v21, 1.0
	v_fmac_f32_e32 v21, v30, v21
	v_mul_f32_e32 v30, v29, v21
	v_fma_f32 v31, -v17, v30, v29
	v_fmac_f32_e32 v30, v31, v21
	v_fma_f32 v17, -v17, v30, v29
	v_div_scale_f32 v29, s[22:23], v16, v16, v19
	v_rcp_f32_e32 v31, v29
	v_div_fmas_f32 v17, v17, v21, v30
	v_div_fixup_f32 v17, v17, v20, v18
	v_fma_f32 v21, -v29, v31, 1.0
	v_fmac_f32_e32 v31, v21, v31
	v_div_scale_f32 v21, vcc, v19, v16, v19
	v_mul_f32_e32 v30, v21, v31
	v_fma_f32 v32, -v29, v30, v21
	v_fmac_f32_e32 v30, v32, v31
	v_fma_f32 v21, -v29, v30, v21
	v_div_fmas_f32 v21, v21, v31, v30
	v_div_fixup_f32 v21, v21, v16, v19
.LBB118_140:                            ;   in Loop: Header=BB118_114 Depth=1
	s_or_b64 exec, exec, s[4:5]
.LBB118_141:                            ;   in Loop: Header=BB118_114 Depth=1
	s_andn2_saveexec_b64 s[4:5], s[12:13]
	s_cbranch_execz .LBB118_143
; %bb.142:                              ;   in Loop: Header=BB118_114 Depth=1
	v_div_scale_f32 v17, s[12:13], v23, v23, v22
	v_rcp_f32_e32 v21, v17
	v_div_scale_f32 v29, vcc, v22, v23, v22
	v_fma_f32 v30, -v17, v21, 1.0
	v_fmac_f32_e32 v21, v30, v21
	v_mul_f32_e32 v30, v29, v21
	v_fma_f32 v31, -v17, v30, v29
	v_fmac_f32_e32 v30, v31, v21
	v_fma_f32 v17, -v17, v30, v29
	v_div_fmas_f32 v17, v17, v21, v30
	v_div_fixup_f32 v21, v17, v23, v22
	v_fma_f32 v17, v22, v21, v23
	v_div_scale_f32 v29, s[12:13], v17, v17, 1.0
	v_rcp_f32_e32 v30, v29
	v_fma_f32 v31, -v29, v30, 1.0
	v_fmac_f32_e32 v30, v31, v30
	v_div_scale_f32 v31, vcc, 1.0, v17, 1.0
	v_mul_f32_e32 v32, v31, v30
	v_fma_f32 v33, -v29, v32, v31
	v_fmac_f32_e32 v32, v33, v30
	v_fma_f32 v29, -v29, v32, v31
	v_div_fmas_f32 v29, v29, v30, v32
	v_div_fixup_f32 v29, v29, v17, 1.0
	v_fma_f32 v17, v18, v21, v19
	v_fma_f32 v21, v19, v21, -v18
	v_mul_f32_e32 v17, v17, v29
	v_mul_f32_e32 v21, v21, v29
.LBB118_143:                            ;   in Loop: Header=BB118_114 Depth=1
	s_or_b64 exec, exec, s[4:5]
	v_mul_f32_e32 v29, s17, v21
	v_mul_f32_e32 v30, s16, v21
	v_fma_f32 v29, v17, s16, -v29
	v_fmac_f32_e32 v30, s17, v17
	s_branch .LBB118_154
.LBB118_144:                            ;   in Loop: Header=BB118_114 Depth=1
                                        ; implicit-def: $vgpr30
                                        ; implicit-def: $vgpr29
	s_cbranch_execz .LBB118_154
; %bb.145:                              ;   in Loop: Header=BB118_114 Depth=1
                                        ; implicit-def: $vgpr30
                                        ; implicit-def: $vgpr29
	s_and_saveexec_b64 s[4:5], s[2:3]
	s_xor_b64 s[4:5], exec, s[4:5]
	s_cbranch_execz .LBB118_151
; %bb.146:                              ;   in Loop: Header=BB118_114 Depth=1
	v_cmp_neq_f32_e32 vcc, 0, v22
	v_cmp_neq_f32_e64 s[2:3], 0, v23
	s_or_b64 s[2:3], vcc, s[2:3]
                                        ; implicit-def: $vgpr30
                                        ; implicit-def: $vgpr29
	s_and_saveexec_b64 s[12:13], s[2:3]
	s_xor_b64 s[2:3], exec, s[12:13]
	s_cbranch_execz .LBB118_148
; %bb.147:                              ;   in Loop: Header=BB118_114 Depth=1
	v_div_scale_f32 v16, s[12:13], v22, v22, v23
	v_rcp_f32_e32 v17, v16
	v_div_scale_f32 v20, vcc, v23, v22, v23
	v_fma_f32 v21, -v16, v17, 1.0
	v_fmac_f32_e32 v17, v21, v17
	v_mul_f32_e32 v21, v20, v17
	v_fma_f32 v29, -v16, v21, v20
	v_fmac_f32_e32 v21, v29, v17
	v_fma_f32 v16, -v16, v21, v20
	v_div_fmas_f32 v16, v16, v17, v21
	v_div_fixup_f32 v16, v16, v22, v23
	v_fmac_f32_e32 v22, v23, v16
	v_div_scale_f32 v17, s[12:13], v22, v22, 1.0
	v_rcp_f32_e32 v20, v17
	v_fma_f32 v21, -v17, v20, 1.0
	v_fmac_f32_e32 v20, v21, v20
	v_div_scale_f32 v21, vcc, 1.0, v22, 1.0
	v_mul_f32_e32 v23, v21, v20
	v_fma_f32 v29, -v17, v23, v21
	v_fmac_f32_e32 v23, v29, v20
	v_fma_f32 v17, -v17, v23, v21
	v_div_fmas_f32 v17, v17, v20, v23
	v_div_fixup_f32 v17, v17, v22, 1.0
	v_fma_f32 v20, v19, v16, v18
	v_fma_f32 v16, -v18, v16, v19
	v_mul_f32_e32 v29, v20, v17
	v_mul_f32_e32 v30, v16, v17
                                        ; implicit-def: $vgpr16_vgpr17_vgpr18_vgpr19
                                        ; implicit-def: $vgpr20
                                        ; implicit-def: $vgpr16
.LBB118_148:                            ;   in Loop: Header=BB118_114 Depth=1
	s_andn2_saveexec_b64 s[2:3], s[2:3]
	s_cbranch_execz .LBB118_150
; %bb.149:                              ;   in Loop: Header=BB118_114 Depth=1
	v_div_scale_f32 v17, s[12:13], v20, v20, v18
	v_rcp_f32_e32 v21, v17
	v_div_scale_f32 v22, vcc, v18, v20, v18
	v_fma_f32 v23, -v17, v21, 1.0
	v_fmac_f32_e32 v21, v23, v21
	v_mul_f32_e32 v23, v22, v21
	v_fma_f32 v29, -v17, v23, v22
	v_fmac_f32_e32 v23, v29, v21
	v_fma_f32 v17, -v17, v23, v22
	v_div_scale_f32 v22, s[12:13], v16, v16, v19
	v_rcp_f32_e32 v30, v22
	v_div_fmas_f32 v17, v17, v21, v23
	v_div_fixup_f32 v29, v17, v20, v18
	v_fma_f32 v17, -v22, v30, 1.0
	v_fmac_f32_e32 v30, v17, v30
	v_div_scale_f32 v17, vcc, v19, v16, v19
	v_mul_f32_e32 v18, v17, v30
	v_fma_f32 v20, -v22, v18, v17
	v_fmac_f32_e32 v18, v20, v30
	v_fma_f32 v17, -v22, v18, v17
	v_div_fmas_f32 v17, v17, v30, v18
	v_div_fixup_f32 v30, v17, v16, v19
.LBB118_150:                            ;   in Loop: Header=BB118_114 Depth=1
	s_or_b64 exec, exec, s[2:3]
                                        ; implicit-def: $vgpr20_vgpr21_vgpr22_vgpr23
                                        ; implicit-def: $vgpr16_vgpr17_vgpr18_vgpr19
.LBB118_151:                            ;   in Loop: Header=BB118_114 Depth=1
	s_andn2_saveexec_b64 s[2:3], s[4:5]
	s_cbranch_execz .LBB118_153
; %bb.152:                              ;   in Loop: Header=BB118_114 Depth=1
	v_div_scale_f32 v16, s[4:5], v23, v23, v22
	v_rcp_f32_e32 v17, v16
	v_div_scale_f32 v20, vcc, v22, v23, v22
	v_fma_f32 v21, -v16, v17, 1.0
	v_fmac_f32_e32 v17, v21, v17
	v_mul_f32_e32 v21, v20, v17
	v_fma_f32 v29, -v16, v21, v20
	v_fmac_f32_e32 v21, v29, v17
	v_fma_f32 v16, -v16, v21, v20
	v_div_fmas_f32 v16, v16, v17, v21
	v_div_fixup_f32 v16, v16, v23, v22
	v_fmac_f32_e32 v23, v22, v16
	v_div_scale_f32 v17, s[4:5], v23, v23, 1.0
	v_rcp_f32_e32 v20, v17
	v_fma_f32 v21, -v17, v20, 1.0
	v_fmac_f32_e32 v20, v21, v20
	v_div_scale_f32 v21, vcc, 1.0, v23, 1.0
	v_mul_f32_e32 v22, v21, v20
	v_fma_f32 v29, -v17, v22, v21
	v_fmac_f32_e32 v22, v29, v20
	v_fma_f32 v17, -v17, v22, v21
	v_div_fmas_f32 v17, v17, v20, v22
	v_div_fixup_f32 v17, v17, v23, 1.0
	v_fma_f32 v20, v18, v16, v19
	v_fma_f32 v16, v19, v16, -v18
	v_mul_f32_e32 v29, v20, v17
	v_mul_f32_e32 v30, v16, v17
.LBB118_153:                            ;   in Loop: Header=BB118_114 Depth=1
	s_or_b64 exec, exec, s[2:3]
.LBB118_154:                            ;   in Loop: Header=BB118_114 Depth=1
	v_cmp_gt_f32_e32 vcc, 0, v12
	v_cndmask_b32_e64 v19, v12, -v12, vcc
	v_cmp_gt_f32_e32 vcc, 0, v13
	v_cndmask_b32_e64 v18, v13, -v13, vcc
	s_and_b64 vcc, exec, s[0:1]
	v_cmp_ge_f32_e64 s[2:3], v19, v18
	s_cbranch_vccnz .LBB118_164
; %bb.155:                              ;   in Loop: Header=BB118_114 Depth=1
                                        ; implicit-def: $vgpr17
                                        ; implicit-def: $vgpr20
	s_and_saveexec_b64 s[4:5], s[2:3]
	s_xor_b64 s[12:13], exec, s[4:5]
	s_cbranch_execz .LBB118_161
; %bb.156:                              ;   in Loop: Header=BB118_114 Depth=1
	v_cmp_neq_f32_e32 vcc, 0, v12
	v_cmp_neq_f32_e64 s[4:5], 0, v13
	s_or_b64 s[4:5], vcc, s[4:5]
                                        ; implicit-def: $vgpr17
                                        ; implicit-def: $vgpr20
	s_and_saveexec_b64 s[22:23], s[4:5]
	s_xor_b64 s[4:5], exec, s[22:23]
	s_cbranch_execz .LBB118_158
; %bb.157:                              ;   in Loop: Header=BB118_114 Depth=1
	v_div_scale_f32 v16, s[22:23], v12, v12, v13
	v_rcp_f32_e32 v17, v16
	v_div_scale_f32 v20, vcc, v13, v12, v13
	v_fma_f32 v21, -v16, v17, 1.0
	v_fmac_f32_e32 v17, v21, v17
	v_mul_f32_e32 v21, v20, v17
	v_fma_f32 v22, -v16, v21, v20
	v_fmac_f32_e32 v21, v22, v17
	v_fma_f32 v16, -v16, v21, v20
	v_div_fmas_f32 v16, v16, v17, v21
	v_div_fixup_f32 v16, v16, v12, v13
	v_fma_f32 v17, v13, v16, v12
	v_div_scale_f32 v20, s[22:23], v17, v17, 1.0
	v_rcp_f32_e32 v21, v20
	v_fma_f32 v22, -v20, v21, 1.0
	v_fmac_f32_e32 v21, v22, v21
	v_div_scale_f32 v22, vcc, 1.0, v17, 1.0
	v_mul_f32_e32 v23, v22, v21
	v_fma_f32 v31, -v20, v23, v22
	v_fmac_f32_e32 v23, v31, v21
	v_fma_f32 v20, -v20, v23, v22
	v_div_fmas_f32 v20, v20, v21, v23
	v_div_fixup_f32 v17, v20, v17, 1.0
	v_fma_f32 v20, v9, v16, v8
	v_fma_f32 v16, -v8, v16, v9
	v_mul_f32_e32 v20, v20, v17
	v_mul_f32_e32 v17, v16, v17
.LBB118_158:                            ;   in Loop: Header=BB118_114 Depth=1
	s_andn2_saveexec_b64 s[4:5], s[4:5]
	s_cbranch_execz .LBB118_160
; %bb.159:                              ;   in Loop: Header=BB118_114 Depth=1
	v_div_scale_f32 v16, s[22:23], v19, v19, v8
	v_rcp_f32_e32 v17, v16
	v_div_scale_f32 v20, vcc, v8, v19, v8
	v_fma_f32 v21, -v16, v17, 1.0
	v_fmac_f32_e32 v17, v21, v17
	v_mul_f32_e32 v21, v20, v17
	v_fma_f32 v22, -v16, v21, v20
	v_fmac_f32_e32 v21, v22, v17
	v_div_scale_f32 v22, s[22:23], v18, v18, v9
	v_rcp_f32_e32 v23, v22
	v_fma_f32 v16, -v16, v21, v20
	v_div_fmas_f32 v16, v16, v17, v21
	v_div_fixup_f32 v20, v16, v19, v8
	v_fma_f32 v16, -v22, v23, 1.0
	v_fmac_f32_e32 v23, v16, v23
	v_div_scale_f32 v16, vcc, v9, v18, v9
	v_mul_f32_e32 v17, v16, v23
	v_fma_f32 v21, -v22, v17, v16
	v_fmac_f32_e32 v17, v21, v23
	v_fma_f32 v16, -v22, v17, v16
	v_div_fmas_f32 v16, v16, v23, v17
	v_div_fixup_f32 v17, v16, v18, v9
.LBB118_160:                            ;   in Loop: Header=BB118_114 Depth=1
	s_or_b64 exec, exec, s[4:5]
.LBB118_161:                            ;   in Loop: Header=BB118_114 Depth=1
	s_andn2_saveexec_b64 s[4:5], s[12:13]
	s_cbranch_execz .LBB118_163
; %bb.162:                              ;   in Loop: Header=BB118_114 Depth=1
	v_div_scale_f32 v16, s[12:13], v13, v13, v12
	v_rcp_f32_e32 v17, v16
	v_div_scale_f32 v20, vcc, v12, v13, v12
	v_fma_f32 v21, -v16, v17, 1.0
	v_fmac_f32_e32 v17, v21, v17
	v_mul_f32_e32 v21, v20, v17
	v_fma_f32 v22, -v16, v21, v20
	v_fmac_f32_e32 v21, v22, v17
	v_fma_f32 v16, -v16, v21, v20
	v_div_fmas_f32 v16, v16, v17, v21
	v_div_fixup_f32 v16, v16, v13, v12
	v_fma_f32 v17, v12, v16, v13
	v_div_scale_f32 v20, s[12:13], v17, v17, 1.0
	v_rcp_f32_e32 v21, v20
	v_fma_f32 v22, -v20, v21, 1.0
	v_fmac_f32_e32 v21, v22, v21
	v_div_scale_f32 v22, vcc, 1.0, v17, 1.0
	v_mul_f32_e32 v23, v22, v21
	v_fma_f32 v31, -v20, v23, v22
	v_fmac_f32_e32 v23, v31, v21
	v_fma_f32 v20, -v20, v23, v22
	v_div_fmas_f32 v20, v20, v21, v23
	v_div_fixup_f32 v17, v20, v17, 1.0
	v_fma_f32 v20, v8, v16, v9
	v_fma_f32 v16, v9, v16, -v8
	v_mul_f32_e32 v20, v20, v17
	v_mul_f32_e32 v17, v16, v17
.LBB118_163:                            ;   in Loop: Header=BB118_114 Depth=1
	s_or_b64 exec, exec, s[4:5]
	v_mul_f32_e32 v16, s17, v17
	v_mul_f32_e32 v17, s16, v17
	v_fma_f32 v16, v20, s16, -v16
	v_fmac_f32_e32 v17, s17, v20
	s_branch .LBB118_174
.LBB118_164:                            ;   in Loop: Header=BB118_114 Depth=1
                                        ; implicit-def: $vgpr17
                                        ; implicit-def: $vgpr16
	s_cbranch_execz .LBB118_174
; %bb.165:                              ;   in Loop: Header=BB118_114 Depth=1
                                        ; implicit-def: $vgpr17
                                        ; implicit-def: $vgpr16
	s_and_saveexec_b64 s[4:5], s[2:3]
	s_xor_b64 s[4:5], exec, s[4:5]
	s_cbranch_execz .LBB118_171
; %bb.166:                              ;   in Loop: Header=BB118_114 Depth=1
	v_cmp_neq_f32_e32 vcc, 0, v12
	v_cmp_neq_f32_e64 s[2:3], 0, v13
	s_or_b64 s[2:3], vcc, s[2:3]
                                        ; implicit-def: $vgpr17
                                        ; implicit-def: $vgpr16
	s_and_saveexec_b64 s[12:13], s[2:3]
	s_xor_b64 s[2:3], exec, s[12:13]
	s_cbranch_execz .LBB118_168
; %bb.167:                              ;   in Loop: Header=BB118_114 Depth=1
	v_div_scale_f32 v16, s[12:13], v12, v12, v13
	v_rcp_f32_e32 v17, v16
	v_div_scale_f32 v18, vcc, v13, v12, v13
	v_fma_f32 v19, -v16, v17, 1.0
	v_fmac_f32_e32 v17, v19, v17
	v_mul_f32_e32 v19, v18, v17
	v_fma_f32 v20, -v16, v19, v18
	v_fmac_f32_e32 v19, v20, v17
	v_fma_f32 v16, -v16, v19, v18
	v_div_fmas_f32 v16, v16, v17, v19
	v_div_fixup_f32 v17, v16, v12, v13
	v_fma_f32 v16, v13, v17, v12
	v_div_scale_f32 v18, s[12:13], v16, v16, 1.0
	v_rcp_f32_e32 v19, v18
	v_fma_f32 v20, -v18, v19, 1.0
	v_fmac_f32_e32 v19, v20, v19
	v_div_scale_f32 v20, vcc, 1.0, v16, 1.0
	v_mul_f32_e32 v21, v20, v19
	v_fma_f32 v22, -v18, v21, v20
	v_fmac_f32_e32 v21, v22, v19
	v_fma_f32 v18, -v18, v21, v20
	v_div_fmas_f32 v18, v18, v19, v21
	v_div_fixup_f32 v18, v18, v16, 1.0
	v_fma_f32 v16, v9, v17, v8
	v_fma_f32 v17, -v8, v17, v9
	v_mul_f32_e32 v16, v16, v18
	v_mul_f32_e32 v17, v17, v18
                                        ; implicit-def: $vgpr19
                                        ; implicit-def: $vgpr18
.LBB118_168:                            ;   in Loop: Header=BB118_114 Depth=1
	s_andn2_saveexec_b64 s[2:3], s[2:3]
	s_cbranch_execz .LBB118_170
; %bb.169:                              ;   in Loop: Header=BB118_114 Depth=1
	v_div_scale_f32 v16, s[12:13], v19, v19, v8
	v_rcp_f32_e32 v17, v16
	v_div_scale_f32 v20, vcc, v8, v19, v8
	v_fma_f32 v21, -v16, v17, 1.0
	v_fmac_f32_e32 v17, v21, v17
	v_mul_f32_e32 v21, v20, v17
	v_fma_f32 v22, -v16, v21, v20
	v_fmac_f32_e32 v21, v22, v17
	v_fma_f32 v16, -v16, v21, v20
	v_div_scale_f32 v20, s[12:13], v18, v18, v9
	v_rcp_f32_e32 v22, v20
	v_div_fmas_f32 v16, v16, v17, v21
	v_div_fixup_f32 v16, v16, v19, v8
	v_fma_f32 v17, -v20, v22, 1.0
	v_fmac_f32_e32 v22, v17, v22
	v_div_scale_f32 v17, vcc, v9, v18, v9
	v_mul_f32_e32 v19, v17, v22
	v_fma_f32 v21, -v20, v19, v17
	v_fmac_f32_e32 v19, v21, v22
	v_fma_f32 v17, -v20, v19, v17
	v_div_fmas_f32 v17, v17, v22, v19
	v_div_fixup_f32 v17, v17, v18, v9
.LBB118_170:                            ;   in Loop: Header=BB118_114 Depth=1
	s_or_b64 exec, exec, s[2:3]
.LBB118_171:                            ;   in Loop: Header=BB118_114 Depth=1
	s_andn2_saveexec_b64 s[2:3], s[4:5]
	s_cbranch_execz .LBB118_173
; %bb.172:                              ;   in Loop: Header=BB118_114 Depth=1
	v_div_scale_f32 v16, s[4:5], v13, v13, v12
	v_rcp_f32_e32 v17, v16
	v_div_scale_f32 v18, vcc, v12, v13, v12
	v_fma_f32 v19, -v16, v17, 1.0
	v_fmac_f32_e32 v17, v19, v17
	v_mul_f32_e32 v19, v18, v17
	v_fma_f32 v20, -v16, v19, v18
	v_fmac_f32_e32 v19, v20, v17
	v_fma_f32 v16, -v16, v19, v18
	v_div_fmas_f32 v16, v16, v17, v19
	v_div_fixup_f32 v17, v16, v13, v12
	v_fma_f32 v12, v12, v17, v13
	v_div_scale_f32 v13, s[4:5], v12, v12, 1.0
	v_rcp_f32_e32 v16, v13
	v_fma_f32 v18, -v13, v16, 1.0
	v_fmac_f32_e32 v16, v18, v16
	v_div_scale_f32 v18, vcc, 1.0, v12, 1.0
	v_mul_f32_e32 v19, v18, v16
	v_fma_f32 v20, -v13, v19, v18
	v_fmac_f32_e32 v19, v20, v16
	v_fma_f32 v13, -v13, v19, v18
	v_div_fmas_f32 v13, v13, v16, v19
	v_div_fixup_f32 v12, v13, v12, 1.0
	v_fma_f32 v13, v8, v17, v9
	v_fma_f32 v8, v9, v17, -v8
	v_mul_f32_e32 v16, v13, v12
	v_mul_f32_e32 v17, v8, v12
.LBB118_173:                            ;   in Loop: Header=BB118_114 Depth=1
	s_or_b64 exec, exec, s[2:3]
.LBB118_174:                            ;   in Loop: Header=BB118_114 Depth=1
	v_cmp_gt_f32_e32 vcc, 0, v15
	v_cndmask_b32_e64 v13, v15, -v15, vcc
	v_cmp_gt_f32_e32 vcc, 0, v14
	v_cndmask_b32_e64 v18, v14, -v14, vcc
	s_and_b64 vcc, exec, s[0:1]
	v_cmp_ge_f32_e64 s[0:1], v18, v13
	s_cbranch_vccnz .LBB118_184
; %bb.175:                              ;   in Loop: Header=BB118_114 Depth=1
                                        ; implicit-def: $vgpr12
                                        ; implicit-def: $vgpr8
	s_and_saveexec_b64 s[2:3], s[0:1]
	s_xor_b64 s[4:5], exec, s[2:3]
	s_cbranch_execz .LBB118_181
; %bb.176:                              ;   in Loop: Header=BB118_114 Depth=1
	v_cmp_neq_f32_e32 vcc, 0, v14
	v_cmp_neq_f32_e64 s[2:3], 0, v15
	s_or_b64 s[2:3], vcc, s[2:3]
                                        ; implicit-def: $vgpr12
                                        ; implicit-def: $vgpr8
	s_and_saveexec_b64 s[12:13], s[2:3]
	s_xor_b64 s[2:3], exec, s[12:13]
	s_cbranch_execz .LBB118_178
; %bb.177:                              ;   in Loop: Header=BB118_114 Depth=1
	v_div_scale_f32 v8, s[12:13], v14, v14, v15
	v_rcp_f32_e32 v9, v8
	v_div_scale_f32 v12, vcc, v15, v14, v15
	v_fma_f32 v19, -v8, v9, 1.0
	v_fmac_f32_e32 v9, v19, v9
	v_mul_f32_e32 v19, v12, v9
	v_fma_f32 v20, -v8, v19, v12
	v_fmac_f32_e32 v19, v20, v9
	v_fma_f32 v8, -v8, v19, v12
	v_div_fmas_f32 v8, v8, v9, v19
	v_div_fixup_f32 v9, v8, v14, v15
	v_fma_f32 v8, v15, v9, v14
	v_div_scale_f32 v12, s[12:13], v8, v8, 1.0
	v_rcp_f32_e32 v19, v12
	v_fma_f32 v20, -v12, v19, 1.0
	v_fmac_f32_e32 v19, v20, v19
	v_div_scale_f32 v20, vcc, 1.0, v8, 1.0
	v_mul_f32_e32 v21, v20, v19
	v_fma_f32 v22, -v12, v21, v20
	v_fmac_f32_e32 v21, v22, v19
	v_fma_f32 v12, -v12, v21, v20
	v_div_fmas_f32 v12, v12, v19, v21
	v_div_fixup_f32 v12, v12, v8, 1.0
	v_fma_f32 v8, v11, v9, v10
	v_fma_f32 v9, -v10, v9, v11
	v_mul_f32_e32 v8, v8, v12
	v_mul_f32_e32 v12, v9, v12
.LBB118_178:                            ;   in Loop: Header=BB118_114 Depth=1
	s_andn2_saveexec_b64 s[2:3], s[2:3]
	s_cbranch_execz .LBB118_180
; %bb.179:                              ;   in Loop: Header=BB118_114 Depth=1
	v_div_scale_f32 v8, s[12:13], v18, v18, v10
	v_rcp_f32_e32 v9, v8
	v_div_scale_f32 v12, vcc, v10, v18, v10
	v_fma_f32 v19, -v8, v9, 1.0
	v_fmac_f32_e32 v9, v19, v9
	v_mul_f32_e32 v19, v12, v9
	v_fma_f32 v20, -v8, v19, v12
	v_fmac_f32_e32 v19, v20, v9
	v_fma_f32 v8, -v8, v19, v12
	v_div_scale_f32 v12, s[12:13], v13, v13, v11
	v_rcp_f32_e32 v20, v12
	v_div_fmas_f32 v8, v8, v9, v19
	v_div_fixup_f32 v8, v8, v18, v10
	v_fma_f32 v9, -v12, v20, 1.0
	v_fmac_f32_e32 v20, v9, v20
	v_div_scale_f32 v9, vcc, v11, v13, v11
	v_mul_f32_e32 v19, v9, v20
	v_fma_f32 v21, -v12, v19, v9
	v_fmac_f32_e32 v19, v21, v20
	v_fma_f32 v9, -v12, v19, v9
	v_div_fmas_f32 v9, v9, v20, v19
	v_div_fixup_f32 v12, v9, v13, v11
.LBB118_180:                            ;   in Loop: Header=BB118_114 Depth=1
	s_or_b64 exec, exec, s[2:3]
.LBB118_181:                            ;   in Loop: Header=BB118_114 Depth=1
	s_andn2_saveexec_b64 s[2:3], s[4:5]
	s_cbranch_execz .LBB118_183
; %bb.182:                              ;   in Loop: Header=BB118_114 Depth=1
	v_div_scale_f32 v8, s[4:5], v15, v15, v14
	v_rcp_f32_e32 v9, v8
	v_div_scale_f32 v12, vcc, v14, v15, v14
	v_fma_f32 v19, -v8, v9, 1.0
	v_fmac_f32_e32 v9, v19, v9
	v_mul_f32_e32 v19, v12, v9
	v_fma_f32 v20, -v8, v19, v12
	v_fmac_f32_e32 v19, v20, v9
	v_fma_f32 v8, -v8, v19, v12
	v_div_fmas_f32 v8, v8, v9, v19
	v_div_fixup_f32 v9, v8, v15, v14
	v_fma_f32 v8, v14, v9, v15
	v_div_scale_f32 v12, s[4:5], v8, v8, 1.0
	v_rcp_f32_e32 v19, v12
	v_fma_f32 v20, -v12, v19, 1.0
	v_fmac_f32_e32 v19, v20, v19
	v_div_scale_f32 v20, vcc, 1.0, v8, 1.0
	v_mul_f32_e32 v21, v20, v19
	v_fma_f32 v22, -v12, v21, v20
	v_fmac_f32_e32 v21, v22, v19
	v_fma_f32 v12, -v12, v21, v20
	v_div_fmas_f32 v12, v12, v19, v21
	v_div_fixup_f32 v12, v12, v8, 1.0
	v_fma_f32 v8, v10, v9, v11
	v_fma_f32 v9, v11, v9, -v10
	v_mul_f32_e32 v8, v8, v12
	v_mul_f32_e32 v12, v9, v12
.LBB118_183:                            ;   in Loop: Header=BB118_114 Depth=1
	s_or_b64 exec, exec, s[2:3]
	v_pk_mul_f32 v[22:23], v[12:13], s[16:17] op_sel_hi:[0,1]
	v_pk_mul_f32 v[20:21], v[8:9], s[16:17] op_sel_hi:[0,1]
	v_pk_fma_f32 v[8:9], v[8:9], s[16:17], v[22:23] op_sel:[0,0,1] op_sel_hi:[0,1,0]
	v_sub_f32_e32 v8, v20, v23
	s_branch .LBB118_113
.LBB118_184:                            ;   in Loop: Header=BB118_114 Depth=1
                                        ; implicit-def: $vgpr9
	s_cbranch_execz .LBB118_113
; %bb.185:                              ;   in Loop: Header=BB118_114 Depth=1
                                        ; implicit-def: $vgpr9
	s_and_saveexec_b64 s[2:3], s[0:1]
	s_xor_b64 s[2:3], exec, s[2:3]
	s_cbranch_execz .LBB118_191
; %bb.186:                              ;   in Loop: Header=BB118_114 Depth=1
	v_cmp_neq_f32_e32 vcc, 0, v14
	v_cmp_neq_f32_e64 s[0:1], 0, v15
	s_or_b64 s[0:1], vcc, s[0:1]
                                        ; implicit-def: $vgpr9
	s_and_saveexec_b64 s[4:5], s[0:1]
	s_xor_b64 s[0:1], exec, s[4:5]
	s_cbranch_execz .LBB118_188
; %bb.187:                              ;   in Loop: Header=BB118_114 Depth=1
	v_div_scale_f32 v8, s[4:5], v14, v14, v15
	v_rcp_f32_e32 v9, v8
	v_div_scale_f32 v12, vcc, v15, v14, v15
	v_fma_f32 v13, -v8, v9, 1.0
	v_fmac_f32_e32 v9, v13, v9
	v_mul_f32_e32 v13, v12, v9
	v_fma_f32 v18, -v8, v13, v12
	v_fmac_f32_e32 v13, v18, v9
	v_fma_f32 v8, -v8, v13, v12
	v_div_fmas_f32 v8, v8, v9, v13
	v_div_fixup_f32 v8, v8, v14, v15
	v_fmac_f32_e32 v14, v15, v8
	v_div_scale_f32 v9, s[4:5], v14, v14, 1.0
	v_rcp_f32_e32 v12, v9
	v_fma_f32 v13, -v9, v12, 1.0
	v_fmac_f32_e32 v12, v13, v12
	v_div_scale_f32 v13, vcc, 1.0, v14, 1.0
	v_mul_f32_e32 v15, v13, v12
	v_fma_f32 v18, -v9, v15, v13
	v_fmac_f32_e32 v15, v18, v12
	v_fma_f32 v9, -v9, v15, v13
	v_div_fmas_f32 v9, v9, v12, v15
	v_div_fixup_f32 v12, v9, v14, 1.0
	v_pk_mul_f32 v[8:9], v[10:11], v[8:9] op_sel_hi:[1,0]
	v_pk_add_f32 v[14:15], v[10:11], v[8:9] op_sel:[0,1] op_sel_hi:[1,0] neg_lo:[0,1] neg_hi:[0,1]
	v_pk_add_f32 v[8:9], v[10:11], v[8:9] op_sel:[0,1] op_sel_hi:[1,0]
	v_mov_b32_e32 v9, v15
	v_pk_mul_f32 v[8:9], v[8:9], v[12:13] op_sel_hi:[1,0]
                                        ; implicit-def: $vgpr18
                                        ; implicit-def: $vgpr10_vgpr11
                                        ; implicit-def: $vgpr13
.LBB118_188:                            ;   in Loop: Header=BB118_114 Depth=1
	s_andn2_saveexec_b64 s[0:1], s[0:1]
	s_cbranch_execz .LBB118_190
; %bb.189:                              ;   in Loop: Header=BB118_114 Depth=1
	v_div_scale_f32 v8, s[4:5], v18, v18, v10
	v_rcp_f32_e32 v9, v8
	v_div_scale_f32 v12, vcc, v10, v18, v10
	v_fma_f32 v14, -v8, v9, 1.0
	v_fmac_f32_e32 v9, v14, v9
	v_mul_f32_e32 v14, v12, v9
	v_fma_f32 v15, -v8, v14, v12
	v_fmac_f32_e32 v14, v15, v9
	v_fma_f32 v8, -v8, v14, v12
	v_div_scale_f32 v12, s[4:5], v13, v13, v11
	v_rcp_f32_e32 v15, v12
	v_div_fmas_f32 v8, v8, v9, v14
	v_div_fixup_f32 v8, v8, v18, v10
	v_fma_f32 v9, -v12, v15, 1.0
	v_fmac_f32_e32 v15, v9, v15
	v_div_scale_f32 v9, vcc, v11, v13, v11
	v_mul_f32_e32 v10, v9, v15
	v_fma_f32 v14, -v12, v10, v9
	v_fmac_f32_e32 v10, v14, v15
	v_fma_f32 v9, -v12, v10, v9
	v_div_fmas_f32 v9, v9, v15, v10
	v_div_fixup_f32 v9, v9, v13, v11
.LBB118_190:                            ;   in Loop: Header=BB118_114 Depth=1
	s_or_b64 exec, exec, s[0:1]
                                        ; implicit-def: $vgpr12_vgpr13_vgpr14_vgpr15
                                        ; implicit-def: $vgpr10_vgpr11
.LBB118_191:                            ;   in Loop: Header=BB118_114 Depth=1
	s_andn2_saveexec_b64 s[0:1], s[2:3]
	s_cbranch_execz .LBB118_112
; %bb.192:                              ;   in Loop: Header=BB118_114 Depth=1
	v_div_scale_f32 v8, s[2:3], v15, v15, v14
	v_rcp_f32_e32 v9, v8
	v_div_scale_f32 v12, vcc, v14, v15, v14
	v_fma_f32 v13, -v8, v9, 1.0
	v_fmac_f32_e32 v9, v13, v9
	v_mul_f32_e32 v13, v12, v9
	v_fma_f32 v18, -v8, v13, v12
	v_fmac_f32_e32 v13, v18, v9
	v_fma_f32 v8, -v8, v13, v12
	v_div_fmas_f32 v8, v8, v9, v13
	v_div_fixup_f32 v8, v8, v15, v14
	v_fmac_f32_e32 v15, v14, v8
	v_div_scale_f32 v9, s[2:3], v15, v15, 1.0
	v_rcp_f32_e32 v12, v9
	v_fma_f32 v13, -v9, v12, 1.0
	v_fmac_f32_e32 v12, v13, v12
	v_div_scale_f32 v13, vcc, 1.0, v15, 1.0
	v_mul_f32_e32 v14, v13, v12
	v_fma_f32 v18, -v9, v14, v13
	v_fmac_f32_e32 v14, v18, v12
	v_fma_f32 v9, -v9, v14, v13
	v_div_fmas_f32 v9, v9, v12, v14
	v_div_fixup_f32 v12, v9, v15, 1.0
	v_pk_fma_f32 v[14:15], v[10:11], v[8:9], v[10:11] op_sel:[0,0,1] op_sel_hi:[1,0,0] neg_lo:[0,0,1] neg_hi:[0,0,1]
	v_pk_fma_f32 v[8:9], v[10:11], v[8:9], v[10:11] op_sel:[0,0,1] op_sel_hi:[1,0,0]
	v_mov_b32_e32 v9, v15
	v_pk_mul_f32 v[8:9], v[8:9], v[12:13] op_sel_hi:[1,0]
	s_branch .LBB118_112
.LBB118_193:
	s_endpgm
	.section	.rodata,"a",@progbits
	.p2align	6, 0x0
	.amdhsa_kernel _ZN2at6native12_GLOBAL__N_125multi_tensor_apply_kernelINS1_28TensorListScalarListMetadataIN3c107complexIfEELi4EEENS1_28PointwiseOpScalarListFunctorIS6_Li4ELi3ELi3EEEJSt7dividesIS6_EEEEvT_T0_DpT1_
		.amdhsa_group_segment_fixed_size 0
		.amdhsa_private_segment_fixed_size 0
		.amdhsa_kernarg_size 3592
		.amdhsa_user_sgpr_count 6
		.amdhsa_user_sgpr_private_segment_buffer 1
		.amdhsa_user_sgpr_dispatch_ptr 0
		.amdhsa_user_sgpr_queue_ptr 0
		.amdhsa_user_sgpr_kernarg_segment_ptr 1
		.amdhsa_user_sgpr_dispatch_id 0
		.amdhsa_user_sgpr_flat_scratch_init 0
		.amdhsa_user_sgpr_kernarg_preload_length 0
		.amdhsa_user_sgpr_kernarg_preload_offset 0
		.amdhsa_user_sgpr_private_segment_size 0
		.amdhsa_uses_dynamic_stack 0
		.amdhsa_system_sgpr_private_segment_wavefront_offset 0
		.amdhsa_system_sgpr_workgroup_id_x 1
		.amdhsa_system_sgpr_workgroup_id_y 0
		.amdhsa_system_sgpr_workgroup_id_z 0
		.amdhsa_system_sgpr_workgroup_info 0
		.amdhsa_system_vgpr_workitem_id 0
		.amdhsa_next_free_vgpr 68
		.amdhsa_next_free_sgpr 54
		.amdhsa_accum_offset 68
		.amdhsa_reserve_vcc 1
		.amdhsa_reserve_flat_scratch 0
		.amdhsa_float_round_mode_32 0
		.amdhsa_float_round_mode_16_64 0
		.amdhsa_float_denorm_mode_32 3
		.amdhsa_float_denorm_mode_16_64 3
		.amdhsa_dx10_clamp 1
		.amdhsa_ieee_mode 1
		.amdhsa_fp16_overflow 0
		.amdhsa_tg_split 0
		.amdhsa_exception_fp_ieee_invalid_op 0
		.amdhsa_exception_fp_denorm_src 0
		.amdhsa_exception_fp_ieee_div_zero 0
		.amdhsa_exception_fp_ieee_overflow 0
		.amdhsa_exception_fp_ieee_underflow 0
		.amdhsa_exception_fp_ieee_inexact 0
		.amdhsa_exception_int_div_zero 0
	.end_amdhsa_kernel
	.section	.text._ZN2at6native12_GLOBAL__N_125multi_tensor_apply_kernelINS1_28TensorListScalarListMetadataIN3c107complexIfEELi4EEENS1_28PointwiseOpScalarListFunctorIS6_Li4ELi3ELi3EEEJSt7dividesIS6_EEEEvT_T0_DpT1_,"axG",@progbits,_ZN2at6native12_GLOBAL__N_125multi_tensor_apply_kernelINS1_28TensorListScalarListMetadataIN3c107complexIfEELi4EEENS1_28PointwiseOpScalarListFunctorIS6_Li4ELi3ELi3EEEJSt7dividesIS6_EEEEvT_T0_DpT1_,comdat
.Lfunc_end118:
	.size	_ZN2at6native12_GLOBAL__N_125multi_tensor_apply_kernelINS1_28TensorListScalarListMetadataIN3c107complexIfEELi4EEENS1_28PointwiseOpScalarListFunctorIS6_Li4ELi3ELi3EEEJSt7dividesIS6_EEEEvT_T0_DpT1_, .Lfunc_end118-_ZN2at6native12_GLOBAL__N_125multi_tensor_apply_kernelINS1_28TensorListScalarListMetadataIN3c107complexIfEELi4EEENS1_28PointwiseOpScalarListFunctorIS6_Li4ELi3ELi3EEEJSt7dividesIS6_EEEEvT_T0_DpT1_
                                        ; -- End function
	.section	.AMDGPU.csdata,"",@progbits
; Kernel info:
; codeLenInByte = 11692
; NumSgprs: 58
; NumVgprs: 68
; NumAgprs: 0
; TotalNumVgprs: 68
; ScratchSize: 0
; MemoryBound: 1
; FloatMode: 240
; IeeeMode: 1
; LDSByteSize: 0 bytes/workgroup (compile time only)
; SGPRBlocks: 7
; VGPRBlocks: 8
; NumSGPRsForWavesPerEU: 58
; NumVGPRsForWavesPerEU: 68
; AccumOffset: 68
; Occupancy: 7
; WaveLimiterHint : 1
; COMPUTE_PGM_RSRC2:SCRATCH_EN: 0
; COMPUTE_PGM_RSRC2:USER_SGPR: 6
; COMPUTE_PGM_RSRC2:TRAP_HANDLER: 0
; COMPUTE_PGM_RSRC2:TGID_X_EN: 1
; COMPUTE_PGM_RSRC2:TGID_Y_EN: 0
; COMPUTE_PGM_RSRC2:TGID_Z_EN: 0
; COMPUTE_PGM_RSRC2:TIDIG_COMP_CNT: 0
; COMPUTE_PGM_RSRC3_GFX90A:ACCUM_OFFSET: 16
; COMPUTE_PGM_RSRC3_GFX90A:TG_SPLIT: 0
	.section	.text._ZN2at6native12_GLOBAL__N_125multi_tensor_apply_kernelINS1_28TensorListScalarListMetadataIfLi4EEENS1_28PointwiseOpScalarListFunctorIN3c104HalfELi4ELi3ELi3EEEJSt7dividesIfEEEEvT_T0_DpT1_,"axG",@progbits,_ZN2at6native12_GLOBAL__N_125multi_tensor_apply_kernelINS1_28TensorListScalarListMetadataIfLi4EEENS1_28PointwiseOpScalarListFunctorIN3c104HalfELi4ELi3ELi3EEEJSt7dividesIfEEEEvT_T0_DpT1_,comdat
	.globl	_ZN2at6native12_GLOBAL__N_125multi_tensor_apply_kernelINS1_28TensorListScalarListMetadataIfLi4EEENS1_28PointwiseOpScalarListFunctorIN3c104HalfELi4ELi3ELi3EEEJSt7dividesIfEEEEvT_T0_DpT1_ ; -- Begin function _ZN2at6native12_GLOBAL__N_125multi_tensor_apply_kernelINS1_28TensorListScalarListMetadataIfLi4EEENS1_28PointwiseOpScalarListFunctorIN3c104HalfELi4ELi3ELi3EEEJSt7dividesIfEEEEvT_T0_DpT1_
	.p2align	8
	.type	_ZN2at6native12_GLOBAL__N_125multi_tensor_apply_kernelINS1_28TensorListScalarListMetadataIfLi4EEENS1_28PointwiseOpScalarListFunctorIN3c104HalfELi4ELi3ELi3EEEJSt7dividesIfEEEEvT_T0_DpT1_,@function
_ZN2at6native12_GLOBAL__N_125multi_tensor_apply_kernelINS1_28TensorListScalarListMetadataIfLi4EEENS1_28PointwiseOpScalarListFunctorIN3c104HalfELi4ELi3ELi3EEEJSt7dividesIfEEEEvT_T0_DpT1_: ; @_ZN2at6native12_GLOBAL__N_125multi_tensor_apply_kernelINS1_28TensorListScalarListMetadataIfLi4EEENS1_28PointwiseOpScalarListFunctorIN3c104HalfELi4ELi3ELi3EEEJSt7dividesIfEEEEvT_T0_DpT1_
; %bb.0:
	v_mov_b32_e32 v1, s6
	global_load_ubyte v1, v1, s[4:5] offset:1584
	s_add_u32 s0, s4, s6
	s_mul_i32 s1, s6, 3
	s_addc_u32 s2, s5, 0
	s_mul_hi_u32 s3, s6, 3
	s_add_u32 s0, s0, s1
	s_addc_u32 s1, s2, s3
	s_load_dword s0, s[0:1], 0x770
	s_mov_b32 s3, 0
	s_waitcnt vmcnt(0)
	v_readfirstlane_b32 s1, v1
	s_lshl_b32 s2, s1, 3
	s_load_dwordx2 s[6:7], s[4:5], s2 offset:0x480
	s_waitcnt lgkmcnt(0)
	s_ashr_i32 s1, s0, 31
	s_load_dwordx2 s[12:13], s[4:5], s2 offset:0x0
	s_load_dwordx2 s[14:15], s[4:5], s2 offset:0x120
	s_load_dwordx2 s[16:17], s[4:5], s2 offset:0x240
	s_load_dwordx2 s[18:19], s[4:5], s2 offset:0x360
	s_add_u32 s2, s4, s2
	v_lshlrev_b32_e32 v1, 2, v1
	s_addc_u32 s8, s5, 0
	s_lshl_b64 s[24:25], s[0:1], 17
	v_mov_b32_e32 v3, s8
	v_sub_co_u32_e32 v2, vcc, s2, v1
	s_waitcnt lgkmcnt(0)
	s_add_u32 s2, s14, s24
	v_subbrev_co_u32_e32 v1, vcc, 0, v3, vcc
	s_and_b32 s21, s12, 7
	s_and_b32 s2, s2, 7
	v_readfirstlane_b32 s8, v2
	v_readfirstlane_b32 s9, v1
	s_cmp_eq_u64 s[2:3], 0
	s_load_dword s20, s[8:9], 0x5a0
	s_cselect_b64 s[8:9], -1, 0
	s_add_u32 s2, s16, s24
	s_or_b32 s2, s18, s2
	s_and_b32 s2, s2, 7
	s_cmp_eq_u32 s2, 0
	s_cselect_b64 s[10:11], -1, 0
	s_lshl_b64 s[0:1], s[0:1], 16
	s_and_b64 s[8:9], s[10:11], s[8:9]
	s_sub_u32 s22, s6, s0
	s_subb_u32 s23, s7, s1
	s_and_b32 s0, s6, 3
	s_or_b32 s2, s21, s0
	s_cmp_eq_u64 s[2:3], 0
	s_cselect_b64 s[0:1], -1, 0
	s_and_b64 s[2:3], s[8:9], s[0:1]
	s_mov_b64 s[0:1], -1
	s_and_b64 vcc, exec, s[2:3]
	s_cbranch_vccnz .LBB119_29
; %bb.1:
	v_cmp_lt_i64_e64 s[0:1], s[22:23], 1
	s_and_b64 vcc, exec, s[0:1]
	s_cbranch_vccnz .LBB119_28
; %bb.2:
	s_load_dword s0, s[4:5], 0xc84
	v_mov_b32_e32 v19, 0
	v_lshlrev_b32_e32 v18, 1, v0
	v_mov_b32_e32 v21, s13
	v_mov_b32_e32 v23, s15
	s_waitcnt lgkmcnt(0)
	s_and_b32 s8, s0, 0xffff
	v_mad_u64_u32 v[16:17], s[6:7], s8, 6, v[18:19]
	v_add_co_u32_e64 v10, s[6:7], s12, v16
	v_addc_co_u32_e64 v5, s[6:7], v21, v17, s[6:7]
	v_add_co_u32_e64 v12, s[6:7], s14, v16
	v_addc_co_u32_e64 v7, s[6:7], v23, v17, s[6:7]
	v_mov_b32_e32 v27, s17
	v_add_co_u32_e64 v14, s[6:7], s16, v16
	v_mov_b32_e32 v2, 0x10000
	v_addc_co_u32_e64 v9, s[6:7], v27, v17, s[6:7]
	v_mov_b32_e32 v3, 0
	v_mov_b32_e32 v31, s19
	v_add_co_u32_e64 v16, s[6:7], s18, v16
	v_cmp_lt_u64_e32 vcc, s[22:23], v[2:3]
	s_mul_i32 s10, s8, 3
	v_addc_co_u32_e64 v11, s[6:7], v31, v17, s[6:7]
	s_and_b64 s[0:1], vcc, exec
	v_add_co_u32_e32 v2, vcc, s12, v18
	v_add_co_u32_e64 v33, s[6:7], s10, v0
	s_cselect_b32 s27, s23, 0
	s_cselect_b32 s26, s22, 0x10000
	s_lshl_b32 s33, s8, 2
	v_addc_co_u32_e32 v1, vcc, 0, v21, vcc
	v_addc_co_u32_e64 v34, s[6:7], 0, 0, s[6:7]
	v_add_co_u32_e32 v4, vcc, s14, v18
	v_add_co_u32_e64 v19, s[6:7], s33, v18
	v_addc_co_u32_e32 v3, vcc, 0, v23, vcc
	v_addc_co_u32_e64 v25, s[6:7], 0, 0, s[6:7]
	v_add_co_u32_e32 v6, vcc, s16, v18
	v_add_co_u32_e64 v8, s[2:3], s18, v18
	v_add_co_u32_e64 v18, s[6:7], s12, v19
	v_addc_co_u32_e64 v13, s[6:7], v21, v25, s[6:7]
	v_add_co_u32_e64 v20, s[6:7], s14, v19
	v_addc_co_u32_e64 v15, s[6:7], v23, v25, s[6:7]
	;; [unrolled: 2-line block ×3, first 2 shown]
	v_add_co_u32_e64 v24, s[6:7], s18, v19
	s_lshl_b32 s9, s8, 1
	v_addc_co_u32_e64 v19, s[6:7], v31, v25, s[6:7]
	v_add_co_u32_e64 v35, s[6:7], s9, v0
	v_addc_co_u32_e64 v36, s[6:7], 0, 0, s[6:7]
	v_add_co_u32_e64 v37, s[6:7], s8, v0
	v_addc_co_u32_e64 v38, s[6:7], 0, 0, s[6:7]
	v_lshlrev_b32_e32 v29, 1, v37
	v_addc_co_u32_e32 v25, vcc, 0, v27, vcc
	v_add_co_u32_e64 v26, s[6:7], s12, v29
	v_add_co_u32_e32 v30, vcc, s16, v29
	v_addc_co_u32_e64 v21, s[6:7], 0, v21, s[6:7]
	v_addc_co_u32_e32 v27, vcc, 0, v27, vcc
	v_add_co_u32_e64 v28, s[6:7], s14, v29
	v_add_co_u32_e32 v32, vcc, s18, v29
	s_mov_b32 s21, 0
	v_cmp_eq_f32_e64 s[0:1], s20, 1.0
	s_lshl_b32 s34, s8, 3
	s_mov_b64 s[28:29], 0
	v_addc_co_u32_e64 v23, s[6:7], 0, v23, s[6:7]
	v_addc_co_u32_e64 v29, s[2:3], 0, v31, s[2:3]
	v_addc_co_u32_e32 v31, vcc, 0, v31, vcc
	s_branch .LBB119_4
.LBB119_3:                              ;   in Loop: Header=BB119_4 Depth=1
	s_or_b64 exec, exec, s[2:3]
	s_waitcnt vmcnt(1)
	v_mov_b32_e32 v39, s21
	v_add_co_u32_e64 v2, s[6:7], s34, v2
	v_addc_co_u32_e64 v1, s[6:7], v1, v39, s[6:7]
	v_add_co_u32_e64 v4, s[6:7], s34, v4
	v_addc_co_u32_e64 v3, s[6:7], v3, v39, s[6:7]
	;; [unrolled: 2-line block ×12, first 2 shown]
	v_add_co_u32_e64 v26, s[6:7], s34, v26
	s_add_u32 s28, s28, s33
	v_addc_co_u32_e64 v21, s[6:7], v21, v39, s[6:7]
	s_addc_u32 s29, s29, 0
	v_pk_mov_b32 v[40:41], s[22:23], s[22:23] op_sel:[0,1]
	v_add_co_u32_e64 v28, s[6:7], s34, v28
	v_cmp_lt_i64_e32 vcc, s[28:29], v[40:41]
	v_mov_b32_e32 v40, 0x10000
	v_addc_co_u32_e64 v23, s[6:7], v23, v39, s[6:7]
	v_mov_b32_e32 v41, 0
	v_add_co_u32_e64 v30, s[6:7], s34, v30
	v_cmp_lt_u64_e64 s[2:3], s[28:29], v[40:41]
	v_addc_co_u32_e64 v27, s[6:7], v27, v39, s[6:7]
	v_add_co_u32_e64 v32, s[6:7], s34, v32
	s_and_b64 s[2:3], vcc, s[2:3]
	v_addc_co_u32_e64 v31, s[6:7], v31, v39, s[6:7]
	s_and_b64 vcc, exec, s[2:3]
	s_cbranch_vccz .LBB119_28
.LBB119_4:                              ; =>This Inner Loop Header: Depth=1
	v_mov_b32_e32 v39, s29
	v_add_co_u32_e32 v40, vcc, s28, v0
	v_addc_co_u32_e32 v41, vcc, 0, v39, vcc
	v_cmp_gt_u64_e32 vcc, s[26:27], v[40:41]
	v_mov_b32_e32 v40, 0
	s_waitcnt vmcnt(0)
	v_mov_b32_e32 v43, 0
	s_and_saveexec_b64 s[6:7], vcc
	s_cbranch_execz .LBB119_6
; %bb.5:                                ;   in Loop: Header=BB119_4 Depth=1
	v_mov_b32_e32 v39, s25
	v_add_co_u32_e64 v44, s[2:3], s24, v2
	v_addc_co_u32_e64 v45, s[2:3], v1, v39, s[2:3]
	v_add_co_u32_e64 v46, s[2:3], s24, v4
	v_addc_co_u32_e64 v47, s[2:3], v3, v39, s[2:3]
	global_load_ushort v40, v[44:45], off
	global_load_ushort v43, v[46:47], off
.LBB119_6:                              ;   in Loop: Header=BB119_4 Depth=1
	s_or_b64 exec, exec, s[6:7]
	v_mov_b32_e32 v39, 0
	v_mov_b32_e32 v45, 0
	s_and_saveexec_b64 s[6:7], vcc
	s_cbranch_execz .LBB119_8
; %bb.7:                                ;   in Loop: Header=BB119_4 Depth=1
	v_mov_b32_e32 v41, s25
	v_add_co_u32_e64 v44, s[2:3], s24, v6
	v_addc_co_u32_e64 v45, s[2:3], v25, v41, s[2:3]
	global_load_ushort v45, v[44:45], off
.LBB119_8:                              ;   in Loop: Header=BB119_4 Depth=1
	s_or_b64 exec, exec, s[6:7]
	v_mov_b32_e32 v41, s29
	v_add_co_u32_e64 v46, s[2:3], s28, v37
	v_addc_co_u32_e64 v47, s[2:3], v38, v41, s[2:3]
	v_cmp_gt_u64_e64 s[2:3], s[26:27], v[46:47]
	v_mov_b32_e32 v44, 0
	s_and_saveexec_b64 s[8:9], s[2:3]
	s_cbranch_execz .LBB119_10
; %bb.9:                                ;   in Loop: Header=BB119_4 Depth=1
	v_mov_b32_e32 v39, s25
	v_add_co_u32_e64 v46, s[6:7], s24, v26
	v_addc_co_u32_e64 v47, s[6:7], v21, v39, s[6:7]
	v_add_co_u32_e64 v48, s[6:7], s24, v28
	v_addc_co_u32_e64 v49, s[6:7], v23, v39, s[6:7]
	global_load_ushort v39, v[46:47], off
	global_load_ushort v44, v[48:49], off
.LBB119_10:                             ;   in Loop: Header=BB119_4 Depth=1
	s_or_b64 exec, exec, s[8:9]
	v_mov_b32_e32 v41, 0
	v_mov_b32_e32 v47, 0
	s_and_saveexec_b64 s[8:9], s[2:3]
	s_cbranch_execz .LBB119_12
; %bb.11:                               ;   in Loop: Header=BB119_4 Depth=1
	v_mov_b32_e32 v42, s25
	v_add_co_u32_e64 v46, s[6:7], s24, v30
	v_addc_co_u32_e64 v47, s[6:7], v27, v42, s[6:7]
	global_load_ushort v47, v[46:47], off
.LBB119_12:                             ;   in Loop: Header=BB119_4 Depth=1
	s_or_b64 exec, exec, s[8:9]
	v_mov_b32_e32 v42, s29
	v_add_co_u32_e64 v48, s[6:7], s28, v35
	v_addc_co_u32_e64 v49, s[6:7], v36, v42, s[6:7]
	v_cmp_gt_u64_e64 s[6:7], s[26:27], v[48:49]
	v_mov_b32_e32 v46, 0
	s_and_saveexec_b64 s[10:11], s[6:7]
	s_cbranch_execz .LBB119_14
; %bb.13:                               ;   in Loop: Header=BB119_4 Depth=1
	v_mov_b32_e32 v41, s25
	v_add_co_u32_e64 v48, s[8:9], s24, v18
	v_addc_co_u32_e64 v49, s[8:9], v13, v41, s[8:9]
	v_add_co_u32_e64 v50, s[8:9], s24, v20
	v_addc_co_u32_e64 v51, s[8:9], v15, v41, s[8:9]
	global_load_ushort v41, v[48:49], off
	global_load_ushort v46, v[50:51], off
.LBB119_14:                             ;   in Loop: Header=BB119_4 Depth=1
	s_or_b64 exec, exec, s[10:11]
	v_mov_b32_e32 v42, 0
	v_mov_b32_e32 v49, 0
	s_and_saveexec_b64 s[10:11], s[6:7]
	s_cbranch_execz .LBB119_16
; %bb.15:                               ;   in Loop: Header=BB119_4 Depth=1
	v_mov_b32_e32 v49, s25
	v_add_co_u32_e64 v48, s[8:9], s24, v22
	v_addc_co_u32_e64 v49, s[8:9], v17, v49, s[8:9]
	global_load_ushort v49, v[48:49], off
.LBB119_16:                             ;   in Loop: Header=BB119_4 Depth=1
	s_or_b64 exec, exec, s[10:11]
	v_mov_b32_e32 v48, s29
	v_add_co_u32_e64 v50, s[8:9], s28, v33
	v_addc_co_u32_e64 v51, s[8:9], v34, v48, s[8:9]
	v_cmp_gt_u64_e64 s[8:9], s[26:27], v[50:51]
	v_mov_b32_e32 v48, 0
	s_and_saveexec_b64 s[30:31], s[8:9]
	s_cbranch_execnz .LBB119_22
; %bb.17:                               ;   in Loop: Header=BB119_4 Depth=1
	s_or_b64 exec, exec, s[30:31]
	v_mov_b32_e32 v50, 0
	s_and_saveexec_b64 s[30:31], s[8:9]
	s_cbranch_execnz .LBB119_23
.LBB119_18:                             ;   in Loop: Header=BB119_4 Depth=1
	s_or_b64 exec, exec, s[30:31]
	s_and_saveexec_b64 s[10:11], vcc
	s_cbranch_execnz .LBB119_24
.LBB119_19:                             ;   in Loop: Header=BB119_4 Depth=1
	s_or_b64 exec, exec, s[10:11]
	s_and_saveexec_b64 s[10:11], s[2:3]
	s_cbranch_execnz .LBB119_25
.LBB119_20:                             ;   in Loop: Header=BB119_4 Depth=1
	s_or_b64 exec, exec, s[10:11]
	s_and_saveexec_b64 s[2:3], s[6:7]
	s_cbranch_execnz .LBB119_26
.LBB119_21:                             ;   in Loop: Header=BB119_4 Depth=1
	s_or_b64 exec, exec, s[2:3]
	s_and_saveexec_b64 s[2:3], s[8:9]
	s_cbranch_execz .LBB119_3
	s_branch .LBB119_27
.LBB119_22:                             ;   in Loop: Header=BB119_4 Depth=1
	v_mov_b32_e32 v42, s25
	v_add_co_u32_e64 v50, s[10:11], s24, v10
	v_addc_co_u32_e64 v51, s[10:11], v5, v42, s[10:11]
	v_add_co_u32_e64 v52, s[10:11], s24, v12
	v_addc_co_u32_e64 v53, s[10:11], v7, v42, s[10:11]
	global_load_ushort v42, v[50:51], off
	global_load_ushort v48, v[52:53], off
	s_or_b64 exec, exec, s[30:31]
	v_mov_b32_e32 v50, 0
	s_and_saveexec_b64 s[30:31], s[8:9]
	s_cbranch_execz .LBB119_18
.LBB119_23:                             ;   in Loop: Header=BB119_4 Depth=1
	v_mov_b32_e32 v51, s25
	v_add_co_u32_e64 v50, s[10:11], s24, v14
	v_addc_co_u32_e64 v51, s[10:11], v9, v51, s[10:11]
	global_load_ushort v50, v[50:51], off
	s_or_b64 exec, exec, s[30:31]
	s_and_saveexec_b64 s[10:11], vcc
	s_cbranch_execz .LBB119_19
.LBB119_24:                             ;   in Loop: Header=BB119_4 Depth=1
	s_waitcnt vmcnt(0)
	v_cvt_f32_f16_e32 v43, v43
	v_cvt_f32_f16_e32 v45, v45
	;; [unrolled: 1-line block ×3, first 2 shown]
	v_mov_b32_e32 v51, s25
	v_div_scale_f32 v52, s[30:31], v45, v45, v43
	v_rcp_f32_e32 v53, v52
	v_div_scale_f32 v55, vcc, v43, v45, v43
	v_fma_f32 v56, -v52, v53, 1.0
	v_fmac_f32_e32 v53, v56, v53
	v_mul_f32_e32 v56, v55, v53
	v_fma_f32 v57, -v52, v56, v55
	v_fmac_f32_e32 v56, v57, v53
	v_fma_f32 v52, -v52, v56, v55
	v_div_fmas_f32 v52, v52, v53, v56
	v_div_fixup_f32 v43, v52, v45, v43
	v_add_f32_e32 v45, v43, v54
	v_fma_mix_f32 v40, s20, v43, v40 op_sel_hi:[0,0,1]
	v_cndmask_b32_e64 v40, v40, v45, s[0:1]
	v_cvt_f16_f32_e32 v40, v40
	v_add_co_u32_e32 v52, vcc, s24, v8
	v_addc_co_u32_e32 v53, vcc, v29, v51, vcc
	global_store_short v[52:53], v40, off
	s_or_b64 exec, exec, s[10:11]
	s_and_saveexec_b64 s[10:11], s[2:3]
	s_cbranch_execz .LBB119_20
.LBB119_25:                             ;   in Loop: Header=BB119_4 Depth=1
	s_waitcnt vmcnt(0)
	v_cvt_f32_f16_e32 v40, v44
	v_cvt_f32_f16_e32 v43, v47
	;; [unrolled: 1-line block ×3, first 2 shown]
	v_div_scale_f32 v44, s[2:3], v43, v43, v40
	v_rcp_f32_e32 v45, v44
	v_div_scale_f32 v51, vcc, v40, v43, v40
	v_fma_f32 v52, -v44, v45, 1.0
	v_fmac_f32_e32 v45, v52, v45
	v_mul_f32_e32 v52, v51, v45
	v_fma_f32 v53, -v44, v52, v51
	v_fmac_f32_e32 v52, v53, v45
	v_fma_f32 v44, -v44, v52, v51
	v_div_fmas_f32 v44, v44, v45, v52
	v_div_fixup_f32 v40, v44, v43, v40
	v_add_f32_e32 v43, v40, v47
	v_fma_mix_f32 v39, s20, v40, v39 op_sel_hi:[0,0,1]
	v_cndmask_b32_e64 v39, v39, v43, s[0:1]
	v_cvt_f16_f32_e32 v39, v39
	v_mov_b32_e32 v40, s25
	v_add_co_u32_e32 v44, vcc, s24, v32
	v_addc_co_u32_e32 v45, vcc, v31, v40, vcc
	global_store_short v[44:45], v39, off
	s_or_b64 exec, exec, s[10:11]
	s_and_saveexec_b64 s[2:3], s[6:7]
	s_cbranch_execz .LBB119_21
.LBB119_26:                             ;   in Loop: Header=BB119_4 Depth=1
	s_waitcnt vmcnt(0)
	v_cvt_f32_f16_e32 v39, v46
	v_cvt_f32_f16_e32 v40, v49
	;; [unrolled: 1-line block ×3, first 2 shown]
	v_div_scale_f32 v43, s[6:7], v40, v40, v39
	v_rcp_f32_e32 v44, v43
	v_div_scale_f32 v46, vcc, v39, v40, v39
	v_fma_f32 v47, -v43, v44, 1.0
	v_fmac_f32_e32 v44, v47, v44
	v_mul_f32_e32 v47, v46, v44
	v_fma_f32 v49, -v43, v47, v46
	v_fmac_f32_e32 v47, v49, v44
	v_fma_f32 v43, -v43, v47, v46
	v_div_fmas_f32 v43, v43, v44, v47
	v_div_fixup_f32 v39, v43, v40, v39
	v_add_f32_e32 v40, v39, v45
	v_fma_mix_f32 v39, s20, v39, v41 op_sel_hi:[0,0,1]
	v_cndmask_b32_e64 v39, v39, v40, s[0:1]
	v_cvt_f16_f32_e32 v39, v39
	v_mov_b32_e32 v41, s25
	v_add_co_u32_e32 v40, vcc, s24, v24
	v_addc_co_u32_e32 v41, vcc, v19, v41, vcc
	global_store_short v[40:41], v39, off
	s_or_b64 exec, exec, s[2:3]
	s_and_saveexec_b64 s[2:3], s[8:9]
	s_cbranch_execz .LBB119_3
.LBB119_27:                             ;   in Loop: Header=BB119_4 Depth=1
	s_waitcnt vmcnt(0)
	v_cvt_f32_f16_e32 v39, v48
	v_cvt_f32_f16_e32 v40, v50
	;; [unrolled: 1-line block ×3, first 2 shown]
	v_div_scale_f32 v41, s[6:7], v40, v40, v39
	v_rcp_f32_e32 v43, v41
	v_div_scale_f32 v45, vcc, v39, v40, v39
	v_fma_f32 v46, -v41, v43, 1.0
	v_fmac_f32_e32 v43, v46, v43
	v_mul_f32_e32 v46, v45, v43
	v_fma_f32 v47, -v41, v46, v45
	v_fmac_f32_e32 v46, v47, v43
	v_fma_f32 v41, -v41, v46, v45
	v_div_fmas_f32 v41, v41, v43, v46
	v_div_fixup_f32 v39, v41, v40, v39
	v_add_f32_e32 v40, v39, v44
	v_fma_mix_f32 v39, s20, v39, v42 op_sel_hi:[0,0,1]
	v_cndmask_b32_e64 v39, v39, v40, s[0:1]
	v_cvt_f16_f32_e32 v39, v39
	v_mov_b32_e32 v41, s25
	v_add_co_u32_e32 v40, vcc, s24, v16
	v_addc_co_u32_e32 v41, vcc, v11, v41, vcc
	global_store_short v[40:41], v39, off
	s_branch .LBB119_3
.LBB119_28:
	s_mov_b64 s[0:1], 0
.LBB119_29:
	s_andn2_b64 vcc, exec, s[0:1]
	s_cbranch_vccnz .LBB119_33
; %bb.30:
	v_mov_b32_e32 v3, 0
	v_lshlrev_b32_e32 v2, 2, v0
	s_mov_b32 s2, 0
	v_cmp_gt_i64_e32 vcc, s[22:23], v[2:3]
	s_and_saveexec_b64 s[0:1], vcc
	s_cbranch_execz .LBB119_33
; %bb.31:
	s_load_dword s3, s[4:5], 0xc84
	v_lshlrev_b32_e32 v1, 3, v0
	v_mov_b32_e32 v2, s25
	v_add_co_u32_e32 v4, vcc, s24, v1
	s_waitcnt lgkmcnt(0)
	s_and_b32 s3, s3, 0xffff
	v_cmp_eq_f32_e64 s[0:1], s20, 1.0
	s_mov_b32 s21, s20
	s_mov_b32 s8, s20
	;; [unrolled: 1-line block ×3, first 2 shown]
	v_addc_co_u32_e32 v1, vcc, 0, v2, vcc
	s_lshl_b32 s26, s3, 3
	v_add_lshl_u32 v2, v0, s3, 2
	s_lshl_b32 s27, s3, 2
	s_mov_b64 s[10:11], 0
	v_mov_b32_e32 v0, s13
	v_mov_b32_e32 v5, s15
	;; [unrolled: 1-line block ×4, first 2 shown]
	s_mov_b64 s[24:25], 0xffff
	v_mov_b32_e32 v8, s2
	v_mov_b32_e32 v9, s2
.LBB119_32:                             ; =>This Inner Loop Header: Depth=1
	v_add_co_u32_e32 v10, vcc, s12, v4
	v_addc_co_u32_e32 v11, vcc, v0, v1, vcc
	v_add_co_u32_e32 v12, vcc, s14, v4
	v_addc_co_u32_e32 v13, vcc, v5, v1, vcc
	;; [unrolled: 2-line block ×3, first 2 shown]
	global_load_dwordx2 v[18:19], v[12:13], off
	global_load_dwordx2 v[20:21], v[14:15], off
	;; [unrolled: 1-line block ×3, first 2 shown]
	v_add_co_u32_e32 v16, vcc, s18, v4
	v_addc_co_u32_e32 v17, vcc, v7, v1, vcc
	v_cmp_le_i64_e32 vcc, s[22:23], v[2:3]
	v_cmp_lt_u64_e64 s[2:3], s[24:25], v[2:3]
	v_add_co_u32_e64 v4, s[4:5], s26, v4
	v_addc_co_u32_e64 v1, s[4:5], v1, v8, s[4:5]
	s_or_b64 s[28:29], vcc, s[2:3]
	v_add_co_u32_e64 v2, s[4:5], s27, v2
	v_addc_co_u32_e64 v3, s[4:5], v3, v9, s[4:5]
	s_waitcnt vmcnt(2)
	v_cvt_f32_f16_sdwa v15, v18 dst_sel:DWORD dst_unused:UNUSED_PAD src0_sel:WORD_1
	v_cvt_f32_f16_e32 v14, v18
	s_waitcnt vmcnt(1)
	v_cvt_f32_f16_e32 v18, v20
	v_cvt_f32_f16_sdwa v20, v20 dst_sel:DWORD dst_unused:UNUSED_PAD src0_sel:WORD_1
	s_waitcnt vmcnt(0)
	v_cvt_f32_f16_e32 v10, v22
	v_cvt_f32_f16_sdwa v11, v22 dst_sel:DWORD dst_unused:UNUSED_PAD src0_sel:WORD_1
	v_cvt_f32_f16_e32 v12, v23
	v_cvt_f32_f16_sdwa v13, v23 dst_sel:DWORD dst_unused:UNUSED_PAD src0_sel:WORD_1
	v_cvt_f32_f16_sdwa v22, v19 dst_sel:DWORD dst_unused:UNUSED_PAD src0_sel:WORD_1
	v_cvt_f32_f16_e32 v19, v19
	v_cvt_f32_f16_sdwa v23, v21 dst_sel:DWORD dst_unused:UNUSED_PAD src0_sel:WORD_1
	v_cvt_f32_f16_e32 v21, v21
	v_div_scale_f32 v24, s[2:3], v18, v18, v14
	v_div_scale_f32 v26, s[2:3], v20, v20, v15
	v_rcp_f32_e32 v32, v24
	v_div_scale_f32 v28, s[4:5], v21, v21, v19
	v_rcp_f32_e32 v33, v26
	v_div_scale_f32 v30, s[6:7], v23, v23, v22
	v_rcp_f32_e32 v34, v28
	v_rcp_f32_e32 v35, v30
	v_fma_f32 v36, -v24, v32, 1.0
	v_div_scale_f32 v25, vcc, v14, v18, v14
	v_fma_f32 v37, -v26, v33, 1.0
	v_fmac_f32_e32 v32, v36, v32
	v_div_scale_f32 v27, s[2:3], v15, v20, v15
	v_fma_f32 v38, -v28, v34, 1.0
	v_fmac_f32_e32 v33, v37, v33
	v_mul_f32_e32 v36, v25, v32
	v_div_scale_f32 v29, s[4:5], v19, v21, v19
	v_fma_f32 v39, -v30, v35, 1.0
	v_fmac_f32_e32 v34, v38, v34
	v_mul_f32_e32 v37, v27, v33
	v_fma_f32 v40, -v24, v36, v25
	v_div_scale_f32 v31, s[6:7], v22, v23, v22
	v_fmac_f32_e32 v35, v39, v35
	v_mul_f32_e32 v38, v29, v34
	v_fma_f32 v41, -v26, v37, v27
	v_fmac_f32_e32 v36, v40, v32
	v_mul_f32_e32 v39, v31, v35
	v_fma_f32 v42, -v28, v38, v29
	v_fmac_f32_e32 v37, v41, v33
	v_fma_f32 v24, -v24, v36, v25
	v_fma_f32 v43, -v30, v39, v31
	v_fmac_f32_e32 v38, v42, v34
	v_fma_f32 v25, -v26, v37, v27
	v_div_fmas_f32 v24, v24, v32, v36
	s_mov_b64 vcc, s[2:3]
	v_fmac_f32_e32 v39, v43, v35
	v_fma_f32 v26, -v28, v38, v29
	v_div_fixup_f32 v14, v24, v18, v14
	v_div_fmas_f32 v18, v25, v33, v37
	s_mov_b64 vcc, s[4:5]
	v_fma_f32 v27, -v30, v39, v31
	v_div_fixup_f32 v15, v18, v20, v15
	v_div_fmas_f32 v18, v26, v34, v38
	s_mov_b64 vcc, s[6:7]
	v_div_fixup_f32 v18, v18, v21, v19
	v_div_fmas_f32 v19, v27, v35, v39
	v_pk_add_f32 v[20:21], v[14:15], v[10:11]
	v_pk_fma_f32 v[10:11], s[20:21], v[14:15], v[10:11]
	v_div_fixup_f32 v19, v19, v23, v22
	v_cndmask_b32_e64 v14, v10, v20, s[0:1]
	v_cndmask_b32_e64 v15, v11, v21, s[0:1]
	v_pk_add_f32 v[10:11], v[18:19], v[12:13]
	v_pk_fma_f32 v[12:13], s[8:9], v[18:19], v[12:13]
	v_cndmask_b32_e64 v10, v12, v10, s[0:1]
	v_cndmask_b32_e64 v11, v13, v11, s[0:1]
	v_cvt_f16_f32_e32 v15, v15
	v_cvt_f16_f32_e32 v14, v14
	;; [unrolled: 1-line block ×4, first 2 shown]
	s_and_b64 s[2:3], exec, s[28:29]
	s_or_b64 s[10:11], s[2:3], s[10:11]
	v_pack_b32_f16 v10, v14, v15
	v_pack_b32_f16 v11, v12, v11
	global_store_dwordx2 v[16:17], v[10:11], off
	s_andn2_b64 exec, exec, s[10:11]
	s_cbranch_execnz .LBB119_32
.LBB119_33:
	s_endpgm
	.section	.rodata,"a",@progbits
	.p2align	6, 0x0
	.amdhsa_kernel _ZN2at6native12_GLOBAL__N_125multi_tensor_apply_kernelINS1_28TensorListScalarListMetadataIfLi4EEENS1_28PointwiseOpScalarListFunctorIN3c104HalfELi4ELi3ELi3EEEJSt7dividesIfEEEEvT_T0_DpT1_
		.amdhsa_group_segment_fixed_size 0
		.amdhsa_private_segment_fixed_size 0
		.amdhsa_kernarg_size 3448
		.amdhsa_user_sgpr_count 6
		.amdhsa_user_sgpr_private_segment_buffer 1
		.amdhsa_user_sgpr_dispatch_ptr 0
		.amdhsa_user_sgpr_queue_ptr 0
		.amdhsa_user_sgpr_kernarg_segment_ptr 1
		.amdhsa_user_sgpr_dispatch_id 0
		.amdhsa_user_sgpr_flat_scratch_init 0
		.amdhsa_user_sgpr_kernarg_preload_length 0
		.amdhsa_user_sgpr_kernarg_preload_offset 0
		.amdhsa_user_sgpr_private_segment_size 0
		.amdhsa_uses_dynamic_stack 0
		.amdhsa_system_sgpr_private_segment_wavefront_offset 0
		.amdhsa_system_sgpr_workgroup_id_x 1
		.amdhsa_system_sgpr_workgroup_id_y 0
		.amdhsa_system_sgpr_workgroup_id_z 0
		.amdhsa_system_sgpr_workgroup_info 0
		.amdhsa_system_vgpr_workitem_id 0
		.amdhsa_next_free_vgpr 58
		.amdhsa_next_free_sgpr 35
		.amdhsa_accum_offset 60
		.amdhsa_reserve_vcc 1
		.amdhsa_reserve_flat_scratch 0
		.amdhsa_float_round_mode_32 0
		.amdhsa_float_round_mode_16_64 0
		.amdhsa_float_denorm_mode_32 3
		.amdhsa_float_denorm_mode_16_64 3
		.amdhsa_dx10_clamp 1
		.amdhsa_ieee_mode 1
		.amdhsa_fp16_overflow 0
		.amdhsa_tg_split 0
		.amdhsa_exception_fp_ieee_invalid_op 0
		.amdhsa_exception_fp_denorm_src 0
		.amdhsa_exception_fp_ieee_div_zero 0
		.amdhsa_exception_fp_ieee_overflow 0
		.amdhsa_exception_fp_ieee_underflow 0
		.amdhsa_exception_fp_ieee_inexact 0
		.amdhsa_exception_int_div_zero 0
	.end_amdhsa_kernel
	.section	.text._ZN2at6native12_GLOBAL__N_125multi_tensor_apply_kernelINS1_28TensorListScalarListMetadataIfLi4EEENS1_28PointwiseOpScalarListFunctorIN3c104HalfELi4ELi3ELi3EEEJSt7dividesIfEEEEvT_T0_DpT1_,"axG",@progbits,_ZN2at6native12_GLOBAL__N_125multi_tensor_apply_kernelINS1_28TensorListScalarListMetadataIfLi4EEENS1_28PointwiseOpScalarListFunctorIN3c104HalfELi4ELi3ELi3EEEJSt7dividesIfEEEEvT_T0_DpT1_,comdat
.Lfunc_end119:
	.size	_ZN2at6native12_GLOBAL__N_125multi_tensor_apply_kernelINS1_28TensorListScalarListMetadataIfLi4EEENS1_28PointwiseOpScalarListFunctorIN3c104HalfELi4ELi3ELi3EEEJSt7dividesIfEEEEvT_T0_DpT1_, .Lfunc_end119-_ZN2at6native12_GLOBAL__N_125multi_tensor_apply_kernelINS1_28TensorListScalarListMetadataIfLi4EEENS1_28PointwiseOpScalarListFunctorIN3c104HalfELi4ELi3ELi3EEEJSt7dividesIfEEEEvT_T0_DpT1_
                                        ; -- End function
	.section	.AMDGPU.csdata,"",@progbits
; Kernel info:
; codeLenInByte = 2952
; NumSgprs: 39
; NumVgprs: 58
; NumAgprs: 0
; TotalNumVgprs: 58
; ScratchSize: 0
; MemoryBound: 0
; FloatMode: 240
; IeeeMode: 1
; LDSByteSize: 0 bytes/workgroup (compile time only)
; SGPRBlocks: 4
; VGPRBlocks: 7
; NumSGPRsForWavesPerEU: 39
; NumVGPRsForWavesPerEU: 58
; AccumOffset: 60
; Occupancy: 8
; WaveLimiterHint : 0
; COMPUTE_PGM_RSRC2:SCRATCH_EN: 0
; COMPUTE_PGM_RSRC2:USER_SGPR: 6
; COMPUTE_PGM_RSRC2:TRAP_HANDLER: 0
; COMPUTE_PGM_RSRC2:TGID_X_EN: 1
; COMPUTE_PGM_RSRC2:TGID_Y_EN: 0
; COMPUTE_PGM_RSRC2:TGID_Z_EN: 0
; COMPUTE_PGM_RSRC2:TIDIG_COMP_CNT: 0
; COMPUTE_PGM_RSRC3_GFX90A:ACCUM_OFFSET: 14
; COMPUTE_PGM_RSRC3_GFX90A:TG_SPLIT: 0
	.section	.text._ZN2at6native12_GLOBAL__N_125multi_tensor_apply_kernelINS1_28TensorListScalarListMetadataIfLi4EEENS1_28PointwiseOpScalarListFunctorIN3c108BFloat16ELi4ELi3ELi3EEEJSt7dividesIfEEEEvT_T0_DpT1_,"axG",@progbits,_ZN2at6native12_GLOBAL__N_125multi_tensor_apply_kernelINS1_28TensorListScalarListMetadataIfLi4EEENS1_28PointwiseOpScalarListFunctorIN3c108BFloat16ELi4ELi3ELi3EEEJSt7dividesIfEEEEvT_T0_DpT1_,comdat
	.globl	_ZN2at6native12_GLOBAL__N_125multi_tensor_apply_kernelINS1_28TensorListScalarListMetadataIfLi4EEENS1_28PointwiseOpScalarListFunctorIN3c108BFloat16ELi4ELi3ELi3EEEJSt7dividesIfEEEEvT_T0_DpT1_ ; -- Begin function _ZN2at6native12_GLOBAL__N_125multi_tensor_apply_kernelINS1_28TensorListScalarListMetadataIfLi4EEENS1_28PointwiseOpScalarListFunctorIN3c108BFloat16ELi4ELi3ELi3EEEJSt7dividesIfEEEEvT_T0_DpT1_
	.p2align	8
	.type	_ZN2at6native12_GLOBAL__N_125multi_tensor_apply_kernelINS1_28TensorListScalarListMetadataIfLi4EEENS1_28PointwiseOpScalarListFunctorIN3c108BFloat16ELi4ELi3ELi3EEEJSt7dividesIfEEEEvT_T0_DpT1_,@function
_ZN2at6native12_GLOBAL__N_125multi_tensor_apply_kernelINS1_28TensorListScalarListMetadataIfLi4EEENS1_28PointwiseOpScalarListFunctorIN3c108BFloat16ELi4ELi3ELi3EEEJSt7dividesIfEEEEvT_T0_DpT1_: ; @_ZN2at6native12_GLOBAL__N_125multi_tensor_apply_kernelINS1_28TensorListScalarListMetadataIfLi4EEENS1_28PointwiseOpScalarListFunctorIN3c108BFloat16ELi4ELi3ELi3EEEJSt7dividesIfEEEEvT_T0_DpT1_
; %bb.0:
	v_mov_b32_e32 v1, s6
	global_load_ubyte v1, v1, s[4:5] offset:1584
	s_add_u32 s0, s4, s6
	s_mul_i32 s1, s6, 3
	s_addc_u32 s2, s5, 0
	s_mul_hi_u32 s3, s6, 3
	s_add_u32 s0, s0, s1
	s_addc_u32 s1, s2, s3
	s_load_dword s0, s[0:1], 0x770
	s_mov_b32 s3, 0
	s_waitcnt vmcnt(0)
	v_readfirstlane_b32 s1, v1
	s_lshl_b32 s2, s1, 3
	s_load_dwordx2 s[6:7], s[4:5], s2 offset:0x480
	s_waitcnt lgkmcnt(0)
	s_ashr_i32 s1, s0, 31
	s_load_dwordx2 s[12:13], s[4:5], s2 offset:0x0
	s_load_dwordx2 s[14:15], s[4:5], s2 offset:0x120
	;; [unrolled: 1-line block ×4, first 2 shown]
	s_add_u32 s2, s4, s2
	v_lshlrev_b32_e32 v1, 2, v1
	s_addc_u32 s8, s5, 0
	s_lshl_b64 s[22:23], s[0:1], 17
	v_mov_b32_e32 v3, s8
	v_sub_co_u32_e32 v2, vcc, s2, v1
	s_waitcnt lgkmcnt(0)
	s_add_u32 s2, s14, s22
	v_subbrev_co_u32_e32 v1, vcc, 0, v3, vcc
	s_and_b32 s24, s12, 7
	s_and_b32 s2, s2, 7
	v_readfirstlane_b32 s8, v2
	v_readfirstlane_b32 s9, v1
	s_cmp_eq_u64 s[2:3], 0
	s_load_dword s30, s[8:9], 0x5a0
	s_cselect_b64 s[8:9], -1, 0
	s_add_u32 s2, s16, s22
	s_or_b32 s2, s18, s2
	s_and_b32 s2, s2, 7
	s_cmp_eq_u32 s2, 0
	s_cselect_b64 s[10:11], -1, 0
	s_lshl_b64 s[0:1], s[0:1], 16
	s_and_b64 s[8:9], s[10:11], s[8:9]
	s_sub_u32 s20, s6, s0
	s_subb_u32 s21, s7, s1
	s_and_b32 s0, s6, 3
	s_or_b32 s2, s24, s0
	s_cmp_eq_u64 s[2:3], 0
	s_cselect_b64 s[0:1], -1, 0
	s_and_b64 s[2:3], s[8:9], s[0:1]
	s_mov_b64 s[0:1], -1
	s_and_b64 vcc, exec, s[2:3]
	s_cbranch_vccnz .LBB120_29
; %bb.1:
	v_cmp_lt_i64_e64 s[0:1], s[20:21], 1
	s_and_b64 vcc, exec, s[0:1]
	s_cbranch_vccnz .LBB120_28
; %bb.2:
	s_load_dword s0, s[4:5], 0xc84
	v_mov_b32_e32 v19, 0
	v_lshlrev_b32_e32 v18, 1, v0
	v_mov_b32_e32 v21, s13
	v_mov_b32_e32 v23, s15
	s_waitcnt lgkmcnt(0)
	s_and_b32 s8, s0, 0xffff
	v_mad_u64_u32 v[16:17], s[6:7], s8, 6, v[18:19]
	v_add_co_u32_e64 v10, s[6:7], s12, v16
	v_addc_co_u32_e64 v5, s[6:7], v21, v17, s[6:7]
	v_add_co_u32_e64 v12, s[6:7], s14, v16
	v_addc_co_u32_e64 v7, s[6:7], v23, v17, s[6:7]
	v_mov_b32_e32 v27, s17
	v_add_co_u32_e64 v14, s[6:7], s16, v16
	v_mov_b32_e32 v2, 0x10000
	v_addc_co_u32_e64 v9, s[6:7], v27, v17, s[6:7]
	v_mov_b32_e32 v3, 0
	v_mov_b32_e32 v31, s19
	v_add_co_u32_e64 v16, s[6:7], s18, v16
	v_cmp_lt_u64_e32 vcc, s[20:21], v[2:3]
	s_mul_i32 s10, s8, 3
	v_addc_co_u32_e64 v11, s[6:7], v31, v17, s[6:7]
	s_and_b64 s[0:1], vcc, exec
	v_add_co_u32_e32 v2, vcc, s12, v18
	v_add_co_u32_e64 v33, s[6:7], s10, v0
	s_cselect_b32 s25, s21, 0
	s_cselect_b32 s24, s20, 0x10000
	s_lshl_b32 s33, s8, 2
	v_addc_co_u32_e32 v1, vcc, 0, v21, vcc
	v_addc_co_u32_e64 v34, s[6:7], 0, 0, s[6:7]
	v_add_co_u32_e32 v4, vcc, s14, v18
	v_add_co_u32_e64 v19, s[6:7], s33, v18
	v_addc_co_u32_e32 v3, vcc, 0, v23, vcc
	v_addc_co_u32_e64 v25, s[6:7], 0, 0, s[6:7]
	v_add_co_u32_e32 v6, vcc, s16, v18
	v_add_co_u32_e64 v8, s[2:3], s18, v18
	v_add_co_u32_e64 v18, s[6:7], s12, v19
	v_addc_co_u32_e64 v13, s[6:7], v21, v25, s[6:7]
	v_add_co_u32_e64 v20, s[6:7], s14, v19
	v_addc_co_u32_e64 v15, s[6:7], v23, v25, s[6:7]
	;; [unrolled: 2-line block ×3, first 2 shown]
	v_add_co_u32_e64 v24, s[6:7], s18, v19
	s_lshl_b32 s9, s8, 1
	v_addc_co_u32_e64 v19, s[6:7], v31, v25, s[6:7]
	v_add_co_u32_e64 v35, s[6:7], s9, v0
	v_addc_co_u32_e64 v36, s[6:7], 0, 0, s[6:7]
	v_add_co_u32_e64 v37, s[6:7], s8, v0
	v_addc_co_u32_e64 v38, s[6:7], 0, 0, s[6:7]
	v_lshlrev_b32_e32 v29, 1, v37
	v_addc_co_u32_e32 v25, vcc, 0, v27, vcc
	v_add_co_u32_e64 v26, s[6:7], s12, v29
	v_add_co_u32_e32 v30, vcc, s16, v29
	v_addc_co_u32_e64 v21, s[6:7], 0, v21, s[6:7]
	v_addc_co_u32_e32 v27, vcc, 0, v27, vcc
	v_add_co_u32_e64 v28, s[6:7], s14, v29
	v_add_co_u32_e32 v32, vcc, s18, v29
	s_mov_b32 s31, 0
	v_cmp_eq_f32_e64 s[0:1], s30, 1.0
	s_lshl_b32 s34, s8, 3
	s_mov_b64 s[26:27], 0
	s_movk_i32 s35, 0x7fff
	v_addc_co_u32_e64 v23, s[6:7], 0, v23, s[6:7]
	v_addc_co_u32_e64 v29, s[2:3], 0, v31, s[2:3]
	v_addc_co_u32_e32 v31, vcc, 0, v31, vcc
	v_mov_b32_e32 v39, 0x7fc0
	s_branch .LBB120_4
.LBB120_3:                              ;   in Loop: Header=BB120_4 Depth=1
	s_or_b64 exec, exec, s[2:3]
	s_add_u32 s26, s26, s33
	s_addc_u32 s27, s27, 0
	s_waitcnt vmcnt(1)
	v_pk_mov_b32 v[40:41], s[20:21], s[20:21] op_sel:[0,1]
	v_cmp_lt_i64_e32 vcc, s[26:27], v[40:41]
	v_mov_b32_e32 v40, 0x10000
	v_mov_b32_e32 v41, 0
	v_cmp_lt_u64_e64 s[2:3], s[26:27], v[40:41]
	v_mov_b32_e32 v40, s31
	v_add_co_u32_e64 v2, s[6:7], s34, v2
	v_addc_co_u32_e64 v1, s[6:7], v1, v40, s[6:7]
	v_add_co_u32_e64 v4, s[6:7], s34, v4
	v_addc_co_u32_e64 v3, s[6:7], v3, v40, s[6:7]
	;; [unrolled: 2-line block ×15, first 2 shown]
	v_add_co_u32_e64 v32, s[6:7], s34, v32
	s_and_b64 s[2:3], vcc, s[2:3]
	v_addc_co_u32_e64 v31, s[6:7], v31, v40, s[6:7]
	s_and_b64 vcc, exec, s[2:3]
	s_cbranch_vccz .LBB120_28
.LBB120_4:                              ; =>This Inner Loop Header: Depth=1
	v_mov_b32_e32 v41, s27
	v_add_co_u32_e32 v40, vcc, s26, v0
	v_addc_co_u32_e32 v41, vcc, 0, v41, vcc
	v_cmp_gt_u64_e32 vcc, s[24:25], v[40:41]
	v_mov_b32_e32 v41, 0
	s_waitcnt vmcnt(0)
	v_mov_b32_e32 v43, 0
	s_and_saveexec_b64 s[6:7], vcc
	s_cbranch_execz .LBB120_6
; %bb.5:                                ;   in Loop: Header=BB120_4 Depth=1
	v_mov_b32_e32 v40, s23
	v_add_co_u32_e64 v44, s[2:3], s22, v2
	v_addc_co_u32_e64 v45, s[2:3], v1, v40, s[2:3]
	v_add_co_u32_e64 v46, s[2:3], s22, v4
	v_addc_co_u32_e64 v47, s[2:3], v3, v40, s[2:3]
	global_load_ushort v41, v[44:45], off
	global_load_ushort v43, v[46:47], off
.LBB120_6:                              ;   in Loop: Header=BB120_4 Depth=1
	s_or_b64 exec, exec, s[6:7]
	v_mov_b32_e32 v40, 0
	v_mov_b32_e32 v46, 0
	s_and_saveexec_b64 s[6:7], vcc
	s_cbranch_execz .LBB120_8
; %bb.7:                                ;   in Loop: Header=BB120_4 Depth=1
	v_mov_b32_e32 v42, s23
	v_add_co_u32_e64 v44, s[2:3], s22, v6
	v_addc_co_u32_e64 v45, s[2:3], v25, v42, s[2:3]
	global_load_ushort v46, v[44:45], off
.LBB120_8:                              ;   in Loop: Header=BB120_4 Depth=1
	s_or_b64 exec, exec, s[6:7]
	v_mov_b32_e32 v42, s27
	v_add_co_u32_e64 v44, s[2:3], s26, v37
	v_addc_co_u32_e64 v45, s[2:3], v38, v42, s[2:3]
	v_cmp_gt_u64_e64 s[2:3], s[24:25], v[44:45]
	v_mov_b32_e32 v45, 0
	s_and_saveexec_b64 s[8:9], s[2:3]
	s_cbranch_execz .LBB120_10
; %bb.9:                                ;   in Loop: Header=BB120_4 Depth=1
	v_mov_b32_e32 v40, s23
	v_add_co_u32_e64 v48, s[6:7], s22, v28
	v_addc_co_u32_e64 v49, s[6:7], v23, v40, s[6:7]
	v_add_co_u32_e64 v50, s[6:7], s22, v26
	v_addc_co_u32_e64 v51, s[6:7], v21, v40, s[6:7]
	global_load_ushort v40, v[50:51], off
	global_load_ushort v45, v[48:49], off
.LBB120_10:                             ;   in Loop: Header=BB120_4 Depth=1
	s_or_b64 exec, exec, s[8:9]
	v_mov_b32_e32 v42, 0
	v_mov_b32_e32 v48, 0
	s_and_saveexec_b64 s[8:9], s[2:3]
	s_cbranch_execz .LBB120_12
; %bb.11:                               ;   in Loop: Header=BB120_4 Depth=1
	v_mov_b32_e32 v44, s23
	v_add_co_u32_e64 v48, s[6:7], s22, v30
	v_addc_co_u32_e64 v49, s[6:7], v27, v44, s[6:7]
	global_load_ushort v48, v[48:49], off
.LBB120_12:                             ;   in Loop: Header=BB120_4 Depth=1
	s_or_b64 exec, exec, s[8:9]
	v_mov_b32_e32 v44, s27
	v_add_co_u32_e64 v50, s[6:7], s26, v35
	v_addc_co_u32_e64 v51, s[6:7], v36, v44, s[6:7]
	v_cmp_gt_u64_e64 s[6:7], s[24:25], v[50:51]
	v_mov_b32_e32 v47, 0
	s_and_saveexec_b64 s[10:11], s[6:7]
	s_cbranch_execz .LBB120_14
; %bb.13:                               ;   in Loop: Header=BB120_4 Depth=1
	v_mov_b32_e32 v42, s23
	v_add_co_u32_e64 v50, s[8:9], s22, v20
	v_addc_co_u32_e64 v51, s[8:9], v15, v42, s[8:9]
	v_add_co_u32_e64 v52, s[8:9], s22, v18
	v_addc_co_u32_e64 v53, s[8:9], v13, v42, s[8:9]
	global_load_ushort v42, v[52:53], off
	global_load_ushort v47, v[50:51], off
.LBB120_14:                             ;   in Loop: Header=BB120_4 Depth=1
	s_or_b64 exec, exec, s[10:11]
	v_mov_b32_e32 v44, 0
	v_mov_b32_e32 v50, 0
	s_and_saveexec_b64 s[10:11], s[6:7]
	s_cbranch_execz .LBB120_16
; %bb.15:                               ;   in Loop: Header=BB120_4 Depth=1
	v_mov_b32_e32 v49, s23
	v_add_co_u32_e64 v50, s[8:9], s22, v22
	v_addc_co_u32_e64 v51, s[8:9], v17, v49, s[8:9]
	global_load_ushort v50, v[50:51], off
.LBB120_16:                             ;   in Loop: Header=BB120_4 Depth=1
	s_or_b64 exec, exec, s[10:11]
	v_mov_b32_e32 v49, s27
	v_add_co_u32_e64 v52, s[8:9], s26, v33
	v_addc_co_u32_e64 v53, s[8:9], v34, v49, s[8:9]
	v_cmp_gt_u64_e64 s[8:9], s[24:25], v[52:53]
	v_mov_b32_e32 v49, 0
	s_and_saveexec_b64 s[28:29], s[8:9]
	s_cbranch_execnz .LBB120_22
; %bb.17:                               ;   in Loop: Header=BB120_4 Depth=1
	s_or_b64 exec, exec, s[28:29]
	v_mov_b32_e32 v51, 0
	s_and_saveexec_b64 s[28:29], s[8:9]
	s_cbranch_execnz .LBB120_23
.LBB120_18:                             ;   in Loop: Header=BB120_4 Depth=1
	s_or_b64 exec, exec, s[28:29]
	s_and_saveexec_b64 s[10:11], vcc
	s_cbranch_execnz .LBB120_24
.LBB120_19:                             ;   in Loop: Header=BB120_4 Depth=1
	s_or_b64 exec, exec, s[10:11]
	s_and_saveexec_b64 s[10:11], s[2:3]
	s_cbranch_execnz .LBB120_25
.LBB120_20:                             ;   in Loop: Header=BB120_4 Depth=1
	s_or_b64 exec, exec, s[10:11]
	s_and_saveexec_b64 s[2:3], s[6:7]
	s_cbranch_execnz .LBB120_26
.LBB120_21:                             ;   in Loop: Header=BB120_4 Depth=1
	s_or_b64 exec, exec, s[2:3]
	s_and_saveexec_b64 s[2:3], s[8:9]
	s_cbranch_execz .LBB120_3
	s_branch .LBB120_27
.LBB120_22:                             ;   in Loop: Header=BB120_4 Depth=1
	v_mov_b32_e32 v44, s23
	v_add_co_u32_e64 v52, s[10:11], s22, v12
	v_addc_co_u32_e64 v53, s[10:11], v7, v44, s[10:11]
	v_add_co_u32_e64 v54, s[10:11], s22, v10
	v_addc_co_u32_e64 v55, s[10:11], v5, v44, s[10:11]
	global_load_ushort v44, v[54:55], off
	global_load_ushort v49, v[52:53], off
	s_or_b64 exec, exec, s[28:29]
	v_mov_b32_e32 v51, 0
	s_and_saveexec_b64 s[28:29], s[8:9]
	s_cbranch_execz .LBB120_18
.LBB120_23:                             ;   in Loop: Header=BB120_4 Depth=1
	v_mov_b32_e32 v51, s23
	v_add_co_u32_e64 v52, s[10:11], s22, v14
	v_addc_co_u32_e64 v53, s[10:11], v9, v51, s[10:11]
	global_load_ushort v51, v[52:53], off
	s_or_b64 exec, exec, s[28:29]
	s_and_saveexec_b64 s[10:11], vcc
	s_cbranch_execz .LBB120_19
.LBB120_24:                             ;   in Loop: Header=BB120_4 Depth=1
	s_waitcnt vmcnt(0)
	v_lshlrev_b32_e32 v43, 16, v43
	v_lshlrev_b32_e32 v46, 16, v46
	v_div_scale_f32 v52, s[28:29], v46, v46, v43
	v_rcp_f32_e32 v53, v52
	v_lshlrev_b32_e32 v41, 16, v41
	v_fma_f32 v54, -v52, v53, 1.0
	v_fmac_f32_e32 v53, v54, v53
	v_div_scale_f32 v54, vcc, v43, v46, v43
	v_mul_f32_e32 v55, v54, v53
	v_fma_f32 v56, -v52, v55, v54
	v_fmac_f32_e32 v55, v56, v53
	v_fma_f32 v52, -v52, v55, v54
	v_div_fmas_f32 v52, v52, v53, v55
	v_div_fixup_f32 v43, v52, v46, v43
	v_add_f32_e32 v46, v43, v41
	v_fmac_f32_e32 v41, s30, v43
	v_cndmask_b32_e64 v41, v41, v46, s[0:1]
	v_bfe_u32 v43, v41, 16, 1
	v_add3_u32 v43, v41, v43, s35
	v_lshrrev_b32_e32 v43, 16, v43
	v_cmp_o_f32_e32 vcc, v41, v41
	v_cndmask_b32_e32 v41, v39, v43, vcc
	v_mov_b32_e32 v43, s23
	v_add_co_u32_e32 v52, vcc, s22, v8
	v_addc_co_u32_e32 v53, vcc, v29, v43, vcc
	global_store_short v[52:53], v41, off
	s_or_b64 exec, exec, s[10:11]
	s_and_saveexec_b64 s[10:11], s[2:3]
	s_cbranch_execz .LBB120_20
.LBB120_25:                             ;   in Loop: Header=BB120_4 Depth=1
	s_waitcnt vmcnt(0)
	v_lshlrev_b32_e32 v41, 16, v45
	v_lshlrev_b32_e32 v43, 16, v48
	v_div_scale_f32 v45, s[2:3], v43, v43, v41
	v_rcp_f32_e32 v46, v45
	v_lshlrev_b32_e32 v40, 16, v40
	v_fma_f32 v48, -v45, v46, 1.0
	v_fmac_f32_e32 v46, v48, v46
	v_div_scale_f32 v48, vcc, v41, v43, v41
	v_mul_f32_e32 v52, v48, v46
	v_fma_f32 v53, -v45, v52, v48
	v_fmac_f32_e32 v52, v53, v46
	v_fma_f32 v45, -v45, v52, v48
	v_div_fmas_f32 v45, v45, v46, v52
	v_div_fixup_f32 v41, v45, v43, v41
	v_add_f32_e32 v43, v41, v40
	v_fmac_f32_e32 v40, s30, v41
	v_cndmask_b32_e64 v43, v40, v43, s[0:1]
	v_bfe_u32 v40, v43, 16, 1
	v_add3_u32 v40, v43, v40, s35
	v_lshrrev_b32_e32 v45, 16, v40
	v_mov_b32_e32 v41, s23
	v_add_co_u32_e32 v40, vcc, s22, v32
	v_addc_co_u32_e32 v41, vcc, v31, v41, vcc
	v_cmp_o_f32_e32 vcc, v43, v43
	v_cndmask_b32_e32 v43, v39, v45, vcc
	global_store_short v[40:41], v43, off
	s_or_b64 exec, exec, s[10:11]
	s_and_saveexec_b64 s[2:3], s[6:7]
	s_cbranch_execz .LBB120_21
.LBB120_26:                             ;   in Loop: Header=BB120_4 Depth=1
	s_waitcnt vmcnt(0)
	v_lshlrev_b32_e32 v40, 16, v47
	v_lshlrev_b32_e32 v41, 16, v50
	v_div_scale_f32 v43, s[6:7], v41, v41, v40
	v_rcp_f32_e32 v45, v43
	v_lshlrev_b32_e32 v42, 16, v42
	v_fma_f32 v46, -v43, v45, 1.0
	v_fmac_f32_e32 v45, v46, v45
	v_div_scale_f32 v46, vcc, v40, v41, v40
	v_mul_f32_e32 v47, v46, v45
	v_fma_f32 v48, -v43, v47, v46
	v_fmac_f32_e32 v47, v48, v45
	v_fma_f32 v43, -v43, v47, v46
	v_div_fmas_f32 v43, v43, v45, v47
	v_div_fixup_f32 v40, v43, v41, v40
	v_add_f32_e32 v41, v40, v42
	v_fmac_f32_e32 v42, s30, v40
	v_cndmask_b32_e64 v42, v42, v41, s[0:1]
	v_bfe_u32 v40, v42, 16, 1
	v_add3_u32 v40, v42, v40, s35
	v_lshrrev_b32_e32 v43, 16, v40
	v_mov_b32_e32 v41, s23
	v_add_co_u32_e32 v40, vcc, s22, v24
	v_addc_co_u32_e32 v41, vcc, v19, v41, vcc
	v_cmp_o_f32_e32 vcc, v42, v42
	v_cndmask_b32_e32 v42, v39, v43, vcc
	global_store_short v[40:41], v42, off
	s_or_b64 exec, exec, s[2:3]
	s_and_saveexec_b64 s[2:3], s[8:9]
	s_cbranch_execz .LBB120_3
.LBB120_27:                             ;   in Loop: Header=BB120_4 Depth=1
	s_waitcnt vmcnt(0)
	v_lshlrev_b32_e32 v40, 16, v49
	v_lshlrev_b32_e32 v41, 16, v51
	v_div_scale_f32 v42, s[6:7], v41, v41, v40
	v_rcp_f32_e32 v43, v42
	v_lshlrev_b32_e32 v44, 16, v44
	v_fma_f32 v45, -v42, v43, 1.0
	v_fmac_f32_e32 v43, v45, v43
	v_div_scale_f32 v45, vcc, v40, v41, v40
	v_mul_f32_e32 v46, v45, v43
	v_fma_f32 v47, -v42, v46, v45
	v_fmac_f32_e32 v46, v47, v43
	v_fma_f32 v42, -v42, v46, v45
	v_div_fmas_f32 v42, v42, v43, v46
	v_div_fixup_f32 v40, v42, v41, v40
	v_add_f32_e32 v41, v40, v44
	v_fmac_f32_e32 v44, s30, v40
	v_cndmask_b32_e64 v42, v44, v41, s[0:1]
	v_bfe_u32 v40, v42, 16, 1
	v_add3_u32 v40, v42, v40, s35
	v_lshrrev_b32_e32 v43, 16, v40
	v_mov_b32_e32 v41, s23
	v_add_co_u32_e32 v40, vcc, s22, v16
	v_addc_co_u32_e32 v41, vcc, v11, v41, vcc
	v_cmp_o_f32_e32 vcc, v42, v42
	v_cndmask_b32_e32 v42, v39, v43, vcc
	global_store_short v[40:41], v42, off
	s_branch .LBB120_3
.LBB120_28:
	s_mov_b64 s[0:1], 0
.LBB120_29:
	s_andn2_b64 vcc, exec, s[0:1]
	s_cbranch_vccnz .LBB120_33
; %bb.30:
	v_mov_b32_e32 v3, 0
	v_lshlrev_b32_e32 v2, 2, v0
	s_mov_b32 s2, 0
	v_cmp_gt_i64_e32 vcc, s[20:21], v[2:3]
	s_and_saveexec_b64 s[0:1], vcc
	s_cbranch_execz .LBB120_33
; %bb.31:
	s_load_dword s3, s[4:5], 0xc84
	v_lshlrev_b32_e32 v1, 3, v0
	v_mov_b32_e32 v2, s23
	v_add_co_u32_e32 v4, vcc, s22, v1
	s_waitcnt lgkmcnt(0)
	s_and_b32 s3, s3, 0xffff
	v_cmp_eq_f32_e64 s[0:1], s30, 1.0
	v_addc_co_u32_e32 v1, vcc, 0, v2, vcc
	s_lshl_b32 s22, s3, 3
	v_add_lshl_u32 v2, v0, s3, 2
	s_lshl_b32 s23, s3, 2
	s_mov_b64 s[8:9], 0
	v_mov_b32_e32 v0, s13
	v_mov_b32_e32 v5, s15
	;; [unrolled: 1-line block ×3, first 2 shown]
	s_movk_i32 s13, 0x7fff
	v_mov_b32_e32 v7, 0x7fc0
	v_mov_b32_e32 v8, 0x7fc00000
	;; [unrolled: 1-line block ×3, first 2 shown]
	s_mov_b64 s[10:11], 0xffff
	v_mov_b32_e32 v10, s2
	v_mov_b32_e32 v11, s2
.LBB120_32:                             ; =>This Inner Loop Header: Depth=1
	v_add_co_u32_e32 v12, vcc, s12, v4
	v_addc_co_u32_e32 v13, vcc, v0, v1, vcc
	v_add_co_u32_e32 v14, vcc, s14, v4
	v_addc_co_u32_e32 v15, vcc, v5, v1, vcc
	;; [unrolled: 2-line block ×3, first 2 shown]
	global_load_dwordx2 v[20:21], v[12:13], off
	global_load_dwordx2 v[22:23], v[14:15], off
	;; [unrolled: 1-line block ×3, first 2 shown]
	v_add_co_u32_e32 v18, vcc, s18, v4
	v_addc_co_u32_e32 v19, vcc, v9, v1, vcc
	v_cmp_le_i64_e32 vcc, s[20:21], v[2:3]
	v_cmp_lt_u64_e64 s[2:3], s[10:11], v[2:3]
	s_or_b64 s[2:3], vcc, s[2:3]
	v_add_co_u32_e64 v4, s[4:5], s22, v4
	s_and_b64 s[2:3], exec, s[2:3]
	v_addc_co_u32_e64 v1, s[4:5], v1, v10, s[4:5]
	s_or_b64 s[8:9], s[2:3], s[8:9]
	v_add_co_u32_e64 v2, s[4:5], s23, v2
	v_addc_co_u32_e64 v3, s[4:5], v3, v11, s[4:5]
	s_waitcnt vmcnt(2)
	v_lshlrev_b32_e32 v12, 16, v20
	s_waitcnt vmcnt(1)
	v_lshlrev_b32_e32 v13, 16, v22
	;; [unrolled: 2-line block ×3, first 2 shown]
	v_and_b32_e32 v16, 0xffff0000, v22
	v_and_b32_e32 v17, 0xffff0000, v24
	v_alignbit_b32 v22, v23, v22, 16
	v_alignbit_b32 v24, v25, v24, 16
	v_div_scale_f32 v26, s[2:3], v14, v14, v13
	v_and_b32_e32 v23, 0xffff0000, v23
	v_and_b32_e32 v25, 0xffff0000, v25
	v_div_scale_f32 v28, s[2:3], v17, v17, v16
	v_and_b32_e32 v22, 0xffff0000, v22
	v_and_b32_e32 v24, 0xffff0000, v24
	v_rcp_f32_e32 v32, v26
	v_div_scale_f32 v30, s[4:5], v25, v25, v23
	v_rcp_f32_e32 v33, v28
	v_div_scale_f32 v34, s[6:7], v24, v24, v22
	v_rcp_f32_e32 v36, v30
	v_rcp_f32_e32 v37, v34
	v_fma_f32 v38, -v26, v32, 1.0
	v_div_scale_f32 v27, vcc, v13, v14, v13
	v_fma_f32 v39, -v28, v33, 1.0
	v_fmac_f32_e32 v32, v38, v32
	v_div_scale_f32 v29, s[2:3], v16, v17, v16
	v_fma_f32 v40, -v30, v36, 1.0
	v_fmac_f32_e32 v33, v39, v33
	v_fma_f32 v38, -v34, v37, 1.0
	v_mul_f32_e32 v39, v27, v32
	v_div_scale_f32 v35, s[6:7], v22, v24, v22
	v_fmac_f32_e32 v36, v40, v36
	v_mul_f32_e32 v40, v29, v33
	v_fmac_f32_e32 v37, v38, v37
	v_fma_f32 v41, -v26, v39, v27
	v_div_scale_f32 v31, s[4:5], v23, v25, v23
	v_fma_f32 v42, -v28, v40, v29
	v_mul_f32_e32 v43, v35, v37
	v_fmac_f32_e32 v39, v41, v32
	v_mul_f32_e32 v38, v31, v36
	v_fmac_f32_e32 v40, v42, v33
	v_fma_f32 v41, -v34, v43, v35
	v_fma_f32 v26, -v26, v39, v27
	;; [unrolled: 1-line block ×4, first 2 shown]
	v_fmac_f32_e32 v43, v41, v37
	v_div_fmas_f32 v26, v26, v32, v39
	s_mov_b64 vcc, s[2:3]
	v_fmac_f32_e32 v38, v44, v36
	v_fma_f32 v29, -v34, v43, v35
	v_div_fixup_f32 v13, v26, v14, v13
	v_div_fmas_f32 v14, v27, v33, v40
	s_mov_b64 vcc, s[6:7]
	v_and_b32_e32 v15, 0xffff0000, v20
	v_alignbit_b32 v20, v21, v20, 16
	v_fma_f32 v28, -v30, v38, v31
	v_add_f32_e32 v26, v13, v12
	v_fmac_f32_e32 v12, s30, v13
	v_div_fixup_f32 v13, v14, v17, v16
	v_div_fmas_f32 v14, v29, v37, v43
	s_mov_b64 vcc, s[4:5]
	v_and_b32_e32 v20, 0xffff0000, v20
	v_cndmask_b32_e64 v12, v12, v26, s[0:1]
	v_add_f32_e32 v16, v13, v15
	v_fmac_f32_e32 v15, s30, v13
	v_div_fixup_f32 v13, v14, v24, v22
	v_div_fmas_f32 v14, v28, v36, v38
	v_and_b32_e32 v21, 0xffff0000, v21
	v_bfe_u32 v17, v12, 16, 1
	v_cndmask_b32_e64 v15, v15, v16, s[0:1]
	v_add_f32_e32 v16, v13, v20
	v_fmac_f32_e32 v20, s30, v13
	v_div_fixup_f32 v13, v14, v25, v23
	v_add3_u32 v14, v12, v17, s13
	v_bfe_u32 v17, v15, 16, 1
	v_cndmask_b32_e64 v16, v20, v16, s[0:1]
	v_add_f32_e32 v20, v13, v21
	v_fmac_f32_e32 v21, s30, v13
	v_lshrrev_b32_e32 v13, 16, v14
	v_add3_u32 v14, v15, v17, s13
	v_bfe_u32 v17, v16, 16, 1
	v_cndmask_b32_e64 v20, v21, v20, s[0:1]
	v_cmp_o_f32_e32 vcc, v12, v12
	v_cndmask_b32_e32 v12, v7, v13, vcc
	v_and_b32_e32 v13, 0xffff0000, v14
	v_add3_u32 v14, v16, v17, s13
	v_bfe_u32 v17, v20, 16, 1
	v_cmp_o_f32_e32 vcc, v15, v15
	v_cndmask_b32_e32 v13, v8, v13, vcc
	v_lshrrev_b32_e32 v14, 16, v14
	v_add3_u32 v15, v20, v17, s13
	v_cmp_o_f32_e32 vcc, v16, v16
	v_cndmask_b32_e32 v14, v7, v14, vcc
	v_and_b32_e32 v15, 0xffff0000, v15
	v_cmp_o_f32_e32 vcc, v20, v20
	v_or_b32_e32 v12, v12, v13
	v_cndmask_b32_e32 v13, v8, v15, vcc
	v_or3_b32 v12, v12, 0, 0
	v_or3_b32 v13, 0, v14, v13
	global_store_dwordx2 v[18:19], v[12:13], off
	s_andn2_b64 exec, exec, s[8:9]
	s_cbranch_execnz .LBB120_32
.LBB120_33:
	s_endpgm
	.section	.rodata,"a",@progbits
	.p2align	6, 0x0
	.amdhsa_kernel _ZN2at6native12_GLOBAL__N_125multi_tensor_apply_kernelINS1_28TensorListScalarListMetadataIfLi4EEENS1_28PointwiseOpScalarListFunctorIN3c108BFloat16ELi4ELi3ELi3EEEJSt7dividesIfEEEEvT_T0_DpT1_
		.amdhsa_group_segment_fixed_size 0
		.amdhsa_private_segment_fixed_size 0
		.amdhsa_kernarg_size 3448
		.amdhsa_user_sgpr_count 6
		.amdhsa_user_sgpr_private_segment_buffer 1
		.amdhsa_user_sgpr_dispatch_ptr 0
		.amdhsa_user_sgpr_queue_ptr 0
		.amdhsa_user_sgpr_kernarg_segment_ptr 1
		.amdhsa_user_sgpr_dispatch_id 0
		.amdhsa_user_sgpr_flat_scratch_init 0
		.amdhsa_user_sgpr_kernarg_preload_length 0
		.amdhsa_user_sgpr_kernarg_preload_offset 0
		.amdhsa_user_sgpr_private_segment_size 0
		.amdhsa_uses_dynamic_stack 0
		.amdhsa_system_sgpr_private_segment_wavefront_offset 0
		.amdhsa_system_sgpr_workgroup_id_x 1
		.amdhsa_system_sgpr_workgroup_id_y 0
		.amdhsa_system_sgpr_workgroup_id_z 0
		.amdhsa_system_sgpr_workgroup_info 0
		.amdhsa_system_vgpr_workitem_id 0
		.amdhsa_next_free_vgpr 57
		.amdhsa_next_free_sgpr 36
		.amdhsa_accum_offset 60
		.amdhsa_reserve_vcc 1
		.amdhsa_reserve_flat_scratch 0
		.amdhsa_float_round_mode_32 0
		.amdhsa_float_round_mode_16_64 0
		.amdhsa_float_denorm_mode_32 3
		.amdhsa_float_denorm_mode_16_64 3
		.amdhsa_dx10_clamp 1
		.amdhsa_ieee_mode 1
		.amdhsa_fp16_overflow 0
		.amdhsa_tg_split 0
		.amdhsa_exception_fp_ieee_invalid_op 0
		.amdhsa_exception_fp_denorm_src 0
		.amdhsa_exception_fp_ieee_div_zero 0
		.amdhsa_exception_fp_ieee_overflow 0
		.amdhsa_exception_fp_ieee_underflow 0
		.amdhsa_exception_fp_ieee_inexact 0
		.amdhsa_exception_int_div_zero 0
	.end_amdhsa_kernel
	.section	.text._ZN2at6native12_GLOBAL__N_125multi_tensor_apply_kernelINS1_28TensorListScalarListMetadataIfLi4EEENS1_28PointwiseOpScalarListFunctorIN3c108BFloat16ELi4ELi3ELi3EEEJSt7dividesIfEEEEvT_T0_DpT1_,"axG",@progbits,_ZN2at6native12_GLOBAL__N_125multi_tensor_apply_kernelINS1_28TensorListScalarListMetadataIfLi4EEENS1_28PointwiseOpScalarListFunctorIN3c108BFloat16ELi4ELi3ELi3EEEJSt7dividesIfEEEEvT_T0_DpT1_,comdat
.Lfunc_end120:
	.size	_ZN2at6native12_GLOBAL__N_125multi_tensor_apply_kernelINS1_28TensorListScalarListMetadataIfLi4EEENS1_28PointwiseOpScalarListFunctorIN3c108BFloat16ELi4ELi3ELi3EEEJSt7dividesIfEEEEvT_T0_DpT1_, .Lfunc_end120-_ZN2at6native12_GLOBAL__N_125multi_tensor_apply_kernelINS1_28TensorListScalarListMetadataIfLi4EEENS1_28PointwiseOpScalarListFunctorIN3c108BFloat16ELi4ELi3ELi3EEEJSt7dividesIfEEEEvT_T0_DpT1_
                                        ; -- End function
	.section	.AMDGPU.csdata,"",@progbits
; Kernel info:
; codeLenInByte = 3196
; NumSgprs: 40
; NumVgprs: 57
; NumAgprs: 0
; TotalNumVgprs: 57
; ScratchSize: 0
; MemoryBound: 0
; FloatMode: 240
; IeeeMode: 1
; LDSByteSize: 0 bytes/workgroup (compile time only)
; SGPRBlocks: 4
; VGPRBlocks: 7
; NumSGPRsForWavesPerEU: 40
; NumVGPRsForWavesPerEU: 57
; AccumOffset: 60
; Occupancy: 8
; WaveLimiterHint : 0
; COMPUTE_PGM_RSRC2:SCRATCH_EN: 0
; COMPUTE_PGM_RSRC2:USER_SGPR: 6
; COMPUTE_PGM_RSRC2:TRAP_HANDLER: 0
; COMPUTE_PGM_RSRC2:TGID_X_EN: 1
; COMPUTE_PGM_RSRC2:TGID_Y_EN: 0
; COMPUTE_PGM_RSRC2:TGID_Z_EN: 0
; COMPUTE_PGM_RSRC2:TIDIG_COMP_CNT: 0
; COMPUTE_PGM_RSRC3_GFX90A:ACCUM_OFFSET: 14
; COMPUTE_PGM_RSRC3_GFX90A:TG_SPLIT: 0
	.section	.text._ZN2at6native12_GLOBAL__N_125multi_tensor_apply_kernelINS1_28TensorListScalarListMetadataIhLi3EEENS1_28PointwiseOpScalarListFunctorIhLi3ELi3ELi0EEEJSt7dividesIhEEEEvT_T0_DpT1_,"axG",@progbits,_ZN2at6native12_GLOBAL__N_125multi_tensor_apply_kernelINS1_28TensorListScalarListMetadataIhLi3EEENS1_28PointwiseOpScalarListFunctorIhLi3ELi3ELi0EEEJSt7dividesIhEEEEvT_T0_DpT1_,comdat
	.globl	_ZN2at6native12_GLOBAL__N_125multi_tensor_apply_kernelINS1_28TensorListScalarListMetadataIhLi3EEENS1_28PointwiseOpScalarListFunctorIhLi3ELi3ELi0EEEJSt7dividesIhEEEEvT_T0_DpT1_ ; -- Begin function _ZN2at6native12_GLOBAL__N_125multi_tensor_apply_kernelINS1_28TensorListScalarListMetadataIhLi3EEENS1_28PointwiseOpScalarListFunctorIhLi3ELi3ELi0EEEJSt7dividesIhEEEEvT_T0_DpT1_
	.p2align	8
	.type	_ZN2at6native12_GLOBAL__N_125multi_tensor_apply_kernelINS1_28TensorListScalarListMetadataIhLi3EEENS1_28PointwiseOpScalarListFunctorIhLi3ELi3ELi0EEEJSt7dividesIhEEEEvT_T0_DpT1_,@function
_ZN2at6native12_GLOBAL__N_125multi_tensor_apply_kernelINS1_28TensorListScalarListMetadataIhLi3EEENS1_28PointwiseOpScalarListFunctorIhLi3ELi3ELi0EEEJSt7dividesIhEEEEvT_T0_DpT1_: ; @_ZN2at6native12_GLOBAL__N_125multi_tensor_apply_kernelINS1_28TensorListScalarListMetadataIhLi3EEENS1_28PointwiseOpScalarListFunctorIhLi3ELi3ELi0EEEJSt7dividesIhEEEEvT_T0_DpT1_
; %bb.0:
	v_mov_b32_e32 v1, s6
	global_load_ubyte v1, v1, s[4:5] offset:1584
	s_add_u32 s0, s4, s6
	s_addc_u32 s1, s5, 0
	s_mul_hi_u32 s2, s6, 3
	s_mul_i32 s6, s6, 3
	s_add_u32 s0, s0, s6
	s_addc_u32 s1, s1, s2
	s_load_dword s2, s[0:1], 0x770
	v_mov_b32_e32 v3, s5
	s_mov_b32 s15, 0
	s_waitcnt lgkmcnt(0)
	s_ashr_i32 s3, s2, 31
	s_lshl_b64 s[8:9], s[2:3], 16
	s_waitcnt vmcnt(0)
	v_add_co_u32_e32 v2, vcc, s4, v1
	v_addc_co_u32_e32 v3, vcc, 0, v3, vcc
	global_load_ubyte v2, v[2:3], off offset:1536
	v_readfirstlane_b32 s0, v1
	s_lshl_b32 s10, s0, 3
	s_load_dwordx2 s[0:1], s[4:5], s10 offset:0x0
	s_load_dwordx2 s[2:3], s[4:5], s10 offset:0x180
	;; [unrolled: 1-line block ×4, first 2 shown]
	s_waitcnt lgkmcnt(0)
	s_add_u32 s10, s0, s8
	s_addc_u32 s11, s1, s9
	s_add_u32 s20, s2, s8
	s_addc_u32 s23, s3, s9
	;; [unrolled: 2-line block ×3, first 2 shown]
	s_or_b32 s12, s21, s20
	s_and_b32 s12, s12, 3
	s_cmp_eq_u32 s12, 0
	s_cselect_b64 s[18:19], -1, 0
	s_sub_u32 s12, s16, s8
	s_subb_u32 s13, s17, s9
	s_or_b64 s[16:17], s[16:17], s[10:11]
	s_and_b32 s14, s16, 3
	s_cmp_eq_u64 s[14:15], 0
	s_cselect_b64 s[14:15], -1, 0
	s_and_b64 s[16:17], s[18:19], s[14:15]
	s_mov_b64 s[14:15], -1
	s_and_b64 vcc, exec, s[16:17]
	s_cbranch_vccnz .LBB121_29
; %bb.1:
	v_cmp_lt_i64_e64 s[14:15], s[12:13], 1
	s_and_b64 vcc, exec, s[14:15]
	s_cbranch_vccnz .LBB121_28
; %bb.2:
	s_load_dword s14, s[4:5], 0xc84
	v_mov_b32_e32 v4, 0x10000
	v_mov_b32_e32 v5, 0
	v_cmp_lt_u64_e32 vcc, s[12:13], v[4:5]
	v_mov_b32_e32 v1, s9
	s_waitcnt lgkmcnt(0)
	s_and_b32 s18, s14, 0xffff
	s_and_b64 s[14:15], vcc, exec
	v_add_co_u32_e32 v24, vcc, s8, v0
	v_addc_co_u32_e32 v25, vcc, 0, v1, vcc
	v_mov_b32_e32 v26, s1
	v_add_co_u32_e32 v1, vcc, s0, v24
	v_addc_co_u32_e32 v3, vcc, v26, v25, vcc
	v_mov_b32_e32 v27, s3
	v_add_co_u32_e32 v4, vcc, s2, v24
	s_cselect_b32 s15, s13, 0
	s_cselect_b32 s14, s12, 0x10000
	s_lshl_b32 s19, s18, 1
	s_mul_i32 s16, s18, 3
	s_lshl_b32 s24, s18, 2
	v_addc_co_u32_e32 v5, vcc, v27, v25, vcc
	v_mov_b32_e32 v29, s7
	v_add_co_u32_e32 v6, vcc, s6, v24
	s_add_u32 s1, s8, s16
	v_addc_co_u32_e32 v7, vcc, v29, v25, vcc
	s_addc_u32 s3, s9, 0
	v_mov_b32_e32 v8, s3
	v_add_co_u32_e32 v12, vcc, s1, v0
	v_addc_co_u32_e32 v13, vcc, 0, v8, vcc
	v_add_co_u32_e32 v8, vcc, s0, v12
	v_addc_co_u32_e32 v9, vcc, v26, v13, vcc
	;; [unrolled: 2-line block ×4, first 2 shown]
	s_add_u32 s1, s8, s19
	v_add_co_u32_e32 v14, vcc, s16, v0
	s_addc_u32 s3, s9, 0
	v_addc_co_u32_e64 v15, s[16:17], 0, 0, vcc
	v_mov_b32_e32 v16, s3
	v_add_co_u32_e32 v20, vcc, s1, v0
	v_addc_co_u32_e32 v21, vcc, 0, v16, vcc
	v_add_co_u32_e32 v16, vcc, s0, v20
	v_addc_co_u32_e32 v17, vcc, v26, v21, vcc
	;; [unrolled: 2-line block ×4, first 2 shown]
	v_add_co_u32_e32 v22, vcc, s19, v0
	v_addc_co_u32_e64 v23, s[8:9], 0, 0, vcc
	v_add_co_u32_e32 v28, vcc, s18, v24
	v_addc_co_u32_e32 v30, vcc, 0, v25, vcc
	v_add_co_u32_e32 v24, vcc, s0, v28
	v_addc_co_u32_e32 v25, vcc, v26, v30, vcc
	;; [unrolled: 2-line block ×4, first 2 shown]
	v_add_co_u32_e32 v30, vcc, s18, v0
	v_addc_co_u32_e64 v31, s[0:1], 0, 0, vcc
	s_mov_b64 s[16:17], 0
	s_branch .LBB121_4
.LBB121_3:                              ;   in Loop: Header=BB121_4 Depth=1
	s_or_b64 exec, exec, s[0:1]
	s_add_u32 s16, s16, s24
	s_addc_u32 s17, s17, 0
	s_waitcnt vmcnt(1)
	v_pk_mov_b32 v[32:33], s[12:13], s[12:13] op_sel:[0,1]
	v_cmp_lt_i64_e32 vcc, s[16:17], v[32:33]
	v_mov_b32_e32 v32, 0x10000
	v_mov_b32_e32 v33, 0
	v_cmp_lt_u64_e64 s[0:1], s[16:17], v[32:33]
	s_and_b64 s[0:1], vcc, s[0:1]
	s_and_b64 vcc, exec, s[0:1]
	s_cbranch_vccz .LBB121_28
.LBB121_4:                              ; =>This Inner Loop Header: Depth=1
	v_mov_b32_e32 v33, s17
	v_add_co_u32_e32 v32, vcc, s16, v0
	v_addc_co_u32_e32 v33, vcc, 0, v33, vcc
	v_cmp_gt_u64_e32 vcc, s[14:15], v[32:33]
	v_mov_b32_e32 v33, 0
	s_waitcnt vmcnt(0)
	v_mov_b32_e32 v34, 0
	s_and_saveexec_b64 s[2:3], vcc
	s_cbranch_execz .LBB121_6
; %bb.5:                                ;   in Loop: Header=BB121_4 Depth=1
	v_mov_b32_e32 v32, s17
	v_add_co_u32_e64 v36, s[0:1], s16, v1
	v_addc_co_u32_e64 v37, s[0:1], v3, v32, s[0:1]
	v_add_co_u32_e64 v38, s[0:1], s16, v4
	v_addc_co_u32_e64 v39, s[0:1], v5, v32, s[0:1]
	global_load_ubyte v33, v[36:37], off
	global_load_ubyte v34, v[38:39], off
.LBB121_6:                              ;   in Loop: Header=BB121_4 Depth=1
	s_or_b64 exec, exec, s[2:3]
	v_mov_b32_e32 v32, 0
	v_mov_b32_e32 v36, 0
	s_and_saveexec_b64 s[2:3], vcc
	s_cbranch_execz .LBB121_8
; %bb.7:                                ;   in Loop: Header=BB121_4 Depth=1
	v_mov_b32_e32 v35, s17
	v_add_co_u32_e64 v36, s[0:1], s16, v6
	v_addc_co_u32_e64 v37, s[0:1], v7, v35, s[0:1]
	global_load_ubyte v36, v[36:37], off
.LBB121_8:                              ;   in Loop: Header=BB121_4 Depth=1
	s_or_b64 exec, exec, s[2:3]
	v_mov_b32_e32 v35, s17
	v_add_co_u32_e64 v38, s[0:1], s16, v30
	v_addc_co_u32_e64 v39, s[0:1], v31, v35, s[0:1]
	v_cmp_gt_u64_e64 s[0:1], s[14:15], v[38:39]
	v_mov_b32_e32 v38, 0
	s_and_saveexec_b64 s[6:7], s[0:1]
	s_cbranch_execz .LBB121_10
; %bb.9:                                ;   in Loop: Header=BB121_4 Depth=1
	v_mov_b32_e32 v32, s17
	v_add_co_u32_e64 v40, s[2:3], s16, v26
	v_addc_co_u32_e64 v41, s[2:3], v27, v32, s[2:3]
	v_add_co_u32_e64 v42, s[2:3], s16, v24
	v_addc_co_u32_e64 v43, s[2:3], v25, v32, s[2:3]
	global_load_ubyte v32, v[42:43], off
	global_load_ubyte v38, v[40:41], off
.LBB121_10:                             ;   in Loop: Header=BB121_4 Depth=1
	s_or_b64 exec, exec, s[6:7]
	v_mov_b32_e32 v35, 0
	v_mov_b32_e32 v40, 0
	s_and_saveexec_b64 s[6:7], s[0:1]
	s_cbranch_execz .LBB121_12
; %bb.11:                               ;   in Loop: Header=BB121_4 Depth=1
	v_mov_b32_e32 v37, s17
	v_add_co_u32_e64 v40, s[2:3], s16, v28
	v_addc_co_u32_e64 v41, s[2:3], v29, v37, s[2:3]
	global_load_ubyte v40, v[40:41], off
.LBB121_12:                             ;   in Loop: Header=BB121_4 Depth=1
	s_or_b64 exec, exec, s[6:7]
	v_mov_b32_e32 v37, s17
	v_add_co_u32_e64 v42, s[2:3], s16, v22
	v_addc_co_u32_e64 v43, s[2:3], v23, v37, s[2:3]
	v_cmp_gt_u64_e64 s[2:3], s[14:15], v[42:43]
	v_mov_b32_e32 v39, 0
	s_and_saveexec_b64 s[8:9], s[2:3]
	s_cbranch_execz .LBB121_14
; %bb.13:                               ;   in Loop: Header=BB121_4 Depth=1
	v_mov_b32_e32 v35, s17
	v_add_co_u32_e64 v42, s[6:7], s16, v18
	v_addc_co_u32_e64 v43, s[6:7], v19, v35, s[6:7]
	v_add_co_u32_e64 v44, s[6:7], s16, v16
	v_addc_co_u32_e64 v45, s[6:7], v17, v35, s[6:7]
	global_load_ubyte v35, v[44:45], off
	global_load_ubyte v39, v[42:43], off
.LBB121_14:                             ;   in Loop: Header=BB121_4 Depth=1
	s_or_b64 exec, exec, s[8:9]
	v_mov_b32_e32 v37, 0
	v_mov_b32_e32 v42, 0
	s_and_saveexec_b64 s[8:9], s[2:3]
	s_cbranch_execz .LBB121_16
; %bb.15:                               ;   in Loop: Header=BB121_4 Depth=1
	v_mov_b32_e32 v41, s17
	v_add_co_u32_e64 v42, s[6:7], s16, v20
	v_addc_co_u32_e64 v43, s[6:7], v21, v41, s[6:7]
	global_load_ubyte v42, v[42:43], off
.LBB121_16:                             ;   in Loop: Header=BB121_4 Depth=1
	s_or_b64 exec, exec, s[8:9]
	v_mov_b32_e32 v41, s17
	v_add_co_u32_e64 v44, s[6:7], s16, v14
	v_addc_co_u32_e64 v45, s[6:7], v15, v41, s[6:7]
	v_cmp_gt_u64_e64 s[6:7], s[14:15], v[44:45]
	v_mov_b32_e32 v41, 0
	s_and_saveexec_b64 s[18:19], s[6:7]
	s_cbranch_execnz .LBB121_22
; %bb.17:                               ;   in Loop: Header=BB121_4 Depth=1
	s_or_b64 exec, exec, s[18:19]
	v_mov_b32_e32 v43, 0
	s_and_saveexec_b64 s[18:19], s[6:7]
	s_cbranch_execnz .LBB121_23
.LBB121_18:                             ;   in Loop: Header=BB121_4 Depth=1
	s_or_b64 exec, exec, s[18:19]
	s_and_saveexec_b64 s[8:9], vcc
	s_cbranch_execnz .LBB121_24
.LBB121_19:                             ;   in Loop: Header=BB121_4 Depth=1
	s_or_b64 exec, exec, s[8:9]
	s_and_saveexec_b64 s[8:9], s[0:1]
	s_cbranch_execnz .LBB121_25
.LBB121_20:                             ;   in Loop: Header=BB121_4 Depth=1
	s_or_b64 exec, exec, s[8:9]
	s_and_saveexec_b64 s[0:1], s[2:3]
	s_cbranch_execnz .LBB121_26
.LBB121_21:                             ;   in Loop: Header=BB121_4 Depth=1
	s_or_b64 exec, exec, s[0:1]
	s_and_saveexec_b64 s[0:1], s[6:7]
	s_cbranch_execz .LBB121_3
	s_branch .LBB121_27
.LBB121_22:                             ;   in Loop: Header=BB121_4 Depth=1
	v_mov_b32_e32 v37, s17
	v_add_co_u32_e64 v44, s[8:9], s16, v10
	v_addc_co_u32_e64 v45, s[8:9], v11, v37, s[8:9]
	v_add_co_u32_e64 v46, s[8:9], s16, v8
	v_addc_co_u32_e64 v47, s[8:9], v9, v37, s[8:9]
	global_load_ubyte v37, v[46:47], off
	global_load_ubyte v41, v[44:45], off
	s_or_b64 exec, exec, s[18:19]
	v_mov_b32_e32 v43, 0
	s_and_saveexec_b64 s[18:19], s[6:7]
	s_cbranch_execz .LBB121_18
.LBB121_23:                             ;   in Loop: Header=BB121_4 Depth=1
	v_mov_b32_e32 v43, s17
	v_add_co_u32_e64 v44, s[8:9], s16, v12
	v_addc_co_u32_e64 v45, s[8:9], v13, v43, s[8:9]
	global_load_ubyte v43, v[44:45], off
	s_or_b64 exec, exec, s[18:19]
	s_and_saveexec_b64 s[8:9], vcc
	s_cbranch_execz .LBB121_19
.LBB121_24:                             ;   in Loop: Header=BB121_4 Depth=1
	s_waitcnt vmcnt(0)
	v_cvt_f32_ubyte0_e32 v36, v36
	v_rcp_iflag_f32_e32 v46, v36
	v_cvt_f32_ubyte0_e32 v34, v34
	v_mov_b32_e32 v45, s17
	v_add_co_u32_e32 v44, vcc, s16, v1
	v_mul_f32_e32 v46, v34, v46
	v_trunc_f32_e32 v46, v46
	v_cvt_u32_f32_e32 v47, v46
	v_addc_co_u32_e32 v45, vcc, v3, v45, vcc
	v_mad_f32 v34, -v46, v36, v34
	v_cmp_ge_f32_e64 vcc, |v34|, v36
	v_addc_co_u32_e32 v34, vcc, 0, v47, vcc
	v_mad_legacy_u16 v33, v34, v2, v33
	global_store_byte v[44:45], v33, off
	s_or_b64 exec, exec, s[8:9]
	s_and_saveexec_b64 s[8:9], s[0:1]
	s_cbranch_execz .LBB121_20
.LBB121_25:                             ;   in Loop: Header=BB121_4 Depth=1
	s_waitcnt vmcnt(0)
	v_cvt_f32_ubyte0_e32 v33, v40
	v_rcp_iflag_f32_e32 v34, v33
	v_cvt_f32_ubyte0_e32 v36, v38
	v_mov_b32_e32 v38, s17
	v_mul_f32_e32 v34, v36, v34
	v_trunc_f32_e32 v34, v34
	v_cvt_u32_f32_e32 v40, v34
	v_mad_f32 v34, -v34, v33, v36
	v_cmp_ge_f32_e64 vcc, |v34|, v33
	v_addc_co_u32_e32 v33, vcc, 0, v40, vcc
	v_mad_legacy_u16 v34, v33, v2, v32
	v_add_co_u32_e32 v32, vcc, s16, v24
	v_addc_co_u32_e32 v33, vcc, v25, v38, vcc
	global_store_byte v[32:33], v34, off
	s_or_b64 exec, exec, s[8:9]
	s_and_saveexec_b64 s[0:1], s[2:3]
	s_cbranch_execz .LBB121_21
.LBB121_26:                             ;   in Loop: Header=BB121_4 Depth=1
	s_waitcnt vmcnt(0)
	v_cvt_f32_ubyte0_e32 v32, v42
	v_rcp_iflag_f32_e32 v33, v32
	v_cvt_f32_ubyte0_e32 v34, v39
	v_mov_b32_e32 v36, s17
	v_mul_f32_e32 v33, v34, v33
	v_trunc_f32_e32 v33, v33
	v_cvt_u32_f32_e32 v38, v33
	v_mad_f32 v33, -v33, v32, v34
	v_cmp_ge_f32_e64 vcc, |v33|, v32
	v_addc_co_u32_e32 v32, vcc, 0, v38, vcc
	v_mad_legacy_u16 v34, v32, v2, v35
	v_add_co_u32_e32 v32, vcc, s16, v16
	v_addc_co_u32_e32 v33, vcc, v17, v36, vcc
	global_store_byte v[32:33], v34, off
	s_or_b64 exec, exec, s[0:1]
	s_and_saveexec_b64 s[0:1], s[6:7]
	s_cbranch_execz .LBB121_3
.LBB121_27:                             ;   in Loop: Header=BB121_4 Depth=1
	s_waitcnt vmcnt(0)
	v_cvt_f32_ubyte0_e32 v32, v43
	v_rcp_iflag_f32_e32 v33, v32
	v_cvt_f32_ubyte0_e32 v34, v41
	v_mov_b32_e32 v35, s17
	v_mul_f32_e32 v33, v34, v33
	v_trunc_f32_e32 v33, v33
	v_cvt_u32_f32_e32 v36, v33
	v_mad_f32 v33, -v33, v32, v34
	v_cmp_ge_f32_e64 vcc, |v33|, v32
	v_addc_co_u32_e32 v32, vcc, 0, v36, vcc
	v_mad_legacy_u16 v34, v32, v2, v37
	v_add_co_u32_e32 v32, vcc, s16, v8
	v_addc_co_u32_e32 v33, vcc, v9, v35, vcc
	global_store_byte v[32:33], v34, off
	s_branch .LBB121_3
.LBB121_28:
	s_mov_b64 s[14:15], 0
.LBB121_29:
	s_andn2_b64 vcc, exec, s[14:15]
	s_cbranch_vccnz .LBB121_33
; %bb.30:
	v_lshlrev_b32_e32 v0, 2, v0
	v_mov_b32_e32 v1, 0
	v_cmp_gt_i64_e32 vcc, s[12:13], v[0:1]
	s_and_saveexec_b64 s[0:1], vcc
	s_cbranch_execz .LBB121_33
; %bb.31:
	s_load_dword s0, s[4:5], 0xc84
	s_mov_b32 s1, 0
	s_mov_b64 s[6:7], 0
	v_mov_b32_e32 v3, s11
	v_mov_b32_e32 v4, s23
	s_waitcnt lgkmcnt(0)
	s_and_b32 s0, s0, 0xffff
	s_lshl_b32 s11, s0, 2
	v_mov_b32_e32 v5, s22
	s_mov_b32 s14, 0x6050400
	v_mov_b32_e32 v6, s1
	s_mov_b64 s[8:9], 0xffff
.LBB121_32:                             ; =>This Inner Loop Header: Depth=1
	v_add_co_u32_e32 v8, vcc, s10, v0
	v_addc_co_u32_e32 v9, vcc, v3, v1, vcc
	v_add_co_u32_e32 v10, vcc, s20, v0
	v_addc_co_u32_e32 v11, vcc, v4, v1, vcc
	v_add_co_u32_e32 v12, vcc, s21, v0
	v_addc_co_u32_e32 v13, vcc, v5, v1, vcc
	global_load_dword v7, v[10:11], off
	global_load_dword v14, v[12:13], off
	;; [unrolled: 1-line block ×3, first 2 shown]
	v_add_co_u32_e32 v0, vcc, s11, v0
	v_addc_co_u32_e32 v1, vcc, v6, v1, vcc
	v_cmp_le_i64_e32 vcc, s[12:13], v[0:1]
	v_cmp_lt_u64_e64 s[0:1], s[8:9], v[0:1]
	s_or_b64 s[0:1], vcc, s[0:1]
	s_and_b64 s[0:1], exec, s[0:1]
	s_or_b64 s[6:7], s[0:1], s[6:7]
	s_waitcnt vmcnt(2)
	v_cvt_f32_ubyte1_e32 v13, v7
	s_waitcnt vmcnt(1)
	v_cvt_f32_ubyte1_e32 v16, v14
	v_cvt_f32_ubyte2_e32 v19, v14
	v_cvt_f32_ubyte0_e32 v11, v14
	v_cvt_f32_ubyte3_e32 v14, v14
	v_rcp_iflag_f32_e32 v22, v16
	v_rcp_iflag_f32_e32 v23, v19
	;; [unrolled: 1-line block ×4, first 2 shown]
	v_cvt_f32_ubyte2_e32 v18, v7
	v_cvt_f32_ubyte0_e32 v10, v7
	v_cvt_f32_ubyte3_e32 v7, v7
	v_mul_f32_e32 v22, v13, v22
	v_mul_f32_e32 v23, v18, v23
	v_mul_f32_e32 v21, v10, v21
	v_mul_f32_e32 v24, v7, v24
	v_trunc_f32_e32 v22, v22
	v_trunc_f32_e32 v23, v23
	;; [unrolled: 1-line block ×4, first 2 shown]
	v_mad_f32 v13, -v22, v16, v13
	v_cvt_u32_f32_e32 v22, v22
	v_mad_f32 v18, -v23, v19, v18
	v_cvt_u32_f32_e32 v23, v23
	;; [unrolled: 2-line block ×4, first 2 shown]
	v_cmp_ge_f32_e64 vcc, |v13|, v16
	v_cmp_ge_f32_e64 s[0:1], |v18|, v19
	s_waitcnt vmcnt(0)
	v_lshrrev_b32_e32 v12, 8, v15
	v_lshrrev_b32_e32 v17, 16, v15
	v_cmp_ge_f32_e64 s[2:3], |v7|, v14
	v_cmp_ge_f32_e64 s[4:5], |v10|, v11
	v_addc_co_u32_e32 v10, vcc, 0, v22, vcc
	v_addc_co_u32_e64 v11, vcc, 0, v23, s[0:1]
	v_lshrrev_b32_e32 v20, 24, v15
	v_addc_co_u32_e64 v7, s[4:5], 0, v21, s[4:5]
	v_addc_co_u32_e64 v13, vcc, 0, v24, s[2:3]
	v_mad_legacy_u16 v10, v10, v2, v12
	v_mad_legacy_u16 v11, v11, v2, v17
	;; [unrolled: 1-line block ×4, first 2 shown]
	v_and_b32_e32 v10, 0xff, v10
	v_and_b32_e32 v11, 0xff, v11
	v_lshlrev_b32_e32 v12, 24, v12
	v_perm_b32 v7, v10, v7, s14
	v_lshlrev_b32_e32 v10, 16, v11
	v_or3_b32 v7, v7, v10, v12
	global_store_dword v[8:9], v7, off
	s_andn2_b64 exec, exec, s[6:7]
	s_cbranch_execnz .LBB121_32
.LBB121_33:
	s_endpgm
	.section	.rodata,"a",@progbits
	.p2align	6, 0x0
	.amdhsa_kernel _ZN2at6native12_GLOBAL__N_125multi_tensor_apply_kernelINS1_28TensorListScalarListMetadataIhLi3EEENS1_28PointwiseOpScalarListFunctorIhLi3ELi3ELi0EEEJSt7dividesIhEEEEvT_T0_DpT1_
		.amdhsa_group_segment_fixed_size 0
		.amdhsa_private_segment_fixed_size 0
		.amdhsa_kernarg_size 3448
		.amdhsa_user_sgpr_count 6
		.amdhsa_user_sgpr_private_segment_buffer 1
		.amdhsa_user_sgpr_dispatch_ptr 0
		.amdhsa_user_sgpr_queue_ptr 0
		.amdhsa_user_sgpr_kernarg_segment_ptr 1
		.amdhsa_user_sgpr_dispatch_id 0
		.amdhsa_user_sgpr_flat_scratch_init 0
		.amdhsa_user_sgpr_kernarg_preload_length 0
		.amdhsa_user_sgpr_kernarg_preload_offset 0
		.amdhsa_user_sgpr_private_segment_size 0
		.amdhsa_uses_dynamic_stack 0
		.amdhsa_system_sgpr_private_segment_wavefront_offset 0
		.amdhsa_system_sgpr_workgroup_id_x 1
		.amdhsa_system_sgpr_workgroup_id_y 0
		.amdhsa_system_sgpr_workgroup_id_z 0
		.amdhsa_system_sgpr_workgroup_info 0
		.amdhsa_system_vgpr_workitem_id 0
		.amdhsa_next_free_vgpr 48
		.amdhsa_next_free_sgpr 25
		.amdhsa_accum_offset 48
		.amdhsa_reserve_vcc 1
		.amdhsa_reserve_flat_scratch 0
		.amdhsa_float_round_mode_32 0
		.amdhsa_float_round_mode_16_64 0
		.amdhsa_float_denorm_mode_32 3
		.amdhsa_float_denorm_mode_16_64 3
		.amdhsa_dx10_clamp 1
		.amdhsa_ieee_mode 1
		.amdhsa_fp16_overflow 0
		.amdhsa_tg_split 0
		.amdhsa_exception_fp_ieee_invalid_op 0
		.amdhsa_exception_fp_denorm_src 0
		.amdhsa_exception_fp_ieee_div_zero 0
		.amdhsa_exception_fp_ieee_overflow 0
		.amdhsa_exception_fp_ieee_underflow 0
		.amdhsa_exception_fp_ieee_inexact 0
		.amdhsa_exception_int_div_zero 0
	.end_amdhsa_kernel
	.section	.text._ZN2at6native12_GLOBAL__N_125multi_tensor_apply_kernelINS1_28TensorListScalarListMetadataIhLi3EEENS1_28PointwiseOpScalarListFunctorIhLi3ELi3ELi0EEEJSt7dividesIhEEEEvT_T0_DpT1_,"axG",@progbits,_ZN2at6native12_GLOBAL__N_125multi_tensor_apply_kernelINS1_28TensorListScalarListMetadataIhLi3EEENS1_28PointwiseOpScalarListFunctorIhLi3ELi3ELi0EEEJSt7dividesIhEEEEvT_T0_DpT1_,comdat
.Lfunc_end121:
	.size	_ZN2at6native12_GLOBAL__N_125multi_tensor_apply_kernelINS1_28TensorListScalarListMetadataIhLi3EEENS1_28PointwiseOpScalarListFunctorIhLi3ELi3ELi0EEEJSt7dividesIhEEEEvT_T0_DpT1_, .Lfunc_end121-_ZN2at6native12_GLOBAL__N_125multi_tensor_apply_kernelINS1_28TensorListScalarListMetadataIhLi3EEENS1_28PointwiseOpScalarListFunctorIhLi3ELi3ELi0EEEJSt7dividesIhEEEEvT_T0_DpT1_
                                        ; -- End function
	.section	.AMDGPU.csdata,"",@progbits
; Kernel info:
; codeLenInByte = 2028
; NumSgprs: 29
; NumVgprs: 48
; NumAgprs: 0
; TotalNumVgprs: 48
; ScratchSize: 0
; MemoryBound: 0
; FloatMode: 240
; IeeeMode: 1
; LDSByteSize: 0 bytes/workgroup (compile time only)
; SGPRBlocks: 3
; VGPRBlocks: 5
; NumSGPRsForWavesPerEU: 29
; NumVGPRsForWavesPerEU: 48
; AccumOffset: 48
; Occupancy: 8
; WaveLimiterHint : 0
; COMPUTE_PGM_RSRC2:SCRATCH_EN: 0
; COMPUTE_PGM_RSRC2:USER_SGPR: 6
; COMPUTE_PGM_RSRC2:TRAP_HANDLER: 0
; COMPUTE_PGM_RSRC2:TGID_X_EN: 1
; COMPUTE_PGM_RSRC2:TGID_Y_EN: 0
; COMPUTE_PGM_RSRC2:TGID_Z_EN: 0
; COMPUTE_PGM_RSRC2:TIDIG_COMP_CNT: 0
; COMPUTE_PGM_RSRC3_GFX90A:ACCUM_OFFSET: 11
; COMPUTE_PGM_RSRC3_GFX90A:TG_SPLIT: 0
	.section	.text._ZN2at6native12_GLOBAL__N_125multi_tensor_apply_kernelINS1_28TensorListScalarListMetadataIaLi3EEENS1_28PointwiseOpScalarListFunctorIaLi3ELi3ELi0EEEJSt7dividesIaEEEEvT_T0_DpT1_,"axG",@progbits,_ZN2at6native12_GLOBAL__N_125multi_tensor_apply_kernelINS1_28TensorListScalarListMetadataIaLi3EEENS1_28PointwiseOpScalarListFunctorIaLi3ELi3ELi0EEEJSt7dividesIaEEEEvT_T0_DpT1_,comdat
	.globl	_ZN2at6native12_GLOBAL__N_125multi_tensor_apply_kernelINS1_28TensorListScalarListMetadataIaLi3EEENS1_28PointwiseOpScalarListFunctorIaLi3ELi3ELi0EEEJSt7dividesIaEEEEvT_T0_DpT1_ ; -- Begin function _ZN2at6native12_GLOBAL__N_125multi_tensor_apply_kernelINS1_28TensorListScalarListMetadataIaLi3EEENS1_28PointwiseOpScalarListFunctorIaLi3ELi3ELi0EEEJSt7dividesIaEEEEvT_T0_DpT1_
	.p2align	8
	.type	_ZN2at6native12_GLOBAL__N_125multi_tensor_apply_kernelINS1_28TensorListScalarListMetadataIaLi3EEENS1_28PointwiseOpScalarListFunctorIaLi3ELi3ELi0EEEJSt7dividesIaEEEEvT_T0_DpT1_,@function
_ZN2at6native12_GLOBAL__N_125multi_tensor_apply_kernelINS1_28TensorListScalarListMetadataIaLi3EEENS1_28PointwiseOpScalarListFunctorIaLi3ELi3ELi0EEEJSt7dividesIaEEEEvT_T0_DpT1_: ; @_ZN2at6native12_GLOBAL__N_125multi_tensor_apply_kernelINS1_28TensorListScalarListMetadataIaLi3EEENS1_28PointwiseOpScalarListFunctorIaLi3ELi3ELi0EEEJSt7dividesIaEEEEvT_T0_DpT1_
; %bb.0:
	v_mov_b32_e32 v1, s6
	global_load_ubyte v1, v1, s[4:5] offset:1584
	s_add_u32 s0, s4, s6
	s_addc_u32 s1, s5, 0
	s_mul_hi_u32 s2, s6, 3
	s_mul_i32 s6, s6, 3
	s_add_u32 s0, s0, s6
	s_addc_u32 s1, s1, s2
	s_load_dword s2, s[0:1], 0x770
	v_mov_b32_e32 v3, s5
	s_mov_b32 s15, 0
	s_waitcnt lgkmcnt(0)
	s_ashr_i32 s3, s2, 31
	s_lshl_b64 s[8:9], s[2:3], 16
	s_waitcnt vmcnt(0)
	v_add_co_u32_e32 v2, vcc, s4, v1
	v_addc_co_u32_e32 v3, vcc, 0, v3, vcc
	global_load_ubyte v2, v[2:3], off offset:1536
	v_readfirstlane_b32 s0, v1
	s_lshl_b32 s10, s0, 3
	s_load_dwordx2 s[0:1], s[4:5], s10 offset:0x0
	s_load_dwordx2 s[2:3], s[4:5], s10 offset:0x180
	;; [unrolled: 1-line block ×4, first 2 shown]
	s_waitcnt lgkmcnt(0)
	s_add_u32 s10, s0, s8
	s_addc_u32 s11, s1, s9
	s_add_u32 s20, s2, s8
	s_addc_u32 s23, s3, s9
	;; [unrolled: 2-line block ×3, first 2 shown]
	s_or_b32 s12, s21, s20
	s_and_b32 s12, s12, 3
	s_cmp_eq_u32 s12, 0
	s_cselect_b64 s[18:19], -1, 0
	s_sub_u32 s12, s16, s8
	s_subb_u32 s13, s17, s9
	s_or_b64 s[16:17], s[16:17], s[10:11]
	s_and_b32 s14, s16, 3
	s_cmp_eq_u64 s[14:15], 0
	s_cselect_b64 s[14:15], -1, 0
	s_and_b64 s[16:17], s[18:19], s[14:15]
	s_mov_b64 s[14:15], -1
	s_and_b64 vcc, exec, s[16:17]
	s_cbranch_vccnz .LBB122_29
; %bb.1:
	v_cmp_lt_i64_e64 s[14:15], s[12:13], 1
	s_and_b64 vcc, exec, s[14:15]
	s_cbranch_vccnz .LBB122_28
; %bb.2:
	s_load_dword s14, s[4:5], 0xc84
	v_mov_b32_e32 v4, 0x10000
	v_mov_b32_e32 v5, 0
	v_cmp_lt_u64_e32 vcc, s[12:13], v[4:5]
	v_mov_b32_e32 v1, s9
	s_waitcnt lgkmcnt(0)
	s_and_b32 s18, s14, 0xffff
	s_and_b64 s[14:15], vcc, exec
	v_add_co_u32_e32 v24, vcc, s8, v0
	v_addc_co_u32_e32 v25, vcc, 0, v1, vcc
	v_mov_b32_e32 v26, s1
	v_add_co_u32_e32 v1, vcc, s0, v24
	v_addc_co_u32_e32 v3, vcc, v26, v25, vcc
	v_mov_b32_e32 v27, s3
	v_add_co_u32_e32 v4, vcc, s2, v24
	s_cselect_b32 s15, s13, 0
	s_cselect_b32 s14, s12, 0x10000
	s_lshl_b32 s19, s18, 1
	s_mul_i32 s16, s18, 3
	s_lshl_b32 s24, s18, 2
	v_addc_co_u32_e32 v5, vcc, v27, v25, vcc
	v_mov_b32_e32 v29, s7
	v_add_co_u32_e32 v6, vcc, s6, v24
	s_add_u32 s1, s8, s16
	v_addc_co_u32_e32 v7, vcc, v29, v25, vcc
	s_addc_u32 s3, s9, 0
	v_mov_b32_e32 v8, s3
	v_add_co_u32_e32 v12, vcc, s1, v0
	v_addc_co_u32_e32 v13, vcc, 0, v8, vcc
	v_add_co_u32_e32 v8, vcc, s0, v12
	v_addc_co_u32_e32 v9, vcc, v26, v13, vcc
	;; [unrolled: 2-line block ×4, first 2 shown]
	s_add_u32 s1, s8, s19
	v_add_co_u32_e32 v14, vcc, s16, v0
	s_addc_u32 s3, s9, 0
	v_addc_co_u32_e64 v15, s[16:17], 0, 0, vcc
	v_mov_b32_e32 v16, s3
	v_add_co_u32_e32 v20, vcc, s1, v0
	v_addc_co_u32_e32 v21, vcc, 0, v16, vcc
	v_add_co_u32_e32 v16, vcc, s0, v20
	v_addc_co_u32_e32 v17, vcc, v26, v21, vcc
	;; [unrolled: 2-line block ×4, first 2 shown]
	v_add_co_u32_e32 v22, vcc, s19, v0
	v_addc_co_u32_e64 v23, s[8:9], 0, 0, vcc
	v_add_co_u32_e32 v28, vcc, s18, v24
	v_addc_co_u32_e32 v30, vcc, 0, v25, vcc
	v_add_co_u32_e32 v24, vcc, s0, v28
	v_addc_co_u32_e32 v25, vcc, v26, v30, vcc
	;; [unrolled: 2-line block ×4, first 2 shown]
	v_add_co_u32_e32 v30, vcc, s18, v0
	v_addc_co_u32_e64 v31, s[0:1], 0, 0, vcc
	s_mov_b64 s[16:17], 0
	s_branch .LBB122_4
.LBB122_3:                              ;   in Loop: Header=BB122_4 Depth=1
	s_or_b64 exec, exec, s[0:1]
	s_add_u32 s16, s16, s24
	s_addc_u32 s17, s17, 0
	s_waitcnt vmcnt(1)
	v_pk_mov_b32 v[32:33], s[12:13], s[12:13] op_sel:[0,1]
	v_cmp_lt_i64_e32 vcc, s[16:17], v[32:33]
	v_mov_b32_e32 v32, 0x10000
	v_mov_b32_e32 v33, 0
	v_cmp_lt_u64_e64 s[0:1], s[16:17], v[32:33]
	s_and_b64 s[0:1], vcc, s[0:1]
	s_and_b64 vcc, exec, s[0:1]
	s_cbranch_vccz .LBB122_28
.LBB122_4:                              ; =>This Inner Loop Header: Depth=1
	v_mov_b32_e32 v33, s17
	v_add_co_u32_e32 v32, vcc, s16, v0
	v_addc_co_u32_e32 v33, vcc, 0, v33, vcc
	v_cmp_gt_u64_e32 vcc, s[14:15], v[32:33]
	v_mov_b32_e32 v33, 0
	s_waitcnt vmcnt(0)
	v_mov_b32_e32 v36, 0
	s_and_saveexec_b64 s[2:3], vcc
	s_cbranch_execz .LBB122_6
; %bb.5:                                ;   in Loop: Header=BB122_4 Depth=1
	v_mov_b32_e32 v32, s17
	v_add_co_u32_e64 v34, s[0:1], s16, v1
	v_addc_co_u32_e64 v35, s[0:1], v3, v32, s[0:1]
	v_add_co_u32_e64 v38, s[0:1], s16, v4
	v_addc_co_u32_e64 v39, s[0:1], v5, v32, s[0:1]
	global_load_ubyte v33, v[34:35], off
	global_load_ubyte v36, v[38:39], off
.LBB122_6:                              ;   in Loop: Header=BB122_4 Depth=1
	s_or_b64 exec, exec, s[2:3]
	v_mov_b32_e32 v32, 0
	v_mov_b32_e32 v38, 0
	s_and_saveexec_b64 s[2:3], vcc
	s_cbranch_execz .LBB122_8
; %bb.7:                                ;   in Loop: Header=BB122_4 Depth=1
	v_mov_b32_e32 v35, s17
	v_add_co_u32_e64 v34, s[0:1], s16, v6
	v_addc_co_u32_e64 v35, s[0:1], v7, v35, s[0:1]
	global_load_ubyte v38, v[34:35], off
.LBB122_8:                              ;   in Loop: Header=BB122_4 Depth=1
	s_or_b64 exec, exec, s[2:3]
	v_mov_b32_e32 v35, s17
	v_add_co_u32_e64 v34, s[0:1], s16, v30
	v_addc_co_u32_e64 v35, s[0:1], v31, v35, s[0:1]
	v_cmp_gt_u64_e64 s[0:1], s[14:15], v[34:35]
	v_mov_b32_e32 v37, 0
	s_and_saveexec_b64 s[6:7], s[0:1]
	s_cbranch_execz .LBB122_10
; %bb.9:                                ;   in Loop: Header=BB122_4 Depth=1
	v_mov_b32_e32 v32, s17
	v_add_co_u32_e64 v34, s[2:3], s16, v26
	v_addc_co_u32_e64 v35, s[2:3], v27, v32, s[2:3]
	v_add_co_u32_e64 v40, s[2:3], s16, v24
	v_addc_co_u32_e64 v41, s[2:3], v25, v32, s[2:3]
	global_load_ubyte v32, v[40:41], off
	global_load_ubyte v37, v[34:35], off
.LBB122_10:                             ;   in Loop: Header=BB122_4 Depth=1
	s_or_b64 exec, exec, s[6:7]
	v_mov_b32_e32 v34, 0
	v_mov_b32_e32 v40, 0
	s_and_saveexec_b64 s[6:7], s[0:1]
	s_cbranch_execz .LBB122_12
; %bb.11:                               ;   in Loop: Header=BB122_4 Depth=1
	v_mov_b32_e32 v35, s17
	v_add_co_u32_e64 v40, s[2:3], s16, v28
	v_addc_co_u32_e64 v41, s[2:3], v29, v35, s[2:3]
	global_load_ubyte v40, v[40:41], off
.LBB122_12:                             ;   in Loop: Header=BB122_4 Depth=1
	s_or_b64 exec, exec, s[6:7]
	v_mov_b32_e32 v35, s17
	v_add_co_u32_e64 v42, s[2:3], s16, v22
	v_addc_co_u32_e64 v43, s[2:3], v23, v35, s[2:3]
	v_cmp_gt_u64_e64 s[2:3], s[14:15], v[42:43]
	v_mov_b32_e32 v39, 0
	s_and_saveexec_b64 s[8:9], s[2:3]
	s_cbranch_execz .LBB122_14
; %bb.13:                               ;   in Loop: Header=BB122_4 Depth=1
	v_mov_b32_e32 v34, s17
	v_add_co_u32_e64 v42, s[6:7], s16, v18
	v_addc_co_u32_e64 v43, s[6:7], v19, v34, s[6:7]
	v_add_co_u32_e64 v44, s[6:7], s16, v16
	v_addc_co_u32_e64 v45, s[6:7], v17, v34, s[6:7]
	global_load_ubyte v34, v[44:45], off
	global_load_ubyte v39, v[42:43], off
.LBB122_14:                             ;   in Loop: Header=BB122_4 Depth=1
	s_or_b64 exec, exec, s[8:9]
	v_mov_b32_e32 v35, 0
	v_mov_b32_e32 v42, 0
	s_and_saveexec_b64 s[8:9], s[2:3]
	s_cbranch_execz .LBB122_16
; %bb.15:                               ;   in Loop: Header=BB122_4 Depth=1
	v_mov_b32_e32 v41, s17
	v_add_co_u32_e64 v42, s[6:7], s16, v20
	v_addc_co_u32_e64 v43, s[6:7], v21, v41, s[6:7]
	global_load_ubyte v42, v[42:43], off
.LBB122_16:                             ;   in Loop: Header=BB122_4 Depth=1
	s_or_b64 exec, exec, s[8:9]
	v_mov_b32_e32 v41, s17
	v_add_co_u32_e64 v44, s[6:7], s16, v14
	v_addc_co_u32_e64 v45, s[6:7], v15, v41, s[6:7]
	v_cmp_gt_u64_e64 s[6:7], s[14:15], v[44:45]
	v_mov_b32_e32 v41, 0
	s_and_saveexec_b64 s[18:19], s[6:7]
	s_cbranch_execnz .LBB122_22
; %bb.17:                               ;   in Loop: Header=BB122_4 Depth=1
	s_or_b64 exec, exec, s[18:19]
	v_mov_b32_e32 v43, 0
	s_and_saveexec_b64 s[18:19], s[6:7]
	s_cbranch_execnz .LBB122_23
.LBB122_18:                             ;   in Loop: Header=BB122_4 Depth=1
	s_or_b64 exec, exec, s[18:19]
	s_and_saveexec_b64 s[8:9], vcc
	s_cbranch_execnz .LBB122_24
.LBB122_19:                             ;   in Loop: Header=BB122_4 Depth=1
	s_or_b64 exec, exec, s[8:9]
	s_and_saveexec_b64 s[8:9], s[0:1]
	s_cbranch_execnz .LBB122_25
.LBB122_20:                             ;   in Loop: Header=BB122_4 Depth=1
	s_or_b64 exec, exec, s[8:9]
	s_and_saveexec_b64 s[0:1], s[2:3]
	s_cbranch_execnz .LBB122_26
.LBB122_21:                             ;   in Loop: Header=BB122_4 Depth=1
	s_or_b64 exec, exec, s[0:1]
	s_and_saveexec_b64 s[0:1], s[6:7]
	s_cbranch_execz .LBB122_3
	s_branch .LBB122_27
.LBB122_22:                             ;   in Loop: Header=BB122_4 Depth=1
	v_mov_b32_e32 v35, s17
	v_add_co_u32_e64 v44, s[8:9], s16, v10
	v_addc_co_u32_e64 v45, s[8:9], v11, v35, s[8:9]
	v_add_co_u32_e64 v46, s[8:9], s16, v8
	v_addc_co_u32_e64 v47, s[8:9], v9, v35, s[8:9]
	global_load_ubyte v35, v[46:47], off
	global_load_ubyte v41, v[44:45], off
	s_or_b64 exec, exec, s[18:19]
	v_mov_b32_e32 v43, 0
	s_and_saveexec_b64 s[18:19], s[6:7]
	s_cbranch_execz .LBB122_18
.LBB122_23:                             ;   in Loop: Header=BB122_4 Depth=1
	v_mov_b32_e32 v43, s17
	v_add_co_u32_e64 v44, s[8:9], s16, v12
	v_addc_co_u32_e64 v45, s[8:9], v13, v43, s[8:9]
	global_load_ubyte v43, v[44:45], off
	s_or_b64 exec, exec, s[18:19]
	s_and_saveexec_b64 s[8:9], vcc
	s_cbranch_execz .LBB122_19
.LBB122_24:                             ;   in Loop: Header=BB122_4 Depth=1
	s_waitcnt vmcnt(0)
	v_cvt_f32_i32_sdwa v44, sext(v38) dst_sel:DWORD dst_unused:UNUSED_PAD src0_sel:BYTE_0
	v_xor_b32_sdwa v38, sext(v36), sext(v38) dst_sel:DWORD dst_unused:UNUSED_PAD src0_sel:BYTE_0 src1_sel:BYTE_0
	v_cvt_f32_i32_sdwa v36, sext(v36) dst_sel:DWORD dst_unused:UNUSED_PAD src0_sel:BYTE_0
	v_ashrrev_i32_e32 v38, 30, v38
	v_rcp_iflag_f32_e32 v45, v44
	v_or_b32_e32 v38, 1, v38
	v_mov_b32_e32 v46, s17
	v_mul_f32_e32 v45, v36, v45
	v_trunc_f32_e32 v45, v45
	v_cvt_i32_f32_e32 v47, v45
	v_mad_f32 v36, -v45, v44, v36
	v_cmp_ge_f32_e64 vcc, |v36|, |v44|
	v_cndmask_b32_e32 v36, 0, v38, vcc
	v_add_u32_e32 v36, v47, v36
	v_add_co_u32_e32 v44, vcc, s16, v1
	v_mad_legacy_u16 v33, v2, v36, v33
	v_addc_co_u32_e32 v45, vcc, v3, v46, vcc
	global_store_byte v[44:45], v33, off
	s_or_b64 exec, exec, s[8:9]
	s_and_saveexec_b64 s[8:9], s[0:1]
	s_cbranch_execz .LBB122_20
.LBB122_25:                             ;   in Loop: Header=BB122_4 Depth=1
	s_waitcnt vmcnt(0)
	v_cvt_f32_i32_sdwa v33, sext(v40) dst_sel:DWORD dst_unused:UNUSED_PAD src0_sel:BYTE_0
	v_xor_b32_sdwa v36, sext(v37), sext(v40) dst_sel:DWORD dst_unused:UNUSED_PAD src0_sel:BYTE_0 src1_sel:BYTE_0
	v_cvt_f32_i32_sdwa v37, sext(v37) dst_sel:DWORD dst_unused:UNUSED_PAD src0_sel:BYTE_0
	v_ashrrev_i32_e32 v36, 30, v36
	v_rcp_iflag_f32_e32 v38, v33
	v_or_b32_e32 v36, 1, v36
	v_mov_b32_e32 v40, s17
	v_mul_f32_e32 v38, v37, v38
	v_trunc_f32_e32 v38, v38
	v_cvt_i32_f32_e32 v44, v38
	v_mad_f32 v37, -v38, v33, v37
	v_cmp_ge_f32_e64 vcc, |v37|, |v33|
	v_cndmask_b32_e32 v33, 0, v36, vcc
	v_add_u32_e32 v33, v44, v33
	v_mad_legacy_u16 v36, v2, v33, v32
	v_add_co_u32_e32 v32, vcc, s16, v24
	v_addc_co_u32_e32 v33, vcc, v25, v40, vcc
	global_store_byte v[32:33], v36, off
	s_or_b64 exec, exec, s[8:9]
	s_and_saveexec_b64 s[0:1], s[2:3]
	s_cbranch_execz .LBB122_21
.LBB122_26:                             ;   in Loop: Header=BB122_4 Depth=1
	s_waitcnt vmcnt(0)
	v_cvt_f32_i32_sdwa v32, sext(v42) dst_sel:DWORD dst_unused:UNUSED_PAD src0_sel:BYTE_0
	v_cvt_f32_i32_sdwa v36, sext(v39) dst_sel:DWORD dst_unused:UNUSED_PAD src0_sel:BYTE_0
	v_xor_b32_sdwa v33, sext(v39), sext(v42) dst_sel:DWORD dst_unused:UNUSED_PAD src0_sel:BYTE_0 src1_sel:BYTE_0
	v_ashrrev_i32_e32 v33, 30, v33
	v_rcp_iflag_f32_e32 v37, v32
	v_or_b32_e32 v33, 1, v33
	v_mov_b32_e32 v38, s17
	v_mul_f32_e32 v37, v36, v37
	v_trunc_f32_e32 v37, v37
	v_cvt_i32_f32_e32 v39, v37
	v_mad_f32 v36, -v37, v32, v36
	v_cmp_ge_f32_e64 vcc, |v36|, |v32|
	v_cndmask_b32_e32 v32, 0, v33, vcc
	v_add_u32_e32 v32, v39, v32
	v_mad_legacy_u16 v34, v2, v32, v34
	v_add_co_u32_e32 v32, vcc, s16, v16
	v_addc_co_u32_e32 v33, vcc, v17, v38, vcc
	global_store_byte v[32:33], v34, off
	s_or_b64 exec, exec, s[0:1]
	s_and_saveexec_b64 s[0:1], s[6:7]
	s_cbranch_execz .LBB122_3
.LBB122_27:                             ;   in Loop: Header=BB122_4 Depth=1
	s_waitcnt vmcnt(0)
	v_cvt_f32_i32_sdwa v32, sext(v43) dst_sel:DWORD dst_unused:UNUSED_PAD src0_sel:BYTE_0
	v_cvt_f32_i32_sdwa v34, sext(v41) dst_sel:DWORD dst_unused:UNUSED_PAD src0_sel:BYTE_0
	v_xor_b32_sdwa v33, sext(v41), sext(v43) dst_sel:DWORD dst_unused:UNUSED_PAD src0_sel:BYTE_0 src1_sel:BYTE_0
	v_ashrrev_i32_e32 v33, 30, v33
	v_rcp_iflag_f32_e32 v36, v32
	v_or_b32_e32 v33, 1, v33
	v_mov_b32_e32 v37, s17
	v_mul_f32_e32 v36, v34, v36
	v_trunc_f32_e32 v36, v36
	v_cvt_i32_f32_e32 v38, v36
	v_mad_f32 v34, -v36, v32, v34
	v_cmp_ge_f32_e64 vcc, |v34|, |v32|
	v_cndmask_b32_e32 v32, 0, v33, vcc
	v_add_u32_e32 v32, v38, v32
	v_mad_legacy_u16 v34, v2, v32, v35
	v_add_co_u32_e32 v32, vcc, s16, v8
	v_addc_co_u32_e32 v33, vcc, v9, v37, vcc
	global_store_byte v[32:33], v34, off
	s_branch .LBB122_3
.LBB122_28:
	s_mov_b64 s[14:15], 0
.LBB122_29:
	s_andn2_b64 vcc, exec, s[14:15]
	s_cbranch_vccnz .LBB122_33
; %bb.30:
	v_lshlrev_b32_e32 v0, 2, v0
	v_mov_b32_e32 v1, 0
	v_cmp_gt_i64_e32 vcc, s[12:13], v[0:1]
	s_and_saveexec_b64 s[0:1], vcc
	s_cbranch_execz .LBB122_33
; %bb.31:
	s_load_dword s0, s[4:5], 0xc84
	s_mov_b32 s1, 0
	s_mov_b64 s[2:3], 0
	v_mov_b32_e32 v3, s11
	v_mov_b32_e32 v4, s23
	s_waitcnt lgkmcnt(0)
	s_and_b32 s0, s0, 0xffff
	s_lshl_b32 s6, s0, 2
	v_mov_b32_e32 v5, s22
	s_mov_b32 s7, 0x6050400
	v_mov_b32_e32 v6, s1
	s_mov_b64 s[4:5], 0xffff
.LBB122_32:                             ; =>This Inner Loop Header: Depth=1
	v_add_co_u32_e32 v8, vcc, s10, v0
	v_addc_co_u32_e32 v9, vcc, v3, v1, vcc
	v_add_co_u32_e32 v10, vcc, s20, v0
	v_addc_co_u32_e32 v11, vcc, v4, v1, vcc
	;; [unrolled: 2-line block ×3, first 2 shown]
	global_load_dword v7, v[10:11], off
	global_load_dword v14, v[12:13], off
	;; [unrolled: 1-line block ×3, first 2 shown]
	v_add_co_u32_e32 v0, vcc, s6, v0
	v_addc_co_u32_e32 v1, vcc, v6, v1, vcc
	v_cmp_le_i64_e32 vcc, s[12:13], v[0:1]
	v_cmp_lt_u64_e64 s[0:1], s[4:5], v[0:1]
	s_or_b64 s[0:1], vcc, s[0:1]
	s_and_b64 s[0:1], exec, s[0:1]
	s_or_b64 s[2:3], s[0:1], s[2:3]
	s_waitcnt vmcnt(2)
	v_cvt_f32_i32_sdwa v11, sext(v7) dst_sel:DWORD dst_unused:UNUSED_PAD src0_sel:BYTE_0
	s_waitcnt vmcnt(1)
	v_cvt_f32_i32_sdwa v12, sext(v14) dst_sel:DWORD dst_unused:UNUSED_PAD src0_sel:BYTE_0
	v_cvt_f32_i32_sdwa v18, sext(v14) dst_sel:DWORD dst_unused:UNUSED_PAD src0_sel:BYTE_1
	v_cvt_f32_i32_sdwa v22, sext(v14) dst_sel:DWORD dst_unused:UNUSED_PAD src0_sel:BYTE_2
	v_xor_b32_sdwa v10, sext(v7), sext(v14) dst_sel:DWORD dst_unused:UNUSED_PAD src0_sel:BYTE_0 src1_sel:BYTE_0
	v_xor_b32_sdwa v16, sext(v7), sext(v14) dst_sel:DWORD dst_unused:UNUSED_PAD src0_sel:BYTE_1 src1_sel:BYTE_1
	v_xor_b32_sdwa v20, sext(v7), sext(v14) dst_sel:DWORD dst_unused:UNUSED_PAD src0_sel:BYTE_2 src1_sel:BYTE_2
	v_xor_b32_sdwa v24, sext(v7), sext(v14) dst_sel:DWORD dst_unused:UNUSED_PAD src0_sel:BYTE_3 src1_sel:BYTE_3
	v_cvt_f32_i32_sdwa v14, sext(v14) dst_sel:DWORD dst_unused:UNUSED_PAD src0_sel:BYTE_3
	v_rcp_iflag_f32_e32 v25, v12
	v_cvt_f32_i32_sdwa v17, sext(v7) dst_sel:DWORD dst_unused:UNUSED_PAD src0_sel:BYTE_1
	v_cvt_f32_i32_sdwa v21, sext(v7) dst_sel:DWORD dst_unused:UNUSED_PAD src0_sel:BYTE_2
	v_rcp_iflag_f32_e32 v26, v18
	v_rcp_iflag_f32_e32 v27, v22
	v_cvt_f32_i32_sdwa v7, sext(v7) dst_sel:DWORD dst_unused:UNUSED_PAD src0_sel:BYTE_3
	v_rcp_iflag_f32_e32 v28, v14
	v_mul_f32_e32 v25, v11, v25
	v_mul_f32_e32 v26, v17, v26
	;; [unrolled: 1-line block ×3, first 2 shown]
	v_trunc_f32_e32 v25, v25
	v_ashrrev_i32_e32 v10, 30, v10
	v_mul_f32_e32 v28, v7, v28
	v_trunc_f32_e32 v26, v26
	v_trunc_f32_e32 v27, v27
	v_mad_f32 v11, -v25, v12, v11
	v_ashrrev_i32_e32 v16, 30, v16
	v_or_b32_e32 v10, 1, v10
	v_trunc_f32_e32 v28, v28
	v_mad_f32 v17, -v26, v18, v17
	v_cvt_i32_f32_e32 v26, v26
	v_mad_f32 v21, -v27, v22, v21
	v_cvt_i32_f32_e32 v27, v27
	v_cmp_ge_f32_e64 vcc, |v11|, |v12|
	v_ashrrev_i32_e32 v20, 30, v20
	v_or_b32_e32 v16, 1, v16
	v_cvt_i32_f32_e32 v25, v25
	v_mad_f32 v7, -v28, v14, v7
	v_cvt_i32_f32_e32 v28, v28
	v_cndmask_b32_e32 v10, 0, v10, vcc
	v_cmp_ge_f32_e64 vcc, |v17|, |v18|
	v_ashrrev_i32_e32 v24, 30, v24
	v_or_b32_e32 v20, 1, v20
	v_cndmask_b32_e32 v11, 0, v16, vcc
	v_cmp_ge_f32_e64 vcc, |v21|, |v22|
	v_or_b32_e32 v24, 1, v24
	v_cndmask_b32_e32 v12, 0, v20, vcc
	v_cmp_ge_f32_e64 vcc, |v7|, |v14|
	s_waitcnt vmcnt(0)
	v_lshrrev_b32_e32 v13, 8, v15
	v_lshrrev_b32_e32 v19, 16, v15
	v_cndmask_b32_e32 v7, 0, v24, vcc
	v_add_u32_e32 v11, v26, v11
	v_add_u32_e32 v12, v27, v12
	v_lshrrev_b32_e32 v23, 24, v15
	v_add_u32_e32 v10, v25, v10
	v_add_u32_e32 v7, v28, v7
	v_mad_legacy_u16 v11, v2, v11, v13
	v_mad_legacy_u16 v12, v2, v12, v19
	;; [unrolled: 1-line block ×4, first 2 shown]
	v_and_b32_e32 v11, 0xff, v11
	v_and_b32_e32 v12, 0xff, v12
	v_lshlrev_b32_e32 v7, 24, v7
	v_perm_b32 v10, v11, v10, s7
	v_lshlrev_b32_e32 v11, 16, v12
	v_or3_b32 v7, v10, v11, v7
	global_store_dword v[8:9], v7, off
	s_andn2_b64 exec, exec, s[2:3]
	s_cbranch_execnz .LBB122_32
.LBB122_33:
	s_endpgm
	.section	.rodata,"a",@progbits
	.p2align	6, 0x0
	.amdhsa_kernel _ZN2at6native12_GLOBAL__N_125multi_tensor_apply_kernelINS1_28TensorListScalarListMetadataIaLi3EEENS1_28PointwiseOpScalarListFunctorIaLi3ELi3ELi0EEEJSt7dividesIaEEEEvT_T0_DpT1_
		.amdhsa_group_segment_fixed_size 0
		.amdhsa_private_segment_fixed_size 0
		.amdhsa_kernarg_size 3448
		.amdhsa_user_sgpr_count 6
		.amdhsa_user_sgpr_private_segment_buffer 1
		.amdhsa_user_sgpr_dispatch_ptr 0
		.amdhsa_user_sgpr_queue_ptr 0
		.amdhsa_user_sgpr_kernarg_segment_ptr 1
		.amdhsa_user_sgpr_dispatch_id 0
		.amdhsa_user_sgpr_flat_scratch_init 0
		.amdhsa_user_sgpr_kernarg_preload_length 0
		.amdhsa_user_sgpr_kernarg_preload_offset 0
		.amdhsa_user_sgpr_private_segment_size 0
		.amdhsa_uses_dynamic_stack 0
		.amdhsa_system_sgpr_private_segment_wavefront_offset 0
		.amdhsa_system_sgpr_workgroup_id_x 1
		.amdhsa_system_sgpr_workgroup_id_y 0
		.amdhsa_system_sgpr_workgroup_id_z 0
		.amdhsa_system_sgpr_workgroup_info 0
		.amdhsa_system_vgpr_workitem_id 0
		.amdhsa_next_free_vgpr 48
		.amdhsa_next_free_sgpr 25
		.amdhsa_accum_offset 48
		.amdhsa_reserve_vcc 1
		.amdhsa_reserve_flat_scratch 0
		.amdhsa_float_round_mode_32 0
		.amdhsa_float_round_mode_16_64 0
		.amdhsa_float_denorm_mode_32 3
		.amdhsa_float_denorm_mode_16_64 3
		.amdhsa_dx10_clamp 1
		.amdhsa_ieee_mode 1
		.amdhsa_fp16_overflow 0
		.amdhsa_tg_split 0
		.amdhsa_exception_fp_ieee_invalid_op 0
		.amdhsa_exception_fp_denorm_src 0
		.amdhsa_exception_fp_ieee_div_zero 0
		.amdhsa_exception_fp_ieee_overflow 0
		.amdhsa_exception_fp_ieee_underflow 0
		.amdhsa_exception_fp_ieee_inexact 0
		.amdhsa_exception_int_div_zero 0
	.end_amdhsa_kernel
	.section	.text._ZN2at6native12_GLOBAL__N_125multi_tensor_apply_kernelINS1_28TensorListScalarListMetadataIaLi3EEENS1_28PointwiseOpScalarListFunctorIaLi3ELi3ELi0EEEJSt7dividesIaEEEEvT_T0_DpT1_,"axG",@progbits,_ZN2at6native12_GLOBAL__N_125multi_tensor_apply_kernelINS1_28TensorListScalarListMetadataIaLi3EEENS1_28PointwiseOpScalarListFunctorIaLi3ELi3ELi0EEEJSt7dividesIaEEEEvT_T0_DpT1_,comdat
.Lfunc_end122:
	.size	_ZN2at6native12_GLOBAL__N_125multi_tensor_apply_kernelINS1_28TensorListScalarListMetadataIaLi3EEENS1_28PointwiseOpScalarListFunctorIaLi3ELi3ELi0EEEJSt7dividesIaEEEEvT_T0_DpT1_, .Lfunc_end122-_ZN2at6native12_GLOBAL__N_125multi_tensor_apply_kernelINS1_28TensorListScalarListMetadataIaLi3EEENS1_28PointwiseOpScalarListFunctorIaLi3ELi3ELi0EEEJSt7dividesIaEEEEvT_T0_DpT1_
                                        ; -- End function
	.section	.AMDGPU.csdata,"",@progbits
; Kernel info:
; codeLenInByte = 2240
; NumSgprs: 29
; NumVgprs: 48
; NumAgprs: 0
; TotalNumVgprs: 48
; ScratchSize: 0
; MemoryBound: 0
; FloatMode: 240
; IeeeMode: 1
; LDSByteSize: 0 bytes/workgroup (compile time only)
; SGPRBlocks: 3
; VGPRBlocks: 5
; NumSGPRsForWavesPerEU: 29
; NumVGPRsForWavesPerEU: 48
; AccumOffset: 48
; Occupancy: 8
; WaveLimiterHint : 0
; COMPUTE_PGM_RSRC2:SCRATCH_EN: 0
; COMPUTE_PGM_RSRC2:USER_SGPR: 6
; COMPUTE_PGM_RSRC2:TRAP_HANDLER: 0
; COMPUTE_PGM_RSRC2:TGID_X_EN: 1
; COMPUTE_PGM_RSRC2:TGID_Y_EN: 0
; COMPUTE_PGM_RSRC2:TGID_Z_EN: 0
; COMPUTE_PGM_RSRC2:TIDIG_COMP_CNT: 0
; COMPUTE_PGM_RSRC3_GFX90A:ACCUM_OFFSET: 11
; COMPUTE_PGM_RSRC3_GFX90A:TG_SPLIT: 0
	.section	.text._ZN2at6native12_GLOBAL__N_125multi_tensor_apply_kernelINS1_28TensorListScalarListMetadataIiLi3EEENS1_28PointwiseOpScalarListFunctorIiLi3ELi3ELi0EEEJSt7dividesIiEEEEvT_T0_DpT1_,"axG",@progbits,_ZN2at6native12_GLOBAL__N_125multi_tensor_apply_kernelINS1_28TensorListScalarListMetadataIiLi3EEENS1_28PointwiseOpScalarListFunctorIiLi3ELi3ELi0EEEJSt7dividesIiEEEEvT_T0_DpT1_,comdat
	.globl	_ZN2at6native12_GLOBAL__N_125multi_tensor_apply_kernelINS1_28TensorListScalarListMetadataIiLi3EEENS1_28PointwiseOpScalarListFunctorIiLi3ELi3ELi0EEEJSt7dividesIiEEEEvT_T0_DpT1_ ; -- Begin function _ZN2at6native12_GLOBAL__N_125multi_tensor_apply_kernelINS1_28TensorListScalarListMetadataIiLi3EEENS1_28PointwiseOpScalarListFunctorIiLi3ELi3ELi0EEEJSt7dividesIiEEEEvT_T0_DpT1_
	.p2align	8
	.type	_ZN2at6native12_GLOBAL__N_125multi_tensor_apply_kernelINS1_28TensorListScalarListMetadataIiLi3EEENS1_28PointwiseOpScalarListFunctorIiLi3ELi3ELi0EEEJSt7dividesIiEEEEvT_T0_DpT1_,@function
_ZN2at6native12_GLOBAL__N_125multi_tensor_apply_kernelINS1_28TensorListScalarListMetadataIiLi3EEENS1_28PointwiseOpScalarListFunctorIiLi3ELi3ELi0EEEJSt7dividesIiEEEEvT_T0_DpT1_: ; @_ZN2at6native12_GLOBAL__N_125multi_tensor_apply_kernelINS1_28TensorListScalarListMetadataIiLi3EEENS1_28PointwiseOpScalarListFunctorIiLi3ELi3ELi0EEEJSt7dividesIiEEEEvT_T0_DpT1_
; %bb.0:
	v_mov_b32_e32 v1, s6
	global_load_ubyte v1, v1, s[4:5] offset:1728
	s_add_u32 s0, s4, s6
	s_mul_i32 s1, s6, 3
	s_addc_u32 s2, s5, 0
	s_mul_hi_u32 s3, s6, 3
	s_add_u32 s0, s0, s1
	s_addc_u32 s1, s2, s3
	s_load_dword s0, s[0:1], 0x800
	s_mov_b32 s3, 0
	s_waitcnt lgkmcnt(0)
	s_ashr_i32 s1, s0, 31
	s_waitcnt vmcnt(0)
	v_readfirstlane_b32 s2, v1
	s_lshl_b32 s2, s2, 3
	s_add_u32 s8, s4, s2
	s_load_dwordx2 s[16:17], s[4:5], s2 offset:0x0
	s_load_dwordx2 s[14:15], s[4:5], s2 offset:0x180
	;; [unrolled: 1-line block ×4, first 2 shown]
	v_lshlrev_b32_e32 v1, 2, v1
	s_addc_u32 s2, s5, 0
	v_mov_b32_e32 v3, s2
	v_sub_co_u32_e32 v2, vcc, s8, v1
	s_lshl_b64 s[18:19], s[0:1], 18
	v_subbrev_co_u32_e32 v1, vcc, 0, v3, vcc
	v_readfirstlane_b32 s8, v2
	v_readfirstlane_b32 s9, v1
	s_waitcnt lgkmcnt(0)
	s_add_u32 s12, s14, s18
	s_load_dword s26, s[8:9], 0x600
	s_or_b32 s8, s10, s12
	s_and_b32 s2, s16, 15
	s_and_b32 s8, s8, 15
	s_cmp_eq_u32 s8, 0
	s_cselect_b64 s[8:9], -1, 0
	s_lshl_b64 s[0:1], s[0:1], 16
	s_sub_u32 s12, s6, s0
	s_subb_u32 s13, s7, s1
	s_and_b32 s0, s6, 3
	s_or_b32 s2, s2, s0
	s_cmp_eq_u64 s[2:3], 0
	s_cselect_b64 s[0:1], -1, 0
	s_and_b64 s[2:3], s[8:9], s[0:1]
	s_mov_b64 s[0:1], -1
	s_and_b64 vcc, exec, s[2:3]
	s_cbranch_vccnz .LBB123_29
; %bb.1:
	v_cmp_lt_i64_e64 s[0:1], s[12:13], 1
	s_and_b64 vcc, exec, s[0:1]
	s_cbranch_vccnz .LBB123_28
; %bb.2:
	s_load_dword s0, s[4:5], 0xd14
	v_mov_b32_e32 v2, 0x10000
	v_mov_b32_e32 v3, 0
	v_cmp_lt_u64_e32 vcc, s[12:13], v[2:3]
	v_lshlrev_b32_e32 v14, 2, v0
	s_waitcnt lgkmcnt(0)
	s_and_b32 s2, s0, 0xffff
	s_and_b64 s[0:1], vcc, exec
	v_mov_b32_e32 v19, s17
	v_add_co_u32_e32 v2, vcc, s16, v14
	v_addc_co_u32_e32 v1, vcc, 0, v19, vcc
	v_mov_b32_e32 v21, s15
	v_add_co_u32_e32 v4, vcc, s14, v14
	v_addc_co_u32_e32 v3, vcc, 0, v21, vcc
	v_mov_b32_e32 v15, 0
	v_mov_b32_e32 v23, s11
	v_add_co_u32_e32 v6, vcc, s10, v14
	v_addc_co_u32_e32 v5, vcc, 0, v23, vcc
	v_mad_u64_u32 v[12:13], s[0:1], s2, 12, v[14:15]
	v_add_co_u32_e32 v8, vcc, s16, v12
	v_addc_co_u32_e32 v7, vcc, v19, v13, vcc
	v_add_co_u32_e32 v10, vcc, s14, v12
	v_addc_co_u32_e32 v9, vcc, v21, v13, vcc
	v_add_co_u32_e32 v12, vcc, s10, v12
	s_mul_i32 s6, s2, 3
	v_addc_co_u32_e32 v11, vcc, v23, v13, vcc
	v_add_co_u32_e32 v25, vcc, s6, v0
	v_addc_co_u32_e64 v27, s[0:1], 0, 0, vcc
	s_cselect_b32 s21, s13, 0
	s_cselect_b32 s20, s12, 0x10000
	s_lshl_b32 s0, s2, 3
	v_add_co_u32_e32 v17, vcc, s0, v14
	v_addc_co_u32_e64 v20, s[0:1], 0, 0, vcc
	v_add_co_u32_e32 v14, vcc, s16, v17
	v_addc_co_u32_e32 v13, vcc, v19, v20, vcc
	v_add_co_u32_e32 v16, vcc, s14, v17
	v_addc_co_u32_e32 v15, vcc, v21, v20, vcc
	v_add_co_u32_e32 v18, vcc, s10, v17
	s_lshl_b32 s3, s2, 1
	v_addc_co_u32_e32 v17, vcc, v23, v20, vcc
	v_add_co_u32_e32 v29, vcc, s3, v0
	v_addc_co_u32_e64 v31, s[0:1], 0, 0, vcc
	v_add_co_u32_e32 v33, vcc, s2, v0
	v_lshlrev_b32_e32 v24, 2, v33
	v_addc_co_u32_e64 v34, s[0:1], 0, 0, vcc
	v_add_co_u32_e32 v20, vcc, s16, v24
	v_addc_co_u32_e32 v19, vcc, 0, v19, vcc
	v_add_co_u32_e32 v22, vcc, s14, v24
	v_addc_co_u32_e32 v21, vcc, 0, v21, vcc
	v_add_co_u32_e32 v24, vcc, s10, v24
	s_mov_b32 s27, 0
	s_lshl_b32 s28, s2, 2
	s_lshl_b32 s29, s2, 4
	v_addc_co_u32_e32 v23, vcc, 0, v23, vcc
	s_mov_b64 s[22:23], 0
	s_branch .LBB123_4
.LBB123_3:                              ;   in Loop: Header=BB123_4 Depth=1
	s_or_b64 exec, exec, s[0:1]
	s_add_u32 s22, s22, s28
	s_addc_u32 s23, s23, 0
	s_waitcnt vmcnt(0)
	v_pk_mov_b32 v[36:37], s[12:13], s[12:13] op_sel:[0,1]
	v_cmp_lt_i64_e32 vcc, s[22:23], v[36:37]
	v_mov_b32_e32 v36, 0x10000
	v_mov_b32_e32 v37, 0
	v_cmp_lt_u64_e64 s[0:1], s[22:23], v[36:37]
	s_and_b64 s[0:1], vcc, s[0:1]
	v_mov_b32_e32 v26, s27
	v_add_co_u32_e32 v2, vcc, s29, v2
	v_addc_co_u32_e32 v1, vcc, v1, v26, vcc
	v_add_co_u32_e32 v4, vcc, s29, v4
	v_addc_co_u32_e32 v3, vcc, v3, v26, vcc
	;; [unrolled: 2-line block ×12, first 2 shown]
	s_and_b64 vcc, exec, s[0:1]
	s_cbranch_vccz .LBB123_28
.LBB123_4:                              ; =>This Inner Loop Header: Depth=1
	v_mov_b32_e32 v26, s23
	v_add_co_u32_e32 v36, vcc, s22, v0
	v_addc_co_u32_e32 v37, vcc, 0, v26, vcc
	v_cmp_gt_u64_e32 vcc, s[20:21], v[36:37]
	v_mov_b32_e32 v32, 0
	v_mov_b32_e32 v35, 0
	s_and_saveexec_b64 s[2:3], vcc
	s_cbranch_execz .LBB123_6
; %bb.5:                                ;   in Loop: Header=BB123_4 Depth=1
	v_mov_b32_e32 v26, s19
	v_add_co_u32_e64 v36, s[0:1], s18, v2
	v_addc_co_u32_e64 v37, s[0:1], v1, v26, s[0:1]
	v_add_co_u32_e64 v38, s[0:1], s18, v4
	v_addc_co_u32_e64 v39, s[0:1], v3, v26, s[0:1]
	global_load_dword v32, v[36:37], off
	global_load_dword v35, v[38:39], off
.LBB123_6:                              ;   in Loop: Header=BB123_4 Depth=1
	s_or_b64 exec, exec, s[2:3]
	v_mov_b32_e32 v26, 0
	v_mov_b32_e32 v39, 0
	s_and_saveexec_b64 s[2:3], vcc
	s_cbranch_execz .LBB123_8
; %bb.7:                                ;   in Loop: Header=BB123_4 Depth=1
	v_mov_b32_e32 v28, s19
	v_add_co_u32_e64 v36, s[0:1], s18, v6
	v_addc_co_u32_e64 v37, s[0:1], v5, v28, s[0:1]
	global_load_dword v39, v[36:37], off
.LBB123_8:                              ;   in Loop: Header=BB123_4 Depth=1
	s_or_b64 exec, exec, s[2:3]
	v_mov_b32_e32 v28, s23
	v_add_co_u32_e64 v36, s[0:1], s22, v33
	v_addc_co_u32_e64 v37, s[0:1], v34, v28, s[0:1]
	v_cmp_gt_u64_e64 s[0:1], s[20:21], v[36:37]
	v_mov_b32_e32 v36, 0
	s_and_saveexec_b64 s[6:7], s[0:1]
	s_cbranch_execz .LBB123_10
; %bb.9:                                ;   in Loop: Header=BB123_4 Depth=1
	v_mov_b32_e32 v26, s19
	v_add_co_u32_e64 v40, s[2:3], s18, v20
	v_addc_co_u32_e64 v41, s[2:3], v19, v26, s[2:3]
	v_add_co_u32_e64 v42, s[2:3], s18, v22
	v_addc_co_u32_e64 v43, s[2:3], v21, v26, s[2:3]
	global_load_dword v26, v[40:41], off
	global_load_dword v36, v[42:43], off
.LBB123_10:                             ;   in Loop: Header=BB123_4 Depth=1
	s_or_b64 exec, exec, s[6:7]
	v_mov_b32_e32 v28, 0
	v_mov_b32_e32 v40, 0
	s_and_saveexec_b64 s[6:7], s[0:1]
	s_cbranch_execz .LBB123_12
; %bb.11:                               ;   in Loop: Header=BB123_4 Depth=1
	v_mov_b32_e32 v30, s19
	v_add_co_u32_e64 v40, s[2:3], s18, v24
	v_addc_co_u32_e64 v41, s[2:3], v23, v30, s[2:3]
	global_load_dword v40, v[40:41], off
.LBB123_12:                             ;   in Loop: Header=BB123_4 Depth=1
	s_or_b64 exec, exec, s[6:7]
	v_mov_b32_e32 v30, s23
	v_add_co_u32_e64 v42, s[2:3], s22, v29
	v_addc_co_u32_e64 v43, s[2:3], v31, v30, s[2:3]
	v_cmp_gt_u64_e64 s[2:3], s[20:21], v[42:43]
	v_mov_b32_e32 v37, 0
	s_and_saveexec_b64 s[8:9], s[2:3]
	s_cbranch_execz .LBB123_14
; %bb.13:                               ;   in Loop: Header=BB123_4 Depth=1
	v_mov_b32_e32 v28, s19
	v_add_co_u32_e64 v42, s[6:7], s18, v14
	v_addc_co_u32_e64 v43, s[6:7], v13, v28, s[6:7]
	v_add_co_u32_e64 v44, s[6:7], s18, v16
	v_addc_co_u32_e64 v45, s[6:7], v15, v28, s[6:7]
	global_load_dword v28, v[42:43], off
	global_load_dword v37, v[44:45], off
.LBB123_14:                             ;   in Loop: Header=BB123_4 Depth=1
	s_or_b64 exec, exec, s[8:9]
	v_mov_b32_e32 v30, 0
	v_mov_b32_e32 v41, 0
	s_and_saveexec_b64 s[8:9], s[2:3]
	s_cbranch_execz .LBB123_16
; %bb.15:                               ;   in Loop: Header=BB123_4 Depth=1
	v_mov_b32_e32 v38, s19
	v_add_co_u32_e64 v42, s[6:7], s18, v18
	v_addc_co_u32_e64 v43, s[6:7], v17, v38, s[6:7]
	global_load_dword v41, v[42:43], off
.LBB123_16:                             ;   in Loop: Header=BB123_4 Depth=1
	s_or_b64 exec, exec, s[8:9]
	v_mov_b32_e32 v38, s23
	v_add_co_u32_e64 v42, s[6:7], s22, v25
	v_addc_co_u32_e64 v43, s[6:7], v27, v38, s[6:7]
	v_cmp_gt_u64_e64 s[6:7], s[20:21], v[42:43]
	v_mov_b32_e32 v38, 0
	s_and_saveexec_b64 s[24:25], s[6:7]
	s_cbranch_execnz .LBB123_22
; %bb.17:                               ;   in Loop: Header=BB123_4 Depth=1
	s_or_b64 exec, exec, s[24:25]
	v_mov_b32_e32 v42, 0
	s_and_saveexec_b64 s[24:25], s[6:7]
	s_cbranch_execnz .LBB123_23
.LBB123_18:                             ;   in Loop: Header=BB123_4 Depth=1
	s_or_b64 exec, exec, s[24:25]
	s_and_saveexec_b64 s[8:9], vcc
	s_cbranch_execnz .LBB123_24
.LBB123_19:                             ;   in Loop: Header=BB123_4 Depth=1
	s_or_b64 exec, exec, s[8:9]
	s_and_saveexec_b64 s[8:9], s[0:1]
	s_cbranch_execnz .LBB123_25
.LBB123_20:                             ;   in Loop: Header=BB123_4 Depth=1
	s_or_b64 exec, exec, s[8:9]
	s_and_saveexec_b64 s[0:1], s[2:3]
	s_cbranch_execnz .LBB123_26
.LBB123_21:                             ;   in Loop: Header=BB123_4 Depth=1
	s_or_b64 exec, exec, s[0:1]
	s_and_saveexec_b64 s[0:1], s[6:7]
	s_cbranch_execz .LBB123_3
	s_branch .LBB123_27
.LBB123_22:                             ;   in Loop: Header=BB123_4 Depth=1
	v_mov_b32_e32 v30, s19
	v_add_co_u32_e64 v42, s[8:9], s18, v8
	v_addc_co_u32_e64 v43, s[8:9], v7, v30, s[8:9]
	v_add_co_u32_e64 v44, s[8:9], s18, v10
	v_addc_co_u32_e64 v45, s[8:9], v9, v30, s[8:9]
	global_load_dword v30, v[42:43], off
	global_load_dword v38, v[44:45], off
	s_or_b64 exec, exec, s[24:25]
	v_mov_b32_e32 v42, 0
	s_and_saveexec_b64 s[24:25], s[6:7]
	s_cbranch_execz .LBB123_18
.LBB123_23:                             ;   in Loop: Header=BB123_4 Depth=1
	v_mov_b32_e32 v43, s19
	v_add_co_u32_e64 v42, s[8:9], s18, v12
	v_addc_co_u32_e64 v43, s[8:9], v11, v43, s[8:9]
	global_load_dword v42, v[42:43], off
	s_or_b64 exec, exec, s[24:25]
	s_and_saveexec_b64 s[8:9], vcc
	s_cbranch_execz .LBB123_19
.LBB123_24:                             ;   in Loop: Header=BB123_4 Depth=1
	s_waitcnt vmcnt(0)
	v_sub_u32_e32 v43, 0, v39
	v_max_i32_e32 v43, v39, v43
	v_cvt_f32_u32_e32 v44, v43
	v_sub_u32_e32 v47, 0, v35
	v_xor_b32_e32 v39, v35, v39
	v_max_i32_e32 v35, v35, v47
	v_rcp_iflag_f32_e32 v46, v44
	v_sub_u32_e32 v47, 0, v43
	v_mov_b32_e32 v45, s19
	v_add_co_u32_e32 v44, vcc, s18, v2
	v_mul_f32_e32 v46, 0x4f7ffffe, v46
	v_cvt_u32_f32_e32 v46, v46
	v_addc_co_u32_e32 v45, vcc, v1, v45, vcc
	v_ashrrev_i32_e32 v39, 31, v39
	v_mul_lo_u32 v47, v47, v46
	v_mul_hi_u32 v47, v46, v47
	v_add_u32_e32 v46, v46, v47
	v_mul_hi_u32 v46, v35, v46
	v_mul_lo_u32 v47, v46, v43
	v_sub_u32_e32 v35, v35, v47
	v_add_u32_e32 v47, 1, v46
	v_cmp_ge_u32_e32 vcc, v35, v43
	v_cndmask_b32_e32 v46, v46, v47, vcc
	v_sub_u32_e32 v47, v35, v43
	v_cndmask_b32_e32 v35, v35, v47, vcc
	v_add_u32_e32 v47, 1, v46
	v_cmp_ge_u32_e32 vcc, v35, v43
	v_cndmask_b32_e32 v35, v46, v47, vcc
	v_xor_b32_e32 v35, v35, v39
	v_sub_u32_e32 v35, v35, v39
	v_mad_u64_u32 v[46:47], s[24:25], v35, s26, v[32:33]
	global_store_dword v[44:45], v46, off
	s_or_b64 exec, exec, s[8:9]
	s_and_saveexec_b64 s[8:9], s[0:1]
	s_cbranch_execz .LBB123_20
.LBB123_25:                             ;   in Loop: Header=BB123_4 Depth=1
	s_waitcnt vmcnt(0)
	v_sub_u32_e32 v32, 0, v40
	v_max_i32_e32 v32, v40, v32
	v_cvt_f32_u32_e32 v35, v32
	v_xor_b32_e32 v39, v36, v40
	v_sub_u32_e32 v40, 0, v36
	v_max_i32_e32 v36, v36, v40
	v_rcp_iflag_f32_e32 v35, v35
	v_sub_u32_e32 v40, 0, v32
	v_ashrrev_i32_e32 v39, 31, v39
	v_mul_f32_e32 v35, 0x4f7ffffe, v35
	v_cvt_u32_f32_e32 v35, v35
	v_mul_lo_u32 v40, v40, v35
	v_mul_hi_u32 v40, v35, v40
	v_add_u32_e32 v35, v35, v40
	v_mul_hi_u32 v35, v36, v35
	v_mul_lo_u32 v40, v35, v32
	v_sub_u32_e32 v36, v36, v40
	v_add_u32_e32 v43, 1, v35
	v_cmp_ge_u32_e32 vcc, v36, v32
	v_sub_u32_e32 v40, v36, v32
	v_cndmask_b32_e32 v35, v35, v43, vcc
	v_cndmask_b32_e32 v36, v36, v40, vcc
	v_add_u32_e32 v40, 1, v35
	v_cmp_ge_u32_e32 vcc, v36, v32
	v_cndmask_b32_e32 v32, v35, v40, vcc
	v_xor_b32_e32 v32, v32, v39
	v_sub_u32_e32 v32, v32, v39
	v_mad_u64_u32 v[44:45], s[0:1], v32, s26, v[26:27]
	v_mov_b32_e32 v26, s19
	v_add_co_u32_e32 v46, vcc, s18, v20
	v_addc_co_u32_e32 v47, vcc, v19, v26, vcc
	global_store_dword v[46:47], v44, off
	s_or_b64 exec, exec, s[8:9]
	s_and_saveexec_b64 s[0:1], s[2:3]
	s_cbranch_execz .LBB123_21
.LBB123_26:                             ;   in Loop: Header=BB123_4 Depth=1
	s_waitcnt vmcnt(0)
	v_sub_u32_e32 v26, 0, v41
	v_max_i32_e32 v26, v41, v26
	v_cvt_f32_u32_e32 v32, v26
	v_sub_u32_e32 v36, 0, v37
	v_xor_b32_e32 v35, v37, v41
	v_max_i32_e32 v36, v37, v36
	v_rcp_iflag_f32_e32 v32, v32
	v_sub_u32_e32 v37, 0, v26
	v_ashrrev_i32_e32 v35, 31, v35
	v_mul_f32_e32 v32, 0x4f7ffffe, v32
	v_cvt_u32_f32_e32 v32, v32
	v_mul_lo_u32 v37, v37, v32
	v_mul_hi_u32 v37, v32, v37
	v_add_u32_e32 v32, v32, v37
	v_mul_hi_u32 v32, v36, v32
	v_mul_lo_u32 v37, v32, v26
	v_sub_u32_e32 v36, v36, v37
	v_add_u32_e32 v39, 1, v32
	v_cmp_ge_u32_e32 vcc, v36, v26
	v_sub_u32_e32 v37, v36, v26
	v_cndmask_b32_e32 v32, v32, v39, vcc
	v_cndmask_b32_e32 v36, v36, v37, vcc
	v_add_u32_e32 v37, 1, v32
	v_cmp_ge_u32_e32 vcc, v36, v26
	v_cndmask_b32_e32 v26, v32, v37, vcc
	v_xor_b32_e32 v26, v26, v35
	v_sub_u32_e32 v26, v26, v35
	v_mad_u64_u32 v[36:37], s[2:3], v26, s26, v[28:29]
	v_mov_b32_e32 v26, s19
	v_add_co_u32_e32 v40, vcc, s18, v14
	v_addc_co_u32_e32 v41, vcc, v13, v26, vcc
	global_store_dword v[40:41], v36, off
	s_or_b64 exec, exec, s[0:1]
	s_and_saveexec_b64 s[0:1], s[6:7]
	s_cbranch_execz .LBB123_3
.LBB123_27:                             ;   in Loop: Header=BB123_4 Depth=1
	s_waitcnt vmcnt(0)
	v_sub_u32_e32 v26, 0, v42
	v_max_i32_e32 v26, v42, v26
	v_cvt_f32_u32_e32 v28, v26
	v_sub_u32_e32 v36, 0, v26
	v_sub_u32_e32 v35, 0, v38
	v_max_i32_e32 v35, v38, v35
	v_rcp_iflag_f32_e32 v28, v28
	v_xor_b32_e32 v32, v38, v42
	v_ashrrev_i32_e32 v32, 31, v32
	v_mul_f32_e32 v28, 0x4f7ffffe, v28
	v_cvt_u32_f32_e32 v28, v28
	v_mul_lo_u32 v36, v36, v28
	v_mul_hi_u32 v36, v28, v36
	v_add_u32_e32 v28, v28, v36
	v_mul_hi_u32 v28, v35, v28
	v_mul_lo_u32 v36, v28, v26
	v_sub_u32_e32 v35, v35, v36
	v_add_u32_e32 v37, 1, v28
	v_cmp_ge_u32_e32 vcc, v35, v26
	v_sub_u32_e32 v36, v35, v26
	v_cndmask_b32_e32 v28, v28, v37, vcc
	v_cndmask_b32_e32 v35, v35, v36, vcc
	v_add_u32_e32 v36, 1, v28
	v_cmp_ge_u32_e32 vcc, v35, v26
	v_cndmask_b32_e32 v26, v28, v36, vcc
	v_xor_b32_e32 v26, v26, v32
	v_sub_u32_e32 v26, v26, v32
	v_mad_u64_u32 v[36:37], s[2:3], v26, s26, v[30:31]
	v_mov_b32_e32 v26, s19
	v_add_co_u32_e32 v38, vcc, s18, v8
	v_addc_co_u32_e32 v39, vcc, v7, v26, vcc
	global_store_dword v[38:39], v36, off
	s_branch .LBB123_3
.LBB123_28:
	s_mov_b64 s[0:1], 0
.LBB123_29:
	s_andn2_b64 vcc, exec, s[0:1]
	s_cbranch_vccnz .LBB123_33
; %bb.30:
	v_mov_b32_e32 v3, 0
	v_lshlrev_b32_e32 v2, 2, v0
	s_mov_b32 s0, 0
	v_cmp_gt_i64_e32 vcc, s[12:13], v[2:3]
	s_and_saveexec_b64 s[2:3], vcc
	s_cbranch_execz .LBB123_33
; %bb.31:
	s_load_dword s1, s[4:5], 0xd14
	v_mov_b32_e32 v4, s19
	v_lshlrev_b32_e32 v1, 4, v0
	s_waitcnt lgkmcnt(0)
	s_mov_b32 s20, s26
	s_mov_b64 s[6:7], 0
	s_and_b32 s1, s1, 0xffff
	s_lshl_b32 s19, s1, 2
	s_add_u32 s16, s16, 8
	s_addc_u32 s2, s17, 0
	s_lshl_b32 s17, s1, 4
	s_add_u32 s14, s14, 8
	v_add_lshl_u32 v2, v0, s1, 2
	v_add_co_u32_e32 v0, vcc, s18, v1
	s_addc_u32 s3, s15, 0
	v_addc_co_u32_e32 v1, vcc, 0, v4, vcc
	v_mov_b32_e32 v6, s2
	v_mov_b32_e32 v7, s3
	;; [unrolled: 1-line block ×3, first 2 shown]
	s_mov_b64 s[8:9], 0xffff
	v_mov_b32_e32 v9, s0
	v_mov_b32_e32 v10, s0
.LBB123_32:                             ; =>This Inner Loop Header: Depth=1
	v_add_co_u32_e32 v4, vcc, s16, v0
	v_addc_co_u32_e32 v5, vcc, v6, v1, vcc
	v_add_co_u32_e32 v24, vcc, s14, v0
	v_addc_co_u32_e32 v25, vcc, v7, v1, vcc
	;; [unrolled: 2-line block ×3, first 2 shown]
	global_load_dwordx4 v[12:15], v[24:25], off offset:-8
	global_load_dwordx4 v[16:19], v[26:27], off
	global_load_dwordx4 v[20:23], v[4:5], off offset:-8
	v_cmp_le_i64_e32 vcc, s[12:13], v[2:3]
	v_cmp_lt_u64_e64 s[0:1], s[8:9], v[2:3]
	v_add_co_u32_e64 v2, s[2:3], s19, v2
	v_addc_co_u32_e64 v3, s[2:3], v3, v9, s[2:3]
	s_or_b64 s[0:1], vcc, s[0:1]
	v_add_co_u32_e64 v0, s[2:3], s17, v0
	s_and_b64 s[0:1], exec, s[0:1]
	v_addc_co_u32_e64 v1, s[2:3], v1, v10, s[2:3]
	s_or_b64 s[6:7], s[0:1], s[6:7]
	s_waitcnt vmcnt(2)
	v_sub_u32_e32 v29, 0, v13
	s_waitcnt vmcnt(1)
	v_sub_u32_e32 v27, 0, v16
	v_xor_b32_e32 v11, v12, v16
	v_sub_u32_e32 v30, 0, v17
	v_max_i32_e32 v16, v16, v27
	v_xor_b32_e32 v28, v13, v17
	v_xor_b32_e32 v31, v14, v18
	v_sub_u32_e32 v33, 0, v18
	v_max_i32_e32 v13, v13, v29
	v_max_i32_e32 v17, v17, v30
	v_cvt_f32_u32_e32 v29, v16
	v_sub_u32_e32 v36, 0, v19
	v_ashrrev_i32_e32 v27, 31, v31
	v_max_i32_e32 v18, v18, v33
	v_cvt_f32_u32_e32 v31, v17
	v_xor_b32_e32 v34, v15, v19
	v_sub_u32_e32 v35, 0, v15
	v_max_i32_e32 v19, v19, v36
	v_cvt_f32_u32_e32 v33, v18
	v_max_i32_e32 v15, v15, v35
	v_cvt_f32_u32_e32 v35, v19
	v_rcp_iflag_f32_e32 v29, v29
	v_rcp_iflag_f32_e32 v31, v31
	;; [unrolled: 1-line block ×4, first 2 shown]
	v_mul_f32_e32 v29, 0x4f7ffffe, v29
	v_mul_f32_e32 v31, 0x4f7ffffe, v31
	v_cvt_u32_f32_e32 v29, v29
	v_mul_f32_e32 v33, 0x4f7ffffe, v33
	v_cvt_u32_f32_e32 v31, v31
	;; [unrolled: 2-line block ×3, first 2 shown]
	v_sub_u32_e32 v32, 0, v14
	v_sub_u32_e32 v30, 0, v16
	v_cvt_u32_f32_e32 v35, v35
	v_sub_u32_e32 v25, 0, v12
	v_max_i32_e32 v14, v14, v32
	v_sub_u32_e32 v32, 0, v17
	v_mul_lo_u32 v30, v30, v29
	v_max_i32_e32 v12, v12, v25
	v_ashrrev_i32_e32 v25, 31, v28
	v_ashrrev_i32_e32 v28, 31, v34
	v_sub_u32_e32 v34, 0, v18
	v_mul_lo_u32 v32, v32, v31
	v_mul_hi_u32 v30, v29, v30
	v_sub_u32_e32 v36, 0, v19
	v_mul_lo_u32 v34, v34, v33
	v_mul_hi_u32 v32, v31, v32
	v_add_u32_e32 v29, v29, v30
	v_mul_lo_u32 v36, v36, v35
	v_mul_hi_u32 v34, v33, v34
	v_add_u32_e32 v30, v31, v32
	v_mul_hi_u32 v29, v12, v29
	v_mul_hi_u32 v36, v35, v36
	v_add_u32_e32 v31, v33, v34
	v_mul_hi_u32 v30, v13, v30
	v_mul_lo_u32 v33, v29, v16
	v_add_u32_e32 v32, v35, v36
	v_mul_hi_u32 v31, v14, v31
	v_mul_lo_u32 v35, v30, v17
	v_sub_u32_e32 v12, v12, v33
	v_mul_hi_u32 v32, v15, v32
	v_add_u32_e32 v34, 1, v29
	v_mul_lo_u32 v37, v31, v18
	v_sub_u32_e32 v13, v13, v35
	v_cmp_ge_u32_e32 vcc, v12, v16
	v_sub_u32_e32 v33, v12, v16
	v_add_u32_e32 v36, 1, v30
	v_mul_lo_u32 v39, v32, v19
	v_sub_u32_e32 v14, v14, v37
	v_cndmask_b32_e32 v29, v29, v34, vcc
	v_cmp_ge_u32_e64 s[0:1], v13, v17
	v_sub_u32_e32 v34, v13, v17
	v_cndmask_b32_e32 v12, v12, v33, vcc
	v_add_u32_e32 v38, 1, v31
	v_sub_u32_e32 v15, v15, v39
	v_cndmask_b32_e64 v30, v30, v36, s[0:1]
	v_cmp_ge_u32_e64 s[2:3], v14, v18
	v_sub_u32_e32 v35, v14, v18
	v_add_u32_e32 v33, 1, v29
	v_cndmask_b32_e64 v13, v13, v34, s[0:1]
	v_cmp_ge_u32_e32 vcc, v12, v16
	v_add_u32_e32 v40, 1, v32
	v_cndmask_b32_e64 v31, v31, v38, s[2:3]
	v_cmp_ge_u32_e64 s[4:5], v15, v19
	v_sub_u32_e32 v36, v15, v19
	v_add_u32_e32 v34, 1, v30
	v_cndmask_b32_e64 v14, v14, v35, s[2:3]
	v_cndmask_b32_e32 v12, v29, v33, vcc
	v_cmp_ge_u32_e32 vcc, v13, v17
	v_cndmask_b32_e64 v32, v32, v40, s[4:5]
	v_add_u32_e32 v35, 1, v31
	v_cndmask_b32_e64 v15, v15, v36, s[4:5]
	v_cndmask_b32_e32 v13, v30, v34, vcc
	v_cmp_ge_u32_e32 vcc, v14, v18
	v_add_u32_e32 v36, 1, v32
	v_cndmask_b32_e32 v14, v31, v35, vcc
	v_cmp_ge_u32_e32 vcc, v15, v19
	v_ashrrev_i32_e32 v11, 31, v11
	v_cndmask_b32_e32 v15, v32, v36, vcc
	v_xor_b32_e32 v12, v12, v11
	v_xor_b32_e32 v13, v13, v25
	v_xor_b32_e32 v14, v14, v27
	v_xor_b32_e32 v15, v15, v28
	s_waitcnt vmcnt(0)
	v_mov_b32_e32 v24, v21
	v_mov_b32_e32 v26, v23
	v_sub_u32_e32 v11, v12, v11
	v_sub_u32_e32 v12, v13, v25
	;; [unrolled: 1-line block ×4, first 2 shown]
	v_mad_u64_u32 v[16:17], s[0:1], v12, s20, v[24:25]
	v_mad_u64_u32 v[12:13], s[0:1], v11, s26, v[20:21]
	;; [unrolled: 1-line block ×4, first 2 shown]
	v_mov_b32_e32 v13, v16
	v_mov_b32_e32 v15, v18
	global_store_dwordx4 v[4:5], v[12:15], off offset:-8
	s_andn2_b64 exec, exec, s[6:7]
	s_cbranch_execnz .LBB123_32
.LBB123_33:
	s_endpgm
	.section	.rodata,"a",@progbits
	.p2align	6, 0x0
	.amdhsa_kernel _ZN2at6native12_GLOBAL__N_125multi_tensor_apply_kernelINS1_28TensorListScalarListMetadataIiLi3EEENS1_28PointwiseOpScalarListFunctorIiLi3ELi3ELi0EEEJSt7dividesIiEEEEvT_T0_DpT1_
		.amdhsa_group_segment_fixed_size 0
		.amdhsa_private_segment_fixed_size 0
		.amdhsa_kernarg_size 3592
		.amdhsa_user_sgpr_count 6
		.amdhsa_user_sgpr_private_segment_buffer 1
		.amdhsa_user_sgpr_dispatch_ptr 0
		.amdhsa_user_sgpr_queue_ptr 0
		.amdhsa_user_sgpr_kernarg_segment_ptr 1
		.amdhsa_user_sgpr_dispatch_id 0
		.amdhsa_user_sgpr_flat_scratch_init 0
		.amdhsa_user_sgpr_kernarg_preload_length 0
		.amdhsa_user_sgpr_kernarg_preload_offset 0
		.amdhsa_user_sgpr_private_segment_size 0
		.amdhsa_uses_dynamic_stack 0
		.amdhsa_system_sgpr_private_segment_wavefront_offset 0
		.amdhsa_system_sgpr_workgroup_id_x 1
		.amdhsa_system_sgpr_workgroup_id_y 0
		.amdhsa_system_sgpr_workgroup_id_z 0
		.amdhsa_system_sgpr_workgroup_info 0
		.amdhsa_system_vgpr_workitem_id 0
		.amdhsa_next_free_vgpr 48
		.amdhsa_next_free_sgpr 30
		.amdhsa_accum_offset 48
		.amdhsa_reserve_vcc 1
		.amdhsa_reserve_flat_scratch 0
		.amdhsa_float_round_mode_32 0
		.amdhsa_float_round_mode_16_64 0
		.amdhsa_float_denorm_mode_32 3
		.amdhsa_float_denorm_mode_16_64 3
		.amdhsa_dx10_clamp 1
		.amdhsa_ieee_mode 1
		.amdhsa_fp16_overflow 0
		.amdhsa_tg_split 0
		.amdhsa_exception_fp_ieee_invalid_op 0
		.amdhsa_exception_fp_denorm_src 0
		.amdhsa_exception_fp_ieee_div_zero 0
		.amdhsa_exception_fp_ieee_overflow 0
		.amdhsa_exception_fp_ieee_underflow 0
		.amdhsa_exception_fp_ieee_inexact 0
		.amdhsa_exception_int_div_zero 0
	.end_amdhsa_kernel
	.section	.text._ZN2at6native12_GLOBAL__N_125multi_tensor_apply_kernelINS1_28TensorListScalarListMetadataIiLi3EEENS1_28PointwiseOpScalarListFunctorIiLi3ELi3ELi0EEEJSt7dividesIiEEEEvT_T0_DpT1_,"axG",@progbits,_ZN2at6native12_GLOBAL__N_125multi_tensor_apply_kernelINS1_28TensorListScalarListMetadataIiLi3EEENS1_28PointwiseOpScalarListFunctorIiLi3ELi3ELi0EEEJSt7dividesIiEEEEvT_T0_DpT1_,comdat
.Lfunc_end123:
	.size	_ZN2at6native12_GLOBAL__N_125multi_tensor_apply_kernelINS1_28TensorListScalarListMetadataIiLi3EEENS1_28PointwiseOpScalarListFunctorIiLi3ELi3ELi0EEEJSt7dividesIiEEEEvT_T0_DpT1_, .Lfunc_end123-_ZN2at6native12_GLOBAL__N_125multi_tensor_apply_kernelINS1_28TensorListScalarListMetadataIiLi3EEENS1_28PointwiseOpScalarListFunctorIiLi3ELi3ELi0EEEJSt7dividesIiEEEEvT_T0_DpT1_
                                        ; -- End function
	.section	.AMDGPU.csdata,"",@progbits
; Kernel info:
; codeLenInByte = 2844
; NumSgprs: 34
; NumVgprs: 48
; NumAgprs: 0
; TotalNumVgprs: 48
; ScratchSize: 0
; MemoryBound: 0
; FloatMode: 240
; IeeeMode: 1
; LDSByteSize: 0 bytes/workgroup (compile time only)
; SGPRBlocks: 4
; VGPRBlocks: 5
; NumSGPRsForWavesPerEU: 34
; NumVGPRsForWavesPerEU: 48
; AccumOffset: 48
; Occupancy: 8
; WaveLimiterHint : 0
; COMPUTE_PGM_RSRC2:SCRATCH_EN: 0
; COMPUTE_PGM_RSRC2:USER_SGPR: 6
; COMPUTE_PGM_RSRC2:TRAP_HANDLER: 0
; COMPUTE_PGM_RSRC2:TGID_X_EN: 1
; COMPUTE_PGM_RSRC2:TGID_Y_EN: 0
; COMPUTE_PGM_RSRC2:TGID_Z_EN: 0
; COMPUTE_PGM_RSRC2:TIDIG_COMP_CNT: 0
; COMPUTE_PGM_RSRC3_GFX90A:ACCUM_OFFSET: 11
; COMPUTE_PGM_RSRC3_GFX90A:TG_SPLIT: 0
	.section	.text._ZN2at6native12_GLOBAL__N_125multi_tensor_apply_kernelINS1_28TensorListScalarListMetadataIlLi3EEENS1_28PointwiseOpScalarListFunctorIlLi3ELi3ELi0EEEJSt7dividesIlEEEEvT_T0_DpT1_,"axG",@progbits,_ZN2at6native12_GLOBAL__N_125multi_tensor_apply_kernelINS1_28TensorListScalarListMetadataIlLi3EEENS1_28PointwiseOpScalarListFunctorIlLi3ELi3ELi0EEEJSt7dividesIlEEEEvT_T0_DpT1_,comdat
	.globl	_ZN2at6native12_GLOBAL__N_125multi_tensor_apply_kernelINS1_28TensorListScalarListMetadataIlLi3EEENS1_28PointwiseOpScalarListFunctorIlLi3ELi3ELi0EEEJSt7dividesIlEEEEvT_T0_DpT1_ ; -- Begin function _ZN2at6native12_GLOBAL__N_125multi_tensor_apply_kernelINS1_28TensorListScalarListMetadataIlLi3EEENS1_28PointwiseOpScalarListFunctorIlLi3ELi3ELi0EEEJSt7dividesIlEEEEvT_T0_DpT1_
	.p2align	8
	.type	_ZN2at6native12_GLOBAL__N_125multi_tensor_apply_kernelINS1_28TensorListScalarListMetadataIlLi3EEENS1_28PointwiseOpScalarListFunctorIlLi3ELi3ELi0EEEJSt7dividesIlEEEEvT_T0_DpT1_,@function
_ZN2at6native12_GLOBAL__N_125multi_tensor_apply_kernelINS1_28TensorListScalarListMetadataIlLi3EEENS1_28PointwiseOpScalarListFunctorIlLi3ELi3ELi0EEEJSt7dividesIlEEEEvT_T0_DpT1_: ; @_ZN2at6native12_GLOBAL__N_125multi_tensor_apply_kernelINS1_28TensorListScalarListMetadataIlLi3EEENS1_28PointwiseOpScalarListFunctorIlLi3ELi3ELi0EEEJSt7dividesIlEEEEvT_T0_DpT1_
; %bb.0:
	v_mov_b32_e32 v1, s6
	global_load_ubyte v1, v1, s[4:5] offset:1920
	s_add_u32 s0, s4, s6
	s_mul_hi_u32 s1, s6, 3
	s_mul_i32 s6, s6, 3
	s_addc_u32 s2, s5, 0
	s_add_u32 s0, s0, s6
	s_addc_u32 s1, s2, s1
	s_load_dword s10, s[0:1], 0x8c0
	s_mov_b32 s9, 0
	s_mov_b32 s19, s9
	s_waitcnt lgkmcnt(0)
	s_ashr_i32 s11, s10, 31
	s_lshl_b64 s[16:17], s[10:11], 19
	s_waitcnt vmcnt(0)
	v_readfirstlane_b32 s0, v1
	s_lshl_b32 s8, s0, 3
	s_load_dwordx2 s[12:13], s[4:5], s8 offset:0x600
	s_load_dwordx2 s[6:7], s[4:5], s8 offset:0x0
	;; [unrolled: 1-line block ×5, first 2 shown]
	s_waitcnt lgkmcnt(0)
	s_add_u32 s24, s6, s16
	s_addc_u32 s25, s7, s17
	s_and_b32 s8, s24, 31
	s_add_u32 s26, s2, s16
	s_addc_u32 s27, s3, s17
	s_add_u32 s28, s0, s16
	s_addc_u32 s29, s1, s17
	s_or_b32 s14, s28, s26
	s_and_b32 s14, s14, 31
	s_cmp_eq_u32 s14, 0
	s_cselect_b64 s[22:23], -1, 0
	s_lshl_b64 s[10:11], s[10:11], 16
	s_sub_u32 s14, s20, s10
	s_subb_u32 s15, s21, s11
	s_and_b32 s18, s20, 3
	s_or_b64 s[8:9], s[8:9], s[18:19]
	s_cmp_eq_u64 s[8:9], 0
	s_cselect_b64 s[8:9], -1, 0
	s_and_b64 s[10:11], s[22:23], s[8:9]
	s_mov_b64 s[8:9], -1
	s_and_b64 vcc, exec, s[10:11]
	s_cbranch_vccnz .LBB124_45
; %bb.1:
	v_cmp_lt_i64_e64 s[8:9], s[14:15], 1
	s_and_b64 vcc, exec, s[8:9]
	s_cbranch_vccnz .LBB124_44
; %bb.2:
	s_load_dword s8, s[4:5], 0xdd4
	v_mov_b32_e32 v4, 0x10000
	v_mov_b32_e32 v5, 0
	v_cmp_lt_u64_e32 vcc, s[14:15], v[4:5]
	v_lshlrev_b32_e32 v16, 3, v0
	s_waitcnt lgkmcnt(0)
	s_and_b32 s10, s8, 0xffff
	s_and_b64 s[8:9], vcc, exec
	v_mov_b32_e32 v3, s7
	v_add_co_u32_e32 v4, vcc, s6, v16
	v_addc_co_u32_e32 v1, vcc, 0, v3, vcc
	v_mov_b32_e32 v23, s3
	v_add_co_u32_e32 v6, vcc, s2, v16
	v_mov_b32_e32 v2, 0
	v_addc_co_u32_e32 v5, vcc, 0, v23, vcc
	v_mov_b32_e32 v17, v2
	v_mov_b32_e32 v25, s1
	v_add_co_u32_e32 v8, vcc, s0, v16
	v_addc_co_u32_e32 v7, vcc, 0, v25, vcc
	v_mad_u64_u32 v[14:15], s[8:9], s10, 24, v[16:17]
	v_add_co_u32_e32 v10, vcc, s6, v14
	v_addc_co_u32_e32 v9, vcc, v3, v15, vcc
	v_add_co_u32_e32 v12, vcc, s2, v14
	v_addc_co_u32_e32 v11, vcc, v23, v15, vcc
	v_add_co_u32_e32 v14, vcc, s0, v14
	s_mul_i32 s20, s10, 3
	v_addc_co_u32_e32 v13, vcc, v25, v15, vcc
	s_cselect_b32 s19, s15, 0
	s_cselect_b32 s18, s14, 0x10000
	v_add_co_u32_e32 v27, vcc, s20, v0
	s_lshl_b32 s1, s10, 4
	v_addc_co_u32_e64 v54, s[8:9], 0, 0, vcc
	v_add_co_u32_e32 v19, vcc, s1, v16
	v_addc_co_u32_e64 v21, s[8:9], 0, 0, vcc
	v_add_co_u32_e32 v16, vcc, s6, v19
	v_addc_co_u32_e32 v15, vcc, v3, v21, vcc
	v_add_co_u32_e32 v18, vcc, s2, v19
	v_addc_co_u32_e32 v17, vcc, v23, v21, vcc
	v_add_co_u32_e32 v20, vcc, s0, v19
	s_lshl_b32 s11, s10, 1
	v_addc_co_u32_e32 v19, vcc, v25, v21, vcc
	v_add_co_u32_e32 v55, vcc, s11, v0
	v_addc_co_u32_e64 v56, s[8:9], 0, 0, vcc
	v_add_co_u32_e32 v57, vcc, s10, v0
	v_lshlrev_b32_e32 v26, 3, v57
	v_addc_co_u32_e64 v58, s[8:9], 0, 0, vcc
	v_add_co_u32_e32 v22, vcc, s6, v26
	v_addc_co_u32_e32 v21, vcc, 0, v3, vcc
	v_add_co_u32_e32 v24, vcc, s2, v26
	v_addc_co_u32_e32 v23, vcc, 0, v23, vcc
	v_add_co_u32_e32 v26, vcc, s0, v26
	s_mov_b32 s30, 0
	s_lshl_b32 s31, s10, 2
	s_lshl_b32 s33, s10, 5
	v_addc_co_u32_e32 v25, vcc, 0, v25, vcc
	s_mov_b64 s[20:21], 0
	s_branch .LBB124_4
.LBB124_3:                              ;   in Loop: Header=BB124_4 Depth=1
	s_or_b64 exec, exec, s[0:1]
	s_add_u32 s20, s20, s31
	s_addc_u32 s21, s21, 0
	v_pk_mov_b32 v[28:29], s[14:15], s[14:15] op_sel:[0,1]
	v_cmp_lt_i64_e32 vcc, s[20:21], v[28:29]
	v_mov_b32_e32 v28, 0x10000
	v_mov_b32_e32 v29, 0
	v_cmp_lt_u64_e64 s[0:1], s[20:21], v[28:29]
	s_and_b64 s[0:1], vcc, s[0:1]
	v_mov_b32_e32 v3, s30
	v_add_co_u32_e32 v4, vcc, s33, v4
	v_addc_co_u32_e32 v1, vcc, v1, v3, vcc
	v_add_co_u32_e32 v6, vcc, s33, v6
	v_addc_co_u32_e32 v5, vcc, v5, v3, vcc
	v_add_co_u32_e32 v8, vcc, s33, v8
	v_addc_co_u32_e32 v7, vcc, v7, v3, vcc
	v_add_co_u32_e32 v10, vcc, s33, v10
	v_addc_co_u32_e32 v9, vcc, v9, v3, vcc
	v_add_co_u32_e32 v12, vcc, s33, v12
	v_addc_co_u32_e32 v11, vcc, v11, v3, vcc
	v_add_co_u32_e32 v14, vcc, s33, v14
	v_addc_co_u32_e32 v13, vcc, v13, v3, vcc
	v_add_co_u32_e32 v16, vcc, s33, v16
	v_addc_co_u32_e32 v15, vcc, v15, v3, vcc
	v_add_co_u32_e32 v18, vcc, s33, v18
	v_addc_co_u32_e32 v17, vcc, v17, v3, vcc
	v_add_co_u32_e32 v20, vcc, s33, v20
	v_addc_co_u32_e32 v19, vcc, v19, v3, vcc
	v_add_co_u32_e32 v22, vcc, s33, v22
	v_addc_co_u32_e32 v21, vcc, v21, v3, vcc
	v_add_co_u32_e32 v24, vcc, s33, v24
	v_addc_co_u32_e32 v23, vcc, v23, v3, vcc
	v_add_co_u32_e32 v26, vcc, s33, v26
	v_addc_co_u32_e32 v25, vcc, v25, v3, vcc
	s_and_b64 vcc, exec, s[0:1]
	s_cbranch_vccz .LBB124_44
.LBB124_4:                              ; =>This Inner Loop Header: Depth=1
	v_mov_b32_e32 v3, s21
	v_add_co_u32_e32 v28, vcc, s20, v0
	v_addc_co_u32_e32 v29, vcc, 0, v3, vcc
	v_pk_mov_b32 v[38:39], 0, 0
	v_cmp_gt_u64_e64 s[8:9], s[18:19], v[28:29]
	v_pk_mov_b32 v[28:29], v[38:39], v[38:39] op_sel:[0,1]
	v_pk_mov_b32 v[34:35], v[38:39], v[38:39] op_sel:[0,1]
	s_and_saveexec_b64 s[0:1], s[8:9]
	s_cbranch_execz .LBB124_6
; %bb.5:                                ;   in Loop: Header=BB124_4 Depth=1
	v_mov_b32_e32 v3, s17
	v_add_co_u32_e32 v30, vcc, s16, v4
	v_addc_co_u32_e32 v31, vcc, v1, v3, vcc
	v_add_co_u32_e32 v32, vcc, s16, v6
	v_addc_co_u32_e32 v33, vcc, v5, v3, vcc
	global_load_dwordx2 v[28:29], v[30:31], off
	global_load_dwordx2 v[34:35], v[32:33], off
.LBB124_6:                              ;   in Loop: Header=BB124_4 Depth=1
	s_or_b64 exec, exec, s[0:1]
	s_and_saveexec_b64 s[0:1], s[8:9]
	s_cbranch_execz .LBB124_8
; %bb.7:                                ;   in Loop: Header=BB124_4 Depth=1
	v_mov_b32_e32 v3, s17
	v_add_co_u32_e32 v30, vcc, s16, v8
	v_addc_co_u32_e32 v31, vcc, v7, v3, vcc
	global_load_dwordx2 v[38:39], v[30:31], off
.LBB124_8:                              ;   in Loop: Header=BB124_4 Depth=1
	s_or_b64 exec, exec, s[0:1]
	v_mov_b32_e32 v3, s21
	v_add_co_u32_e32 v30, vcc, s20, v57
	v_addc_co_u32_e32 v31, vcc, v58, v3, vcc
	v_pk_mov_b32 v[52:53], 0, 0
	v_cmp_gt_u64_e64 s[0:1], s[18:19], v[30:31]
	v_pk_mov_b32 v[30:31], v[52:53], v[52:53] op_sel:[0,1]
	v_pk_mov_b32 v[46:47], v[52:53], v[52:53] op_sel:[0,1]
	s_and_saveexec_b64 s[2:3], s[0:1]
	s_cbranch_execz .LBB124_10
; %bb.9:                                ;   in Loop: Header=BB124_4 Depth=1
	v_mov_b32_e32 v3, s17
	v_add_co_u32_e32 v32, vcc, s16, v22
	v_addc_co_u32_e32 v33, vcc, v21, v3, vcc
	v_add_co_u32_e32 v36, vcc, s16, v24
	v_addc_co_u32_e32 v37, vcc, v23, v3, vcc
	global_load_dwordx2 v[30:31], v[32:33], off
	global_load_dwordx2 v[46:47], v[36:37], off
.LBB124_10:                             ;   in Loop: Header=BB124_4 Depth=1
	s_or_b64 exec, exec, s[2:3]
	s_and_saveexec_b64 s[2:3], s[0:1]
	s_cbranch_execz .LBB124_12
; %bb.11:                               ;   in Loop: Header=BB124_4 Depth=1
	v_mov_b32_e32 v3, s17
	v_add_co_u32_e32 v32, vcc, s16, v26
	v_addc_co_u32_e32 v33, vcc, v25, v3, vcc
	global_load_dwordx2 v[52:53], v[32:33], off
.LBB124_12:                             ;   in Loop: Header=BB124_4 Depth=1
	s_or_b64 exec, exec, s[2:3]
	v_mov_b32_e32 v3, s21
	v_add_co_u32_e32 v32, vcc, s20, v55
	v_addc_co_u32_e32 v33, vcc, v56, v3, vcc
	v_pk_mov_b32 v[50:51], 0, 0
	v_cmp_gt_u64_e64 s[2:3], s[18:19], v[32:33]
	v_pk_mov_b32 v[32:33], v[50:51], v[50:51] op_sel:[0,1]
	v_pk_mov_b32 v[48:49], v[50:51], v[50:51] op_sel:[0,1]
	s_and_saveexec_b64 s[6:7], s[2:3]
	s_cbranch_execz .LBB124_14
; %bb.13:                               ;   in Loop: Header=BB124_4 Depth=1
	v_mov_b32_e32 v3, s17
	v_add_co_u32_e32 v36, vcc, s16, v16
	v_addc_co_u32_e32 v37, vcc, v15, v3, vcc
	v_add_co_u32_e32 v40, vcc, s16, v18
	v_addc_co_u32_e32 v41, vcc, v17, v3, vcc
	global_load_dwordx2 v[32:33], v[36:37], off
	global_load_dwordx2 v[48:49], v[40:41], off
.LBB124_14:                             ;   in Loop: Header=BB124_4 Depth=1
	s_or_b64 exec, exec, s[6:7]
	s_and_saveexec_b64 s[6:7], s[2:3]
	s_cbranch_execz .LBB124_16
; %bb.15:                               ;   in Loop: Header=BB124_4 Depth=1
	v_mov_b32_e32 v3, s17
	v_add_co_u32_e32 v36, vcc, s16, v20
	v_addc_co_u32_e32 v37, vcc, v19, v3, vcc
	global_load_dwordx2 v[50:51], v[36:37], off
.LBB124_16:                             ;   in Loop: Header=BB124_4 Depth=1
	s_or_b64 exec, exec, s[6:7]
	v_mov_b32_e32 v3, s21
	v_add_co_u32_e32 v36, vcc, s20, v27
	v_addc_co_u32_e32 v37, vcc, v54, v3, vcc
	v_pk_mov_b32 v[44:45], 0, 0
	v_cmp_gt_u64_e64 s[6:7], s[18:19], v[36:37]
	v_pk_mov_b32 v[36:37], v[44:45], v[44:45] op_sel:[0,1]
	v_pk_mov_b32 v[42:43], v[44:45], v[44:45] op_sel:[0,1]
	s_and_saveexec_b64 s[10:11], s[6:7]
	s_cbranch_execz .LBB124_18
; %bb.17:                               ;   in Loop: Header=BB124_4 Depth=1
	v_mov_b32_e32 v3, s17
	v_add_co_u32_e32 v40, vcc, s16, v10
	v_addc_co_u32_e32 v41, vcc, v9, v3, vcc
	v_add_co_u32_e32 v60, vcc, s16, v12
	v_addc_co_u32_e32 v61, vcc, v11, v3, vcc
	global_load_dwordx2 v[36:37], v[40:41], off
	global_load_dwordx2 v[42:43], v[60:61], off
.LBB124_18:                             ;   in Loop: Header=BB124_4 Depth=1
	s_or_b64 exec, exec, s[10:11]
	s_and_saveexec_b64 s[10:11], s[6:7]
	s_cbranch_execz .LBB124_20
; %bb.19:                               ;   in Loop: Header=BB124_4 Depth=1
	v_mov_b32_e32 v3, s17
	v_add_co_u32_e32 v40, vcc, s16, v14
	v_addc_co_u32_e32 v41, vcc, v13, v3, vcc
	global_load_dwordx2 v[44:45], v[40:41], off
.LBB124_20:                             ;   in Loop: Header=BB124_4 Depth=1
	s_or_b64 exec, exec, s[10:11]
	s_waitcnt vmcnt(0)
	v_or_b32_e32 v3, v47, v53
	v_cmp_ne_u64_e32 vcc, 0, v[2:3]
                                        ; implicit-def: $vgpr40_vgpr41
	s_and_saveexec_b64 s[10:11], vcc
	s_xor_b64 s[22:23], exec, s[10:11]
	s_cbranch_execz .LBB124_22
; %bb.21:                               ;   in Loop: Header=BB124_4 Depth=1
	v_ashrrev_i32_e32 v3, 31, v53
	v_add_co_u32_e32 v40, vcc, v52, v3
	v_addc_co_u32_e32 v41, vcc, v53, v3, vcc
	v_xor_b32_e32 v59, v41, v3
	v_xor_b32_e32 v64, v40, v3
	v_cvt_f32_u32_e32 v40, v64
	v_cvt_f32_u32_e32 v41, v59
	v_sub_co_u32_e32 v61, vcc, 0, v64
	v_subb_co_u32_e32 v62, vcc, 0, v59, vcc
	v_mac_f32_e32 v40, 0x4f800000, v41
	v_rcp_f32_e32 v40, v40
	v_mul_f32_e32 v40, 0x5f7ffffc, v40
	v_mul_f32_e32 v41, 0x2f800000, v40
	v_trunc_f32_e32 v41, v41
	v_mac_f32_e32 v40, 0xcf800000, v41
	v_cvt_u32_f32_e32 v60, v40
	v_cvt_u32_f32_e32 v63, v41
	v_mul_lo_u32 v52, v62, v60
	v_mad_u64_u32 v[40:41], s[10:11], v61, v60, 0
	v_mul_lo_u32 v53, v61, v63
	v_add3_u32 v41, v41, v53, v52
	v_mad_u64_u32 v[52:53], s[10:11], v60, v41, 0
	v_mul_hi_u32 v65, v60, v40
	v_add_co_u32_e32 v65, vcc, v65, v52
	v_addc_co_u32_e32 v66, vcc, 0, v53, vcc
	v_mad_u64_u32 v[52:53], s[10:11], v63, v41, 0
	v_mad_u64_u32 v[40:41], s[10:11], v63, v40, 0
	v_add_co_u32_e32 v40, vcc, v65, v40
	v_addc_co_u32_e32 v40, vcc, v66, v41, vcc
	v_addc_co_u32_e32 v41, vcc, 0, v53, vcc
	v_add_co_u32_e32 v40, vcc, v40, v52
	v_addc_co_u32_e32 v41, vcc, 0, v41, vcc
	v_add_co_u32_e32 v65, vcc, v60, v40
	v_addc_co_u32_e32 v66, vcc, v63, v41, vcc
	v_mul_lo_u32 v52, v61, v66
	v_mul_lo_u32 v53, v62, v65
	v_mad_u64_u32 v[40:41], s[10:11], v61, v65, 0
	v_add3_u32 v41, v41, v52, v53
	v_mad_u64_u32 v[60:61], s[10:11], v66, v40, 0
	v_mad_u64_u32 v[62:63], s[10:11], v65, v41, 0
	v_mul_hi_u32 v40, v65, v40
	v_add_co_u32_e32 v40, vcc, v40, v62
	v_mad_u64_u32 v[52:53], s[10:11], v66, v41, 0
	v_addc_co_u32_e32 v41, vcc, 0, v63, vcc
	v_add_co_u32_e32 v40, vcc, v40, v60
	v_addc_co_u32_e32 v40, vcc, v41, v61, vcc
	v_addc_co_u32_e32 v41, vcc, 0, v53, vcc
	v_add_co_u32_e32 v40, vcc, v40, v52
	v_addc_co_u32_e32 v41, vcc, 0, v41, vcc
	v_add_co_u32_e32 v52, vcc, v65, v40
	v_addc_co_u32_e32 v53, vcc, v66, v41, vcc
	v_ashrrev_i32_e32 v60, 31, v47
	v_add_co_u32_e32 v40, vcc, v46, v60
	v_addc_co_u32_e32 v41, vcc, v47, v60, vcc
	v_xor_b32_e32 v62, v40, v60
	v_xor_b32_e32 v61, v41, v60
	v_mad_u64_u32 v[40:41], s[10:11], v62, v53, 0
	v_mul_hi_u32 v46, v62, v52
	v_add_co_u32_e32 v63, vcc, v46, v40
	v_addc_co_u32_e32 v65, vcc, 0, v41, vcc
	v_mad_u64_u32 v[46:47], s[10:11], v61, v52, 0
	v_add_co_u32_e32 v46, vcc, v63, v46
	v_mad_u64_u32 v[40:41], s[10:11], v61, v53, 0
	v_addc_co_u32_e32 v46, vcc, v65, v47, vcc
	v_addc_co_u32_e32 v41, vcc, 0, v41, vcc
	v_add_co_u32_e32 v46, vcc, v46, v40
	v_addc_co_u32_e32 v47, vcc, 0, v41, vcc
	v_mul_lo_u32 v52, v59, v46
	v_mul_lo_u32 v53, v64, v47
	v_mad_u64_u32 v[40:41], s[10:11], v64, v46, 0
	v_add3_u32 v41, v41, v53, v52
	v_sub_u32_e32 v52, v61, v41
	v_sub_co_u32_e32 v40, vcc, v62, v40
	v_subb_co_u32_e64 v52, s[10:11], v52, v59, vcc
	v_sub_co_u32_e64 v53, s[10:11], v40, v64
	v_subbrev_co_u32_e64 v52, s[10:11], 0, v52, s[10:11]
	v_cmp_ge_u32_e64 s[10:11], v52, v59
	v_cndmask_b32_e64 v62, 0, -1, s[10:11]
	v_cmp_ge_u32_e64 s[10:11], v53, v64
	v_cndmask_b32_e64 v53, 0, -1, s[10:11]
	v_cmp_eq_u32_e64 s[10:11], v52, v59
	v_cndmask_b32_e64 v52, v62, v53, s[10:11]
	v_add_co_u32_e64 v53, s[10:11], 2, v46
	v_subb_co_u32_e32 v41, vcc, v61, v41, vcc
	v_addc_co_u32_e64 v62, s[10:11], 0, v47, s[10:11]
	v_cmp_ge_u32_e32 vcc, v41, v59
	v_add_co_u32_e64 v63, s[10:11], 1, v46
	v_cndmask_b32_e64 v61, 0, -1, vcc
	v_cmp_ge_u32_e32 vcc, v40, v64
	v_addc_co_u32_e64 v65, s[10:11], 0, v47, s[10:11]
	v_cndmask_b32_e64 v40, 0, -1, vcc
	v_cmp_eq_u32_e32 vcc, v41, v59
	v_cmp_ne_u32_e64 s[10:11], 0, v52
	v_cndmask_b32_e32 v40, v61, v40, vcc
	v_cndmask_b32_e64 v52, v65, v62, s[10:11]
	v_cmp_ne_u32_e32 vcc, 0, v40
	v_cndmask_b32_e64 v41, v63, v53, s[10:11]
	v_cndmask_b32_e32 v40, v47, v52, vcc
	v_cndmask_b32_e32 v41, v46, v41, vcc
	v_xor_b32_e32 v3, v60, v3
	v_xor_b32_e32 v46, v40, v3
	;; [unrolled: 1-line block ×3, first 2 shown]
	v_sub_co_u32_e32 v40, vcc, v40, v3
	v_subb_co_u32_e32 v41, vcc, v46, v3, vcc
                                        ; implicit-def: $vgpr52_vgpr53
                                        ; implicit-def: $vgpr46_vgpr47
.LBB124_22:                             ;   in Loop: Header=BB124_4 Depth=1
	s_andn2_saveexec_b64 s[10:11], s[22:23]
	s_cbranch_execz .LBB124_24
; %bb.23:                               ;   in Loop: Header=BB124_4 Depth=1
	v_cvt_f32_u32_e32 v3, v52
	v_sub_u32_e32 v40, 0, v52
	v_rcp_iflag_f32_e32 v3, v3
	v_mul_f32_e32 v3, 0x4f7ffffe, v3
	v_cvt_u32_f32_e32 v3, v3
	v_mul_lo_u32 v40, v40, v3
	v_mul_hi_u32 v40, v3, v40
	v_add_u32_e32 v3, v3, v40
	v_mul_hi_u32 v3, v46, v3
	v_mul_lo_u32 v40, v3, v52
	v_sub_u32_e32 v40, v46, v40
	v_add_u32_e32 v41, 1, v3
	v_sub_u32_e32 v46, v40, v52
	v_cmp_ge_u32_e32 vcc, v40, v52
	v_cndmask_b32_e32 v40, v40, v46, vcc
	v_cndmask_b32_e32 v3, v3, v41, vcc
	v_add_u32_e32 v41, 1, v3
	v_cmp_ge_u32_e32 vcc, v40, v52
	v_cndmask_b32_e32 v40, v3, v41, vcc
	v_mov_b32_e32 v41, v2
.LBB124_24:                             ;   in Loop: Header=BB124_4 Depth=1
	s_or_b64 exec, exec, s[10:11]
	v_or_b32_e32 v3, v49, v51
	v_cmp_ne_u64_e32 vcc, 0, v[2:3]
                                        ; implicit-def: $vgpr46_vgpr47
	s_and_saveexec_b64 s[10:11], vcc
	s_xor_b64 s[22:23], exec, s[10:11]
	s_cbranch_execz .LBB124_26
; %bb.25:                               ;   in Loop: Header=BB124_4 Depth=1
	v_ashrrev_i32_e32 v3, 31, v51
	v_add_co_u32_e32 v46, vcc, v50, v3
	v_addc_co_u32_e32 v47, vcc, v51, v3, vcc
	v_xor_b32_e32 v59, v47, v3
	v_xor_b32_e32 v62, v46, v3
	v_cvt_f32_u32_e32 v46, v62
	v_cvt_f32_u32_e32 v47, v59
	v_sub_co_u32_e32 v53, vcc, 0, v62
	v_subb_co_u32_e32 v60, vcc, 0, v59, vcc
	v_mac_f32_e32 v46, 0x4f800000, v47
	v_rcp_f32_e32 v46, v46
	v_mul_f32_e32 v46, 0x5f7ffffc, v46
	v_mul_f32_e32 v47, 0x2f800000, v46
	v_trunc_f32_e32 v47, v47
	v_mac_f32_e32 v46, 0xcf800000, v47
	v_cvt_u32_f32_e32 v52, v46
	v_cvt_u32_f32_e32 v61, v47
	v_mul_lo_u32 v50, v60, v52
	v_mad_u64_u32 v[46:47], s[10:11], v53, v52, 0
	v_mul_lo_u32 v51, v53, v61
	v_add3_u32 v47, v47, v51, v50
	v_mad_u64_u32 v[50:51], s[10:11], v52, v47, 0
	v_mul_hi_u32 v63, v52, v46
	v_add_co_u32_e32 v63, vcc, v63, v50
	v_addc_co_u32_e32 v64, vcc, 0, v51, vcc
	v_mad_u64_u32 v[50:51], s[10:11], v61, v47, 0
	v_mad_u64_u32 v[46:47], s[10:11], v61, v46, 0
	v_add_co_u32_e32 v46, vcc, v63, v46
	v_addc_co_u32_e32 v46, vcc, v64, v47, vcc
	v_addc_co_u32_e32 v47, vcc, 0, v51, vcc
	v_add_co_u32_e32 v46, vcc, v46, v50
	v_addc_co_u32_e32 v47, vcc, 0, v47, vcc
	v_add_co_u32_e32 v63, vcc, v52, v46
	v_addc_co_u32_e32 v64, vcc, v61, v47, vcc
	v_mul_lo_u32 v50, v53, v64
	v_mul_lo_u32 v51, v60, v63
	v_mad_u64_u32 v[46:47], s[10:11], v53, v63, 0
	v_add3_u32 v47, v47, v50, v51
	v_mad_u64_u32 v[52:53], s[10:11], v64, v46, 0
	v_mad_u64_u32 v[60:61], s[10:11], v63, v47, 0
	v_mul_hi_u32 v46, v63, v46
	v_add_co_u32_e32 v46, vcc, v46, v60
	v_mad_u64_u32 v[50:51], s[10:11], v64, v47, 0
	v_addc_co_u32_e32 v47, vcc, 0, v61, vcc
	v_add_co_u32_e32 v46, vcc, v46, v52
	v_addc_co_u32_e32 v46, vcc, v47, v53, vcc
	v_addc_co_u32_e32 v47, vcc, 0, v51, vcc
	v_add_co_u32_e32 v46, vcc, v46, v50
	v_addc_co_u32_e32 v47, vcc, 0, v47, vcc
	v_add_co_u32_e32 v50, vcc, v63, v46
	v_addc_co_u32_e32 v51, vcc, v64, v47, vcc
	v_ashrrev_i32_e32 v52, 31, v49
	v_add_co_u32_e32 v46, vcc, v48, v52
	v_addc_co_u32_e32 v47, vcc, v49, v52, vcc
	v_xor_b32_e32 v60, v46, v52
	v_xor_b32_e32 v53, v47, v52
	v_mad_u64_u32 v[46:47], s[10:11], v60, v51, 0
	v_mul_hi_u32 v48, v60, v50
	v_add_co_u32_e32 v61, vcc, v48, v46
	v_addc_co_u32_e32 v63, vcc, 0, v47, vcc
	v_mad_u64_u32 v[48:49], s[10:11], v53, v50, 0
	v_add_co_u32_e32 v48, vcc, v61, v48
	v_mad_u64_u32 v[46:47], s[10:11], v53, v51, 0
	v_addc_co_u32_e32 v48, vcc, v63, v49, vcc
	v_addc_co_u32_e32 v47, vcc, 0, v47, vcc
	v_add_co_u32_e32 v48, vcc, v48, v46
	v_addc_co_u32_e32 v49, vcc, 0, v47, vcc
	v_mul_lo_u32 v50, v59, v48
	v_mul_lo_u32 v51, v62, v49
	v_mad_u64_u32 v[46:47], s[10:11], v62, v48, 0
	v_add3_u32 v47, v47, v51, v50
	v_sub_u32_e32 v50, v53, v47
	v_sub_co_u32_e32 v46, vcc, v60, v46
	v_subb_co_u32_e64 v50, s[10:11], v50, v59, vcc
	v_sub_co_u32_e64 v51, s[10:11], v46, v62
	v_subbrev_co_u32_e64 v50, s[10:11], 0, v50, s[10:11]
	v_cmp_ge_u32_e64 s[10:11], v50, v59
	v_cndmask_b32_e64 v60, 0, -1, s[10:11]
	v_cmp_ge_u32_e64 s[10:11], v51, v62
	v_cndmask_b32_e64 v51, 0, -1, s[10:11]
	v_cmp_eq_u32_e64 s[10:11], v50, v59
	v_cndmask_b32_e64 v50, v60, v51, s[10:11]
	v_add_co_u32_e64 v51, s[10:11], 2, v48
	v_subb_co_u32_e32 v47, vcc, v53, v47, vcc
	v_addc_co_u32_e64 v60, s[10:11], 0, v49, s[10:11]
	v_cmp_ge_u32_e32 vcc, v47, v59
	v_add_co_u32_e64 v61, s[10:11], 1, v48
	v_cndmask_b32_e64 v53, 0, -1, vcc
	v_cmp_ge_u32_e32 vcc, v46, v62
	v_addc_co_u32_e64 v63, s[10:11], 0, v49, s[10:11]
	v_cndmask_b32_e64 v46, 0, -1, vcc
	v_cmp_eq_u32_e32 vcc, v47, v59
	v_cmp_ne_u32_e64 s[10:11], 0, v50
	v_cndmask_b32_e32 v46, v53, v46, vcc
	v_cndmask_b32_e64 v50, v63, v60, s[10:11]
	v_cmp_ne_u32_e32 vcc, 0, v46
	v_cndmask_b32_e64 v47, v61, v51, s[10:11]
	v_cndmask_b32_e32 v46, v49, v50, vcc
	v_cndmask_b32_e32 v47, v48, v47, vcc
	v_xor_b32_e32 v3, v52, v3
	v_xor_b32_e32 v48, v46, v3
	;; [unrolled: 1-line block ×3, first 2 shown]
	v_sub_co_u32_e32 v46, vcc, v46, v3
	v_subb_co_u32_e32 v47, vcc, v48, v3, vcc
                                        ; implicit-def: $vgpr50_vgpr51
                                        ; implicit-def: $vgpr48_vgpr49
.LBB124_26:                             ;   in Loop: Header=BB124_4 Depth=1
	s_andn2_saveexec_b64 s[10:11], s[22:23]
	s_cbranch_execz .LBB124_28
; %bb.27:                               ;   in Loop: Header=BB124_4 Depth=1
	v_cvt_f32_u32_e32 v3, v50
	v_sub_u32_e32 v46, 0, v50
	v_rcp_iflag_f32_e32 v3, v3
	v_mul_f32_e32 v3, 0x4f7ffffe, v3
	v_cvt_u32_f32_e32 v3, v3
	v_mul_lo_u32 v46, v46, v3
	v_mul_hi_u32 v46, v3, v46
	v_add_u32_e32 v3, v3, v46
	v_mul_hi_u32 v3, v48, v3
	v_mul_lo_u32 v46, v3, v50
	v_sub_u32_e32 v46, v48, v46
	v_add_u32_e32 v47, 1, v3
	v_sub_u32_e32 v48, v46, v50
	v_cmp_ge_u32_e32 vcc, v46, v50
	v_cndmask_b32_e32 v46, v46, v48, vcc
	v_cndmask_b32_e32 v3, v3, v47, vcc
	v_add_u32_e32 v47, 1, v3
	v_cmp_ge_u32_e32 vcc, v46, v50
	v_cndmask_b32_e32 v46, v3, v47, vcc
	v_mov_b32_e32 v47, v2
.LBB124_28:                             ;   in Loop: Header=BB124_4 Depth=1
	s_or_b64 exec, exec, s[10:11]
	v_or_b32_e32 v3, v43, v45
	v_cmp_ne_u64_e32 vcc, 0, v[2:3]
                                        ; implicit-def: $vgpr48_vgpr49
	s_and_saveexec_b64 s[10:11], vcc
	s_xor_b64 s[22:23], exec, s[10:11]
	s_cbranch_execnz .LBB124_34
; %bb.29:                               ;   in Loop: Header=BB124_4 Depth=1
	s_andn2_saveexec_b64 s[10:11], s[22:23]
	s_cbranch_execnz .LBB124_35
.LBB124_30:                             ;   in Loop: Header=BB124_4 Depth=1
	s_or_b64 exec, exec, s[10:11]
	s_and_saveexec_b64 s[10:11], s[8:9]
	s_cbranch_execnz .LBB124_36
.LBB124_31:                             ;   in Loop: Header=BB124_4 Depth=1
	s_or_b64 exec, exec, s[10:11]
	s_and_saveexec_b64 s[8:9], s[0:1]
	s_cbranch_execnz .LBB124_41
.LBB124_32:                             ;   in Loop: Header=BB124_4 Depth=1
	s_or_b64 exec, exec, s[8:9]
	s_and_saveexec_b64 s[0:1], s[2:3]
	s_cbranch_execnz .LBB124_42
.LBB124_33:                             ;   in Loop: Header=BB124_4 Depth=1
	s_or_b64 exec, exec, s[0:1]
	s_and_saveexec_b64 s[0:1], s[6:7]
	s_cbranch_execz .LBB124_3
	s_branch .LBB124_43
.LBB124_34:                             ;   in Loop: Header=BB124_4 Depth=1
	v_ashrrev_i32_e32 v3, 31, v45
	v_add_co_u32_e32 v44, vcc, v44, v3
	v_addc_co_u32_e32 v45, vcc, v45, v3, vcc
	v_xor_b32_e32 v59, v45, v3
	v_xor_b32_e32 v60, v44, v3
	v_cvt_f32_u32_e32 v44, v60
	v_cvt_f32_u32_e32 v45, v59
	v_sub_co_u32_e32 v51, vcc, 0, v60
	v_subb_co_u32_e32 v52, vcc, 0, v59, vcc
	v_mac_f32_e32 v44, 0x4f800000, v45
	v_rcp_f32_e32 v44, v44
	v_mul_f32_e32 v44, 0x5f7ffffc, v44
	v_mul_f32_e32 v45, 0x2f800000, v44
	v_trunc_f32_e32 v45, v45
	v_mac_f32_e32 v44, 0xcf800000, v45
	v_cvt_u32_f32_e32 v50, v44
	v_cvt_u32_f32_e32 v53, v45
	v_mul_lo_u32 v48, v52, v50
	v_mad_u64_u32 v[44:45], s[10:11], v51, v50, 0
	v_mul_lo_u32 v49, v51, v53
	v_add3_u32 v45, v45, v49, v48
	v_mad_u64_u32 v[48:49], s[10:11], v50, v45, 0
	v_mul_hi_u32 v61, v50, v44
	v_add_co_u32_e32 v61, vcc, v61, v48
	v_addc_co_u32_e32 v62, vcc, 0, v49, vcc
	v_mad_u64_u32 v[48:49], s[10:11], v53, v45, 0
	v_mad_u64_u32 v[44:45], s[10:11], v53, v44, 0
	v_add_co_u32_e32 v44, vcc, v61, v44
	v_addc_co_u32_e32 v44, vcc, v62, v45, vcc
	v_addc_co_u32_e32 v45, vcc, 0, v49, vcc
	v_add_co_u32_e32 v44, vcc, v44, v48
	v_addc_co_u32_e32 v45, vcc, 0, v45, vcc
	v_add_co_u32_e32 v61, vcc, v50, v44
	v_addc_co_u32_e32 v62, vcc, v53, v45, vcc
	v_mul_lo_u32 v48, v51, v62
	v_mul_lo_u32 v49, v52, v61
	v_mad_u64_u32 v[44:45], s[10:11], v51, v61, 0
	v_add3_u32 v45, v45, v48, v49
	v_mad_u64_u32 v[50:51], s[10:11], v62, v44, 0
	v_mad_u64_u32 v[52:53], s[10:11], v61, v45, 0
	v_mul_hi_u32 v44, v61, v44
	v_add_co_u32_e32 v44, vcc, v44, v52
	v_mad_u64_u32 v[48:49], s[10:11], v62, v45, 0
	v_addc_co_u32_e32 v45, vcc, 0, v53, vcc
	v_add_co_u32_e32 v44, vcc, v44, v50
	v_addc_co_u32_e32 v44, vcc, v45, v51, vcc
	v_addc_co_u32_e32 v45, vcc, 0, v49, vcc
	v_add_co_u32_e32 v44, vcc, v44, v48
	v_addc_co_u32_e32 v45, vcc, 0, v45, vcc
	v_add_co_u32_e32 v44, vcc, v61, v44
	v_addc_co_u32_e32 v45, vcc, v62, v45, vcc
	v_ashrrev_i32_e32 v48, 31, v43
	v_add_co_u32_e32 v42, vcc, v42, v48
	v_addc_co_u32_e32 v43, vcc, v43, v48, vcc
	v_xor_b32_e32 v50, v42, v48
	v_xor_b32_e32 v49, v43, v48
	v_mad_u64_u32 v[42:43], s[10:11], v50, v45, 0
	v_mul_hi_u32 v51, v50, v44
	v_add_co_u32_e32 v51, vcc, v51, v42
	v_addc_co_u32_e32 v52, vcc, 0, v43, vcc
	v_mad_u64_u32 v[42:43], s[10:11], v49, v45, 0
	v_mad_u64_u32 v[44:45], s[10:11], v49, v44, 0
	v_add_co_u32_e32 v44, vcc, v51, v44
	v_addc_co_u32_e32 v44, vcc, v52, v45, vcc
	v_addc_co_u32_e32 v43, vcc, 0, v43, vcc
	v_add_co_u32_e32 v44, vcc, v44, v42
	v_addc_co_u32_e32 v45, vcc, 0, v43, vcc
	v_mul_lo_u32 v51, v59, v44
	v_mul_lo_u32 v52, v60, v45
	v_mad_u64_u32 v[42:43], s[10:11], v60, v44, 0
	v_add3_u32 v43, v43, v52, v51
	v_sub_u32_e32 v51, v49, v43
	v_sub_co_u32_e32 v42, vcc, v50, v42
	v_subb_co_u32_e64 v50, s[10:11], v51, v59, vcc
	v_sub_co_u32_e64 v51, s[10:11], v42, v60
	v_subbrev_co_u32_e64 v50, s[10:11], 0, v50, s[10:11]
	v_cmp_ge_u32_e64 s[10:11], v50, v59
	v_cndmask_b32_e64 v52, 0, -1, s[10:11]
	v_cmp_ge_u32_e64 s[10:11], v51, v60
	v_cndmask_b32_e64 v51, 0, -1, s[10:11]
	v_cmp_eq_u32_e64 s[10:11], v50, v59
	v_cndmask_b32_e64 v50, v52, v51, s[10:11]
	v_add_co_u32_e64 v51, s[10:11], 2, v44
	v_subb_co_u32_e32 v43, vcc, v49, v43, vcc
	v_addc_co_u32_e64 v52, s[10:11], 0, v45, s[10:11]
	v_cmp_ge_u32_e32 vcc, v43, v59
	v_add_co_u32_e64 v53, s[10:11], 1, v44
	v_cndmask_b32_e64 v49, 0, -1, vcc
	v_cmp_ge_u32_e32 vcc, v42, v60
	v_addc_co_u32_e64 v61, s[10:11], 0, v45, s[10:11]
	v_cndmask_b32_e64 v42, 0, -1, vcc
	v_cmp_eq_u32_e32 vcc, v43, v59
	v_cmp_ne_u32_e64 s[10:11], 0, v50
	v_cndmask_b32_e32 v42, v49, v42, vcc
	v_cmp_ne_u32_e32 vcc, 0, v42
	v_cndmask_b32_e64 v43, v53, v51, s[10:11]
	v_cndmask_b32_e64 v50, v61, v52, s[10:11]
	v_cndmask_b32_e32 v43, v44, v43, vcc
	v_xor_b32_e32 v3, v48, v3
	v_cndmask_b32_e32 v42, v45, v50, vcc
	v_xor_b32_e32 v43, v43, v3
	v_xor_b32_e32 v42, v42, v3
	v_sub_co_u32_e32 v48, vcc, v43, v3
	v_subb_co_u32_e32 v49, vcc, v42, v3, vcc
                                        ; implicit-def: $vgpr44_vgpr45
                                        ; implicit-def: $vgpr42_vgpr43
	s_andn2_saveexec_b64 s[10:11], s[22:23]
	s_cbranch_execz .LBB124_30
.LBB124_35:                             ;   in Loop: Header=BB124_4 Depth=1
	v_cvt_f32_u32_e32 v3, v44
	v_sub_u32_e32 v43, 0, v44
	v_mov_b32_e32 v49, v2
	v_rcp_iflag_f32_e32 v3, v3
	v_mul_f32_e32 v3, 0x4f7ffffe, v3
	v_cvt_u32_f32_e32 v3, v3
	v_mul_lo_u32 v43, v43, v3
	v_mul_hi_u32 v43, v3, v43
	v_add_u32_e32 v3, v3, v43
	v_mul_hi_u32 v3, v42, v3
	v_mul_lo_u32 v43, v3, v44
	v_sub_u32_e32 v42, v42, v43
	v_add_u32_e32 v45, 1, v3
	v_sub_u32_e32 v43, v42, v44
	v_cmp_ge_u32_e32 vcc, v42, v44
	v_cndmask_b32_e32 v42, v42, v43, vcc
	v_cndmask_b32_e32 v3, v3, v45, vcc
	v_add_u32_e32 v43, 1, v3
	v_cmp_ge_u32_e32 vcc, v42, v44
	v_cndmask_b32_e32 v48, v3, v43, vcc
	s_or_b64 exec, exec, s[10:11]
	s_and_saveexec_b64 s[10:11], s[8:9]
	s_cbranch_execz .LBB124_31
.LBB124_36:                             ;   in Loop: Header=BB124_4 Depth=1
	v_or_b32_e32 v3, v35, v39
	v_cmp_ne_u64_e32 vcc, 0, v[2:3]
                                        ; implicit-def: $vgpr42_vgpr43
	s_and_saveexec_b64 s[8:9], vcc
	s_xor_b64 s[22:23], exec, s[8:9]
	s_cbranch_execz .LBB124_38
; %bb.37:                               ;   in Loop: Header=BB124_4 Depth=1
	v_ashrrev_i32_e32 v3, 31, v39
	v_add_co_u32_e32 v38, vcc, v38, v3
	v_addc_co_u32_e32 v39, vcc, v39, v3, vcc
	v_xor_b32_e32 v52, v39, v3
	v_xor_b32_e32 v53, v38, v3
	v_cvt_f32_u32_e32 v38, v53
	v_cvt_f32_u32_e32 v39, v52
	v_sub_co_u32_e32 v45, vcc, 0, v53
	v_subb_co_u32_e32 v50, vcc, 0, v52, vcc
	v_mac_f32_e32 v38, 0x4f800000, v39
	v_rcp_f32_e32 v38, v38
	v_mul_f32_e32 v38, 0x5f7ffffc, v38
	v_mul_f32_e32 v39, 0x2f800000, v38
	v_trunc_f32_e32 v39, v39
	v_mac_f32_e32 v38, 0xcf800000, v39
	v_cvt_u32_f32_e32 v44, v38
	v_cvt_u32_f32_e32 v51, v39
	v_mul_lo_u32 v42, v50, v44
	v_mad_u64_u32 v[38:39], s[8:9], v45, v44, 0
	v_mul_lo_u32 v43, v45, v51
	v_add3_u32 v39, v39, v43, v42
	v_mad_u64_u32 v[42:43], s[8:9], v44, v39, 0
	v_mul_hi_u32 v59, v44, v38
	v_add_co_u32_e32 v59, vcc, v59, v42
	v_addc_co_u32_e32 v60, vcc, 0, v43, vcc
	v_mad_u64_u32 v[42:43], s[8:9], v51, v39, 0
	v_mad_u64_u32 v[38:39], s[8:9], v51, v38, 0
	v_add_co_u32_e32 v38, vcc, v59, v38
	v_addc_co_u32_e32 v38, vcc, v60, v39, vcc
	v_addc_co_u32_e32 v39, vcc, 0, v43, vcc
	v_add_co_u32_e32 v38, vcc, v38, v42
	v_addc_co_u32_e32 v39, vcc, 0, v39, vcc
	v_add_co_u32_e32 v59, vcc, v44, v38
	v_addc_co_u32_e32 v60, vcc, v51, v39, vcc
	v_mul_lo_u32 v42, v45, v60
	v_mul_lo_u32 v43, v50, v59
	v_mad_u64_u32 v[38:39], s[8:9], v45, v59, 0
	v_add3_u32 v39, v39, v42, v43
	v_mad_u64_u32 v[44:45], s[8:9], v60, v38, 0
	v_mad_u64_u32 v[50:51], s[8:9], v59, v39, 0
	v_mul_hi_u32 v38, v59, v38
	v_add_co_u32_e32 v38, vcc, v38, v50
	v_mad_u64_u32 v[42:43], s[8:9], v60, v39, 0
	v_addc_co_u32_e32 v39, vcc, 0, v51, vcc
	v_add_co_u32_e32 v38, vcc, v38, v44
	v_addc_co_u32_e32 v38, vcc, v39, v45, vcc
	v_addc_co_u32_e32 v39, vcc, 0, v43, vcc
	v_add_co_u32_e32 v38, vcc, v38, v42
	v_addc_co_u32_e32 v39, vcc, 0, v39, vcc
	v_add_co_u32_e32 v38, vcc, v59, v38
	v_addc_co_u32_e32 v39, vcc, v60, v39, vcc
	v_ashrrev_i32_e32 v42, 31, v35
	v_add_co_u32_e32 v34, vcc, v34, v42
	v_addc_co_u32_e32 v35, vcc, v35, v42, vcc
	v_xor_b32_e32 v44, v34, v42
	v_xor_b32_e32 v43, v35, v42
	v_mad_u64_u32 v[34:35], s[8:9], v44, v39, 0
	v_mul_hi_u32 v45, v44, v38
	v_add_co_u32_e32 v45, vcc, v45, v34
	v_addc_co_u32_e32 v50, vcc, 0, v35, vcc
	v_mad_u64_u32 v[34:35], s[8:9], v43, v39, 0
	v_mad_u64_u32 v[38:39], s[8:9], v43, v38, 0
	v_add_co_u32_e32 v38, vcc, v45, v38
	v_addc_co_u32_e32 v38, vcc, v50, v39, vcc
	v_addc_co_u32_e32 v35, vcc, 0, v35, vcc
	v_add_co_u32_e32 v38, vcc, v38, v34
	v_addc_co_u32_e32 v39, vcc, 0, v35, vcc
	v_mul_lo_u32 v45, v52, v38
	v_mul_lo_u32 v50, v53, v39
	v_mad_u64_u32 v[34:35], s[8:9], v53, v38, 0
	v_add3_u32 v35, v35, v50, v45
	v_sub_u32_e32 v45, v43, v35
	v_sub_co_u32_e32 v34, vcc, v44, v34
	v_subb_co_u32_e64 v44, s[8:9], v45, v52, vcc
	v_sub_co_u32_e64 v45, s[8:9], v34, v53
	v_subbrev_co_u32_e64 v44, s[8:9], 0, v44, s[8:9]
	v_cmp_ge_u32_e64 s[8:9], v44, v52
	v_cndmask_b32_e64 v50, 0, -1, s[8:9]
	v_cmp_ge_u32_e64 s[8:9], v45, v53
	v_cndmask_b32_e64 v45, 0, -1, s[8:9]
	v_cmp_eq_u32_e64 s[8:9], v44, v52
	v_cndmask_b32_e64 v44, v50, v45, s[8:9]
	v_add_co_u32_e64 v45, s[8:9], 2, v38
	v_subb_co_u32_e32 v35, vcc, v43, v35, vcc
	v_addc_co_u32_e64 v50, s[8:9], 0, v39, s[8:9]
	v_cmp_ge_u32_e32 vcc, v35, v52
	v_add_co_u32_e64 v51, s[8:9], 1, v38
	v_cndmask_b32_e64 v43, 0, -1, vcc
	v_cmp_ge_u32_e32 vcc, v34, v53
	v_addc_co_u32_e64 v59, s[8:9], 0, v39, s[8:9]
	v_cndmask_b32_e64 v34, 0, -1, vcc
	v_cmp_eq_u32_e32 vcc, v35, v52
	v_cmp_ne_u32_e64 s[8:9], 0, v44
	v_cndmask_b32_e32 v34, v43, v34, vcc
	v_cmp_ne_u32_e32 vcc, 0, v34
	v_cndmask_b32_e64 v35, v51, v45, s[8:9]
	v_cndmask_b32_e64 v44, v59, v50, s[8:9]
	v_cndmask_b32_e32 v35, v38, v35, vcc
	v_xor_b32_e32 v3, v42, v3
	v_cndmask_b32_e32 v34, v39, v44, vcc
	v_xor_b32_e32 v35, v35, v3
	v_xor_b32_e32 v34, v34, v3
	v_sub_co_u32_e32 v42, vcc, v35, v3
	v_subb_co_u32_e32 v43, vcc, v34, v3, vcc
                                        ; implicit-def: $vgpr38_vgpr39
                                        ; implicit-def: $vgpr34_vgpr35
.LBB124_38:                             ;   in Loop: Header=BB124_4 Depth=1
	s_andn2_saveexec_b64 s[8:9], s[22:23]
	s_cbranch_execz .LBB124_40
; %bb.39:                               ;   in Loop: Header=BB124_4 Depth=1
	v_cvt_f32_u32_e32 v3, v38
	v_sub_u32_e32 v35, 0, v38
	v_mov_b32_e32 v43, v2
	v_rcp_iflag_f32_e32 v3, v3
	v_mul_f32_e32 v3, 0x4f7ffffe, v3
	v_cvt_u32_f32_e32 v3, v3
	v_mul_lo_u32 v35, v35, v3
	v_mul_hi_u32 v35, v3, v35
	v_add_u32_e32 v3, v3, v35
	v_mul_hi_u32 v3, v34, v3
	v_mul_lo_u32 v35, v3, v38
	v_sub_u32_e32 v34, v34, v35
	v_add_u32_e32 v39, 1, v3
	v_sub_u32_e32 v35, v34, v38
	v_cmp_ge_u32_e32 vcc, v34, v38
	v_cndmask_b32_e32 v34, v34, v35, vcc
	v_cndmask_b32_e32 v3, v3, v39, vcc
	v_add_u32_e32 v35, 1, v3
	v_cmp_ge_u32_e32 vcc, v34, v38
	v_cndmask_b32_e32 v42, v3, v35, vcc
.LBB124_40:                             ;   in Loop: Header=BB124_4 Depth=1
	s_or_b64 exec, exec, s[8:9]
	v_mov_b32_e32 v3, s17
	v_add_co_u32_e32 v34, vcc, s16, v4
	v_addc_co_u32_e32 v35, vcc, v1, v3, vcc
	v_mad_u64_u32 v[28:29], s[8:9], v42, s12, v[28:29]
	v_mul_lo_u32 v3, v42, s13
	v_mul_lo_u32 v38, v43, s12
	v_add3_u32 v29, v38, v29, v3
	global_store_dwordx2 v[34:35], v[28:29], off
	s_or_b64 exec, exec, s[10:11]
	s_and_saveexec_b64 s[8:9], s[0:1]
	s_cbranch_execz .LBB124_32
.LBB124_41:                             ;   in Loop: Header=BB124_4 Depth=1
	v_mad_u64_u32 v[28:29], s[0:1], v40, s12, v[30:31]
	v_mul_lo_u32 v3, v40, s13
	v_mul_lo_u32 v30, v41, s12
	v_add3_u32 v29, v30, v29, v3
	v_mov_b32_e32 v3, s17
	v_add_co_u32_e32 v30, vcc, s16, v22
	v_addc_co_u32_e32 v31, vcc, v21, v3, vcc
	global_store_dwordx2 v[30:31], v[28:29], off
	s_or_b64 exec, exec, s[8:9]
	s_and_saveexec_b64 s[0:1], s[2:3]
	s_cbranch_execz .LBB124_33
.LBB124_42:                             ;   in Loop: Header=BB124_4 Depth=1
	v_mad_u64_u32 v[28:29], s[2:3], v46, s12, v[32:33]
	v_mul_lo_u32 v3, v46, s13
	v_mul_lo_u32 v30, v47, s12
	v_add3_u32 v29, v30, v29, v3
	v_mov_b32_e32 v3, s17
	v_add_co_u32_e32 v30, vcc, s16, v16
	v_addc_co_u32_e32 v31, vcc, v15, v3, vcc
	global_store_dwordx2 v[30:31], v[28:29], off
	s_or_b64 exec, exec, s[0:1]
	s_and_saveexec_b64 s[0:1], s[6:7]
	s_cbranch_execz .LBB124_3
.LBB124_43:                             ;   in Loop: Header=BB124_4 Depth=1
	v_mad_u64_u32 v[28:29], s[2:3], v48, s12, v[36:37]
	v_mul_lo_u32 v3, v48, s13
	v_mul_lo_u32 v30, v49, s12
	v_add3_u32 v29, v30, v29, v3
	v_mov_b32_e32 v3, s17
	v_add_co_u32_e32 v30, vcc, s16, v10
	v_addc_co_u32_e32 v31, vcc, v9, v3, vcc
	global_store_dwordx2 v[30:31], v[28:29], off
	s_branch .LBB124_3
.LBB124_44:
	s_mov_b64 s[8:9], 0
.LBB124_45:
	s_andn2_b64 vcc, exec, s[8:9]
	s_cbranch_vccnz .LBB124_65
; %bb.46:
	v_mov_b32_e32 v24, 0
	v_lshlrev_b32_e32 v2, 2, v0
	v_mov_b32_e32 v3, v24
	s_mov_b32 s8, 0
	v_cmp_gt_i64_e32 vcc, s[14:15], v[2:3]
	s_and_saveexec_b64 s[0:1], vcc
	s_cbranch_execz .LBB124_65
; %bb.47:
	s_load_dword s0, s[4:5], 0xdd4
	v_mov_b32_e32 v27, v24
	v_lshlrev_b32_e32 v28, 5, v0
	s_mov_b64 s[2:3], 0
	s_mov_b64 s[4:5], 0xffff
	s_waitcnt lgkmcnt(0)
	s_and_b32 s0, s0, 0xffff
	v_add_lshl_u32 v26, v0, s0, 2
	s_lshl_b32 s9, s0, 2
	s_lshl_b32 s10, s0, 5
	s_branch .LBB124_49
.LBB124_48:                             ;   in Loop: Header=BB124_49 Depth=1
	s_or_b64 exec, exec, s[0:1]
	s_waitcnt vmcnt(1)
	v_mad_u64_u32 v[0:1], s[0:1], v18, s12, v[0:1]
	s_waitcnt vmcnt(0)
	v_mad_u64_u32 v[6:7], s[0:1], v16, s12, v[6:7]
	v_mad_u64_u32 v[4:5], s[0:1], v32, s12, v[4:5]
	;; [unrolled: 1-line block ×3, first 2 shown]
	v_cmp_le_i64_e32 vcc, s[14:15], v[26:27]
	v_cmp_lt_u64_e64 s[0:1], s[4:5], v[26:27]
	s_or_b64 s[0:1], vcc, s[0:1]
	s_add_u32 s24, s24, s10
	s_addc_u32 s25, s25, 0
	v_mul_lo_u32 v10, v18, s13
	v_mul_lo_u32 v11, v19, s12
	s_add_u32 s28, s28, s10
	v_add3_u32 v1, v11, v1, v10
	v_mul_lo_u32 v10, v16, s13
	v_mul_lo_u32 v11, v17, s12
	s_addc_u32 s29, s29, 0
	v_add3_u32 v7, v11, v7, v10
	v_mul_lo_u32 v10, v32, s13
	v_mul_lo_u32 v11, v33, s12
	s_add_u32 s26, s26, s10
	v_add3_u32 v5, v11, v5, v10
	v_mul_lo_u32 v10, v8, s13
	v_mul_lo_u32 v9, v9, s12
	s_addc_u32 s27, s27, 0
	v_add3_u32 v3, v9, v3, v10
	global_store_dwordx4 v[30:31], v[4:7], off
	global_store_dwordx4 v[30:31], v[0:3], off offset:16
	s_and_b64 s[0:1], exec, s[0:1]
	v_mov_b32_e32 v0, s8
	v_add_co_u32_e32 v26, vcc, s9, v26
	s_or_b64 s[2:3], s[0:1], s[2:3]
	v_addc_co_u32_e32 v27, vcc, v27, v0, vcc
	s_andn2_b64 exec, exec, s[2:3]
	s_cbranch_execz .LBB124_65
.LBB124_49:                             ; =>This Inner Loop Header: Depth=1
	v_mov_b32_e32 v0, s25
	v_add_co_u32_e32 v30, vcc, s24, v28
	v_addc_co_u32_e32 v31, vcc, 0, v0, vcc
	v_mov_b32_e32 v1, s27
	v_add_co_u32_e32 v0, vcc, s26, v28
	v_addc_co_u32_e32 v1, vcc, 0, v1, vcc
	global_load_dwordx4 v[8:11], v[0:1], off offset:16
	global_load_dwordx4 v[16:19], v[0:1], off
	v_mov_b32_e32 v0, s29
	v_add_co_u32_e32 v32, vcc, s28, v28
	v_addc_co_u32_e32 v33, vcc, 0, v0, vcc
	global_load_dwordx4 v[12:15], v[32:33], off offset:16
	global_load_dwordx4 v[20:23], v[32:33], off
	global_load_dwordx4 v[0:3], v[30:31], off offset:16
	global_load_dwordx4 v[4:7], v[30:31], off
                                        ; implicit-def: $vgpr32_vgpr33
	s_waitcnt vmcnt(2)
	v_or_b32_e32 v25, v17, v21
	v_cmp_ne_u64_e32 vcc, 0, v[24:25]
	s_and_saveexec_b64 s[0:1], vcc
	s_xor_b64 s[6:7], exec, s[0:1]
	s_cbranch_execz .LBB124_51
; %bb.50:                               ;   in Loop: Header=BB124_49 Depth=1
	v_ashrrev_i32_e32 v25, 31, v21
	v_add_co_u32_e32 v29, vcc, v20, v25
	v_addc_co_u32_e32 v21, vcc, v21, v25, vcc
	v_xor_b32_e32 v21, v21, v25
	v_xor_b32_e32 v29, v29, v25
	v_cvt_f32_u32_e32 v32, v29
	v_cvt_f32_u32_e32 v33, v21
	v_sub_co_u32_e32 v37, vcc, 0, v29
	v_subb_co_u32_e32 v38, vcc, 0, v21, vcc
	v_mac_f32_e32 v32, 0x4f800000, v33
	v_rcp_f32_e32 v32, v32
	v_mul_f32_e32 v32, 0x5f7ffffc, v32
	v_mul_f32_e32 v33, 0x2f800000, v32
	v_trunc_f32_e32 v33, v33
	v_mac_f32_e32 v32, 0xcf800000, v33
	v_cvt_u32_f32_e32 v36, v32
	v_cvt_u32_f32_e32 v39, v33
	v_mul_lo_u32 v34, v38, v36
	v_mad_u64_u32 v[32:33], s[0:1], v37, v36, 0
	v_mul_lo_u32 v35, v37, v39
	v_add3_u32 v33, v33, v35, v34
	v_mad_u64_u32 v[34:35], s[0:1], v36, v33, 0
	v_mul_hi_u32 v40, v36, v32
	v_add_co_u32_e32 v40, vcc, v40, v34
	v_addc_co_u32_e32 v41, vcc, 0, v35, vcc
	v_mad_u64_u32 v[34:35], s[0:1], v39, v33, 0
	v_mad_u64_u32 v[32:33], s[0:1], v39, v32, 0
	v_add_co_u32_e32 v32, vcc, v40, v32
	v_addc_co_u32_e32 v32, vcc, v41, v33, vcc
	v_addc_co_u32_e32 v33, vcc, 0, v35, vcc
	v_add_co_u32_e32 v32, vcc, v32, v34
	v_addc_co_u32_e32 v33, vcc, 0, v33, vcc
	v_add_co_u32_e32 v40, vcc, v36, v32
	v_addc_co_u32_e32 v41, vcc, v39, v33, vcc
	v_mul_lo_u32 v34, v37, v41
	v_mul_lo_u32 v35, v38, v40
	v_mad_u64_u32 v[32:33], s[0:1], v37, v40, 0
	v_add3_u32 v33, v33, v34, v35
	v_mad_u64_u32 v[36:37], s[0:1], v41, v32, 0
	v_mad_u64_u32 v[38:39], s[0:1], v40, v33, 0
	v_mul_hi_u32 v32, v40, v32
	v_add_co_u32_e32 v32, vcc, v32, v38
	v_mad_u64_u32 v[34:35], s[0:1], v41, v33, 0
	v_addc_co_u32_e32 v33, vcc, 0, v39, vcc
	v_add_co_u32_e32 v32, vcc, v32, v36
	v_addc_co_u32_e32 v32, vcc, v33, v37, vcc
	v_addc_co_u32_e32 v33, vcc, 0, v35, vcc
	v_add_co_u32_e32 v32, vcc, v32, v34
	v_addc_co_u32_e32 v33, vcc, 0, v33, vcc
	v_add_co_u32_e32 v34, vcc, v40, v32
	v_addc_co_u32_e32 v35, vcc, v41, v33, vcc
	v_ashrrev_i32_e32 v36, 31, v17
	v_add_co_u32_e32 v32, vcc, v16, v36
	v_xor_b32_e32 v37, v32, v36
	v_addc_co_u32_e32 v17, vcc, v17, v36, vcc
	v_mad_u64_u32 v[32:33], s[0:1], v37, v35, 0
	v_mul_hi_u32 v38, v37, v34
	v_xor_b32_e32 v17, v17, v36
	v_add_co_u32_e32 v38, vcc, v38, v32
	v_addc_co_u32_e32 v39, vcc, 0, v33, vcc
	v_mad_u64_u32 v[32:33], s[0:1], v17, v35, 0
	v_mad_u64_u32 v[34:35], s[0:1], v17, v34, 0
	v_add_co_u32_e32 v34, vcc, v38, v34
	v_addc_co_u32_e32 v34, vcc, v39, v35, vcc
	v_addc_co_u32_e32 v33, vcc, 0, v33, vcc
	v_add_co_u32_e32 v34, vcc, v34, v32
	v_addc_co_u32_e32 v35, vcc, 0, v33, vcc
	v_mul_lo_u32 v38, v21, v34
	v_mul_lo_u32 v39, v29, v35
	v_mad_u64_u32 v[32:33], s[0:1], v29, v34, 0
	v_add3_u32 v33, v33, v39, v38
	v_sub_u32_e32 v38, v17, v33
	v_sub_co_u32_e32 v32, vcc, v37, v32
	v_subb_co_u32_e64 v37, s[0:1], v38, v21, vcc
	v_sub_co_u32_e64 v38, s[0:1], v32, v29
	v_subbrev_co_u32_e64 v37, s[0:1], 0, v37, s[0:1]
	v_cmp_ge_u32_e64 s[0:1], v37, v21
	v_cndmask_b32_e64 v39, 0, -1, s[0:1]
	v_cmp_ge_u32_e64 s[0:1], v38, v29
	v_cndmask_b32_e64 v38, 0, -1, s[0:1]
	v_cmp_eq_u32_e64 s[0:1], v37, v21
	v_cndmask_b32_e64 v37, v39, v38, s[0:1]
	v_add_co_u32_e64 v38, s[0:1], 2, v34
	v_subb_co_u32_e32 v17, vcc, v17, v33, vcc
	v_addc_co_u32_e64 v39, s[0:1], 0, v35, s[0:1]
	v_cmp_ge_u32_e32 vcc, v17, v21
	v_add_co_u32_e64 v40, s[0:1], 1, v34
	v_cndmask_b32_e64 v33, 0, -1, vcc
	v_cmp_ge_u32_e32 vcc, v32, v29
	v_addc_co_u32_e64 v41, s[0:1], 0, v35, s[0:1]
	v_cndmask_b32_e64 v29, 0, -1, vcc
	v_cmp_eq_u32_e32 vcc, v17, v21
	v_cmp_ne_u32_e64 s[0:1], 0, v37
	v_cndmask_b32_e32 v17, v33, v29, vcc
	v_cmp_ne_u32_e32 vcc, 0, v17
	v_cndmask_b32_e64 v21, v40, v38, s[0:1]
	v_cndmask_b32_e64 v37, v41, v39, s[0:1]
	v_cndmask_b32_e32 v21, v34, v21, vcc
	v_xor_b32_e32 v25, v36, v25
	v_cndmask_b32_e32 v17, v35, v37, vcc
	v_xor_b32_e32 v21, v21, v25
	v_xor_b32_e32 v17, v17, v25
	v_sub_co_u32_e32 v32, vcc, v21, v25
	v_subb_co_u32_e32 v33, vcc, v17, v25, vcc
.LBB124_51:                             ;   in Loop: Header=BB124_49 Depth=1
	s_andn2_saveexec_b64 s[0:1], s[6:7]
	s_cbranch_execz .LBB124_53
; %bb.52:                               ;   in Loop: Header=BB124_49 Depth=1
	v_cvt_f32_u32_e32 v17, v20
	v_sub_u32_e32 v21, 0, v20
	v_mov_b32_e32 v33, v24
	v_rcp_iflag_f32_e32 v17, v17
	v_mul_f32_e32 v17, 0x4f7ffffe, v17
	v_cvt_u32_f32_e32 v17, v17
	v_mul_lo_u32 v21, v21, v17
	v_mul_hi_u32 v21, v17, v21
	v_add_u32_e32 v17, v17, v21
	v_mul_hi_u32 v17, v16, v17
	v_mul_lo_u32 v21, v17, v20
	v_sub_u32_e32 v16, v16, v21
	v_add_u32_e32 v25, 1, v17
	v_sub_u32_e32 v21, v16, v20
	v_cmp_ge_u32_e32 vcc, v16, v20
	v_cndmask_b32_e32 v16, v16, v21, vcc
	v_cndmask_b32_e32 v17, v17, v25, vcc
	v_add_u32_e32 v21, 1, v17
	v_cmp_ge_u32_e32 vcc, v16, v20
	v_cndmask_b32_e32 v32, v17, v21, vcc
.LBB124_53:                             ;   in Loop: Header=BB124_49 Depth=1
	s_or_b64 exec, exec, s[0:1]
	v_or_b32_e32 v25, v19, v23
	v_cmp_ne_u64_e32 vcc, 0, v[24:25]
                                        ; implicit-def: $vgpr16_vgpr17
	s_and_saveexec_b64 s[0:1], vcc
	s_xor_b64 s[6:7], exec, s[0:1]
	s_cbranch_execz .LBB124_55
; %bb.54:                               ;   in Loop: Header=BB124_49 Depth=1
	v_ashrrev_i32_e32 v25, 31, v23
	v_add_co_u32_e32 v16, vcc, v22, v25
	v_addc_co_u32_e32 v17, vcc, v23, v25, vcc
	v_xor_b32_e32 v29, v17, v25
	v_xor_b32_e32 v36, v16, v25
	v_cvt_f32_u32_e32 v16, v36
	v_cvt_f32_u32_e32 v17, v29
	v_sub_co_u32_e32 v23, vcc, 0, v36
	v_subb_co_u32_e32 v34, vcc, 0, v29, vcc
	v_mac_f32_e32 v16, 0x4f800000, v17
	v_rcp_f32_e32 v16, v16
	v_mul_f32_e32 v16, 0x5f7ffffc, v16
	v_mul_f32_e32 v17, 0x2f800000, v16
	v_trunc_f32_e32 v17, v17
	v_mac_f32_e32 v16, 0xcf800000, v17
	v_cvt_u32_f32_e32 v22, v16
	v_cvt_u32_f32_e32 v35, v17
	v_mul_lo_u32 v20, v34, v22
	v_mad_u64_u32 v[16:17], s[0:1], v23, v22, 0
	v_mul_lo_u32 v21, v23, v35
	v_add3_u32 v17, v17, v21, v20
	v_mad_u64_u32 v[20:21], s[0:1], v22, v17, 0
	v_mul_hi_u32 v37, v22, v16
	v_add_co_u32_e32 v37, vcc, v37, v20
	v_addc_co_u32_e32 v38, vcc, 0, v21, vcc
	v_mad_u64_u32 v[20:21], s[0:1], v35, v17, 0
	v_mad_u64_u32 v[16:17], s[0:1], v35, v16, 0
	v_add_co_u32_e32 v16, vcc, v37, v16
	v_addc_co_u32_e32 v16, vcc, v38, v17, vcc
	v_addc_co_u32_e32 v17, vcc, 0, v21, vcc
	v_add_co_u32_e32 v16, vcc, v16, v20
	v_addc_co_u32_e32 v17, vcc, 0, v17, vcc
	v_add_co_u32_e32 v37, vcc, v22, v16
	v_addc_co_u32_e32 v38, vcc, v35, v17, vcc
	v_mul_lo_u32 v20, v23, v38
	v_mul_lo_u32 v21, v34, v37
	v_mad_u64_u32 v[16:17], s[0:1], v23, v37, 0
	v_add3_u32 v17, v17, v20, v21
	v_mad_u64_u32 v[22:23], s[0:1], v38, v16, 0
	v_mad_u64_u32 v[34:35], s[0:1], v37, v17, 0
	v_mul_hi_u32 v16, v37, v16
	v_add_co_u32_e32 v16, vcc, v16, v34
	v_mad_u64_u32 v[20:21], s[0:1], v38, v17, 0
	v_addc_co_u32_e32 v17, vcc, 0, v35, vcc
	v_add_co_u32_e32 v16, vcc, v16, v22
	v_addc_co_u32_e32 v16, vcc, v17, v23, vcc
	v_addc_co_u32_e32 v17, vcc, 0, v21, vcc
	v_add_co_u32_e32 v16, vcc, v16, v20
	v_addc_co_u32_e32 v17, vcc, 0, v17, vcc
	v_add_co_u32_e32 v20, vcc, v37, v16
	v_addc_co_u32_e32 v21, vcc, v38, v17, vcc
	v_ashrrev_i32_e32 v22, 31, v19
	v_add_co_u32_e32 v16, vcc, v18, v22
	v_addc_co_u32_e32 v17, vcc, v19, v22, vcc
	v_xor_b32_e32 v34, v16, v22
	v_xor_b32_e32 v23, v17, v22
	v_mad_u64_u32 v[16:17], s[0:1], v34, v21, 0
	v_mul_hi_u32 v18, v34, v20
	v_add_co_u32_e32 v35, vcc, v18, v16
	v_addc_co_u32_e32 v37, vcc, 0, v17, vcc
	v_mad_u64_u32 v[18:19], s[0:1], v23, v20, 0
	v_add_co_u32_e32 v18, vcc, v35, v18
	v_mad_u64_u32 v[16:17], s[0:1], v23, v21, 0
	v_addc_co_u32_e32 v18, vcc, v37, v19, vcc
	v_addc_co_u32_e32 v17, vcc, 0, v17, vcc
	v_add_co_u32_e32 v18, vcc, v18, v16
	v_addc_co_u32_e32 v19, vcc, 0, v17, vcc
	v_mul_lo_u32 v20, v29, v18
	v_mul_lo_u32 v21, v36, v19
	v_mad_u64_u32 v[16:17], s[0:1], v36, v18, 0
	v_add3_u32 v17, v17, v21, v20
	v_sub_u32_e32 v20, v23, v17
	v_sub_co_u32_e32 v16, vcc, v34, v16
	v_subb_co_u32_e64 v20, s[0:1], v20, v29, vcc
	v_sub_co_u32_e64 v21, s[0:1], v16, v36
	v_subbrev_co_u32_e64 v20, s[0:1], 0, v20, s[0:1]
	v_cmp_ge_u32_e64 s[0:1], v20, v29
	v_cndmask_b32_e64 v34, 0, -1, s[0:1]
	v_cmp_ge_u32_e64 s[0:1], v21, v36
	v_cndmask_b32_e64 v21, 0, -1, s[0:1]
	v_cmp_eq_u32_e64 s[0:1], v20, v29
	v_cndmask_b32_e64 v20, v34, v21, s[0:1]
	v_add_co_u32_e64 v21, s[0:1], 2, v18
	v_subb_co_u32_e32 v17, vcc, v23, v17, vcc
	v_addc_co_u32_e64 v34, s[0:1], 0, v19, s[0:1]
	v_cmp_ge_u32_e32 vcc, v17, v29
	v_add_co_u32_e64 v35, s[0:1], 1, v18
	v_cndmask_b32_e64 v23, 0, -1, vcc
	v_cmp_ge_u32_e32 vcc, v16, v36
	v_addc_co_u32_e64 v37, s[0:1], 0, v19, s[0:1]
	v_cndmask_b32_e64 v16, 0, -1, vcc
	v_cmp_eq_u32_e32 vcc, v17, v29
	v_cmp_ne_u32_e64 s[0:1], 0, v20
	v_cndmask_b32_e32 v16, v23, v16, vcc
	v_cndmask_b32_e64 v20, v37, v34, s[0:1]
	v_cmp_ne_u32_e32 vcc, 0, v16
	v_cndmask_b32_e64 v17, v35, v21, s[0:1]
	v_cndmask_b32_e32 v16, v19, v20, vcc
	v_cndmask_b32_e32 v17, v18, v17, vcc
	v_xor_b32_e32 v18, v22, v25
	v_xor_b32_e32 v19, v16, v18
	;; [unrolled: 1-line block ×3, first 2 shown]
	v_sub_co_u32_e32 v16, vcc, v16, v18
	v_subb_co_u32_e32 v17, vcc, v19, v18, vcc
                                        ; implicit-def: $vgpr22_vgpr23
                                        ; implicit-def: $vgpr18_vgpr19
.LBB124_55:                             ;   in Loop: Header=BB124_49 Depth=1
	s_andn2_saveexec_b64 s[0:1], s[6:7]
	s_cbranch_execz .LBB124_57
; %bb.56:                               ;   in Loop: Header=BB124_49 Depth=1
	v_cvt_f32_u32_e32 v16, v22
	v_sub_u32_e32 v17, 0, v22
	v_rcp_iflag_f32_e32 v16, v16
	v_mul_f32_e32 v16, 0x4f7ffffe, v16
	v_cvt_u32_f32_e32 v16, v16
	v_mul_lo_u32 v17, v17, v16
	v_mul_hi_u32 v17, v16, v17
	v_add_u32_e32 v16, v16, v17
	v_mul_hi_u32 v16, v18, v16
	v_mul_lo_u32 v17, v16, v22
	v_sub_u32_e32 v17, v18, v17
	v_add_u32_e32 v19, 1, v16
	v_sub_u32_e32 v18, v17, v22
	v_cmp_ge_u32_e32 vcc, v17, v22
	v_cndmask_b32_e32 v17, v17, v18, vcc
	v_cndmask_b32_e32 v16, v16, v19, vcc
	v_add_u32_e32 v18, 1, v16
	v_cmp_ge_u32_e32 vcc, v17, v22
	v_cndmask_b32_e32 v16, v16, v18, vcc
	v_mov_b32_e32 v17, v24
.LBB124_57:                             ;   in Loop: Header=BB124_49 Depth=1
	s_or_b64 exec, exec, s[0:1]
	v_or_b32_e32 v25, v9, v13
	v_cmp_ne_u64_e32 vcc, 0, v[24:25]
                                        ; implicit-def: $vgpr18_vgpr19
	s_and_saveexec_b64 s[0:1], vcc
	s_xor_b64 s[6:7], exec, s[0:1]
	s_cbranch_execz .LBB124_59
; %bb.58:                               ;   in Loop: Header=BB124_49 Depth=1
	v_ashrrev_i32_e32 v25, 31, v13
	v_add_co_u32_e32 v18, vcc, v12, v25
	v_addc_co_u32_e32 v13, vcc, v13, v25, vcc
	v_xor_b32_e32 v13, v13, v25
	v_xor_b32_e32 v29, v18, v25
	v_cvt_f32_u32_e32 v18, v29
	v_cvt_f32_u32_e32 v19, v13
	v_sub_co_u32_e32 v23, vcc, 0, v29
	v_subb_co_u32_e32 v34, vcc, 0, v13, vcc
	v_mac_f32_e32 v18, 0x4f800000, v19
	v_rcp_f32_e32 v18, v18
	v_mul_f32_e32 v18, 0x5f7ffffc, v18
	v_mul_f32_e32 v19, 0x2f800000, v18
	v_trunc_f32_e32 v19, v19
	v_mac_f32_e32 v18, 0xcf800000, v19
	v_cvt_u32_f32_e32 v22, v18
	v_cvt_u32_f32_e32 v35, v19
	v_mul_lo_u32 v20, v34, v22
	v_mad_u64_u32 v[18:19], s[0:1], v23, v22, 0
	v_mul_lo_u32 v21, v23, v35
	v_add3_u32 v19, v19, v21, v20
	v_mad_u64_u32 v[20:21], s[0:1], v22, v19, 0
	v_mul_hi_u32 v36, v22, v18
	v_add_co_u32_e32 v36, vcc, v36, v20
	v_addc_co_u32_e32 v37, vcc, 0, v21, vcc
	v_mad_u64_u32 v[20:21], s[0:1], v35, v19, 0
	v_mad_u64_u32 v[18:19], s[0:1], v35, v18, 0
	v_add_co_u32_e32 v18, vcc, v36, v18
	v_addc_co_u32_e32 v18, vcc, v37, v19, vcc
	v_addc_co_u32_e32 v19, vcc, 0, v21, vcc
	v_add_co_u32_e32 v18, vcc, v18, v20
	v_addc_co_u32_e32 v19, vcc, 0, v19, vcc
	v_add_co_u32_e32 v36, vcc, v22, v18
	v_addc_co_u32_e32 v37, vcc, v35, v19, vcc
	v_mul_lo_u32 v20, v23, v37
	v_mul_lo_u32 v21, v34, v36
	v_mad_u64_u32 v[18:19], s[0:1], v23, v36, 0
	v_add3_u32 v19, v19, v20, v21
	v_mad_u64_u32 v[22:23], s[0:1], v37, v18, 0
	v_mad_u64_u32 v[34:35], s[0:1], v36, v19, 0
	v_mul_hi_u32 v18, v36, v18
	v_add_co_u32_e32 v18, vcc, v18, v34
	v_mad_u64_u32 v[20:21], s[0:1], v37, v19, 0
	v_addc_co_u32_e32 v19, vcc, 0, v35, vcc
	v_add_co_u32_e32 v18, vcc, v18, v22
	v_addc_co_u32_e32 v18, vcc, v19, v23, vcc
	v_addc_co_u32_e32 v19, vcc, 0, v21, vcc
	v_add_co_u32_e32 v18, vcc, v18, v20
	v_addc_co_u32_e32 v19, vcc, 0, v19, vcc
	v_add_co_u32_e32 v20, vcc, v36, v18
	v_addc_co_u32_e32 v21, vcc, v37, v19, vcc
	v_ashrrev_i32_e32 v22, 31, v9
	v_add_co_u32_e32 v18, vcc, v8, v22
	v_xor_b32_e32 v23, v18, v22
	v_addc_co_u32_e32 v9, vcc, v9, v22, vcc
	v_mad_u64_u32 v[18:19], s[0:1], v23, v21, 0
	v_mul_hi_u32 v34, v23, v20
	v_xor_b32_e32 v9, v9, v22
	v_add_co_u32_e32 v34, vcc, v34, v18
	v_addc_co_u32_e32 v35, vcc, 0, v19, vcc
	v_mad_u64_u32 v[18:19], s[0:1], v9, v21, 0
	v_mad_u64_u32 v[20:21], s[0:1], v9, v20, 0
	v_add_co_u32_e32 v20, vcc, v34, v20
	v_addc_co_u32_e32 v20, vcc, v35, v21, vcc
	v_addc_co_u32_e32 v19, vcc, 0, v19, vcc
	v_add_co_u32_e32 v20, vcc, v20, v18
	v_addc_co_u32_e32 v21, vcc, 0, v19, vcc
	v_mul_lo_u32 v34, v13, v20
	v_mul_lo_u32 v35, v29, v21
	v_mad_u64_u32 v[18:19], s[0:1], v29, v20, 0
	v_add3_u32 v19, v19, v35, v34
	v_sub_u32_e32 v34, v9, v19
	v_sub_co_u32_e32 v18, vcc, v23, v18
	v_subb_co_u32_e64 v23, s[0:1], v34, v13, vcc
	v_sub_co_u32_e64 v34, s[0:1], v18, v29
	v_subbrev_co_u32_e64 v23, s[0:1], 0, v23, s[0:1]
	v_cmp_ge_u32_e64 s[0:1], v23, v13
	v_cndmask_b32_e64 v35, 0, -1, s[0:1]
	v_cmp_ge_u32_e64 s[0:1], v34, v29
	v_cndmask_b32_e64 v34, 0, -1, s[0:1]
	v_cmp_eq_u32_e64 s[0:1], v23, v13
	v_cndmask_b32_e64 v23, v35, v34, s[0:1]
	v_add_co_u32_e64 v34, s[0:1], 2, v20
	v_subb_co_u32_e32 v9, vcc, v9, v19, vcc
	v_addc_co_u32_e64 v35, s[0:1], 0, v21, s[0:1]
	v_cmp_ge_u32_e32 vcc, v9, v13
	v_add_co_u32_e64 v36, s[0:1], 1, v20
	v_cndmask_b32_e64 v19, 0, -1, vcc
	v_cmp_ge_u32_e32 vcc, v18, v29
	v_addc_co_u32_e64 v37, s[0:1], 0, v21, s[0:1]
	v_cndmask_b32_e64 v18, 0, -1, vcc
	v_cmp_eq_u32_e32 vcc, v9, v13
	v_cmp_ne_u32_e64 s[0:1], 0, v23
	v_cndmask_b32_e32 v9, v19, v18, vcc
	v_cmp_ne_u32_e32 vcc, 0, v9
	v_cndmask_b32_e64 v13, v36, v34, s[0:1]
	v_cndmask_b32_e64 v23, v37, v35, s[0:1]
	v_cndmask_b32_e32 v13, v20, v13, vcc
	v_xor_b32_e32 v19, v22, v25
	v_cndmask_b32_e32 v9, v21, v23, vcc
	v_xor_b32_e32 v13, v13, v19
	v_xor_b32_e32 v9, v9, v19
	v_sub_co_u32_e32 v18, vcc, v13, v19
	v_subb_co_u32_e32 v19, vcc, v9, v19, vcc
.LBB124_59:                             ;   in Loop: Header=BB124_49 Depth=1
	s_andn2_saveexec_b64 s[0:1], s[6:7]
	s_cbranch_execz .LBB124_61
; %bb.60:                               ;   in Loop: Header=BB124_49 Depth=1
	v_cvt_f32_u32_e32 v9, v12
	v_sub_u32_e32 v13, 0, v12
	v_mov_b32_e32 v19, v24
	v_rcp_iflag_f32_e32 v9, v9
	v_mul_f32_e32 v9, 0x4f7ffffe, v9
	v_cvt_u32_f32_e32 v9, v9
	v_mul_lo_u32 v13, v13, v9
	v_mul_hi_u32 v13, v9, v13
	v_add_u32_e32 v9, v9, v13
	v_mul_hi_u32 v9, v8, v9
	v_mul_lo_u32 v13, v9, v12
	v_sub_u32_e32 v8, v8, v13
	v_add_u32_e32 v18, 1, v9
	v_sub_u32_e32 v13, v8, v12
	v_cmp_ge_u32_e32 vcc, v8, v12
	v_cndmask_b32_e32 v8, v8, v13, vcc
	v_cndmask_b32_e32 v9, v9, v18, vcc
	v_add_u32_e32 v13, 1, v9
	v_cmp_ge_u32_e32 vcc, v8, v12
	v_cndmask_b32_e32 v18, v9, v13, vcc
.LBB124_61:                             ;   in Loop: Header=BB124_49 Depth=1
	s_or_b64 exec, exec, s[0:1]
	v_or_b32_e32 v25, v11, v15
	v_cmp_ne_u64_e32 vcc, 0, v[24:25]
                                        ; implicit-def: $vgpr8_vgpr9
	s_and_saveexec_b64 s[0:1], vcc
	s_xor_b64 s[6:7], exec, s[0:1]
	s_cbranch_execz .LBB124_63
; %bb.62:                               ;   in Loop: Header=BB124_49 Depth=1
	v_ashrrev_i32_e32 v22, 31, v15
	v_add_co_u32_e32 v8, vcc, v14, v22
	v_addc_co_u32_e32 v9, vcc, v15, v22, vcc
	v_xor_b32_e32 v23, v9, v22
	v_xor_b32_e32 v25, v8, v22
	v_cvt_f32_u32_e32 v8, v25
	v_cvt_f32_u32_e32 v9, v23
	v_sub_co_u32_e32 v15, vcc, 0, v25
	v_subb_co_u32_e32 v20, vcc, 0, v23, vcc
	v_mac_f32_e32 v8, 0x4f800000, v9
	v_rcp_f32_e32 v8, v8
	v_mul_f32_e32 v8, 0x5f7ffffc, v8
	v_mul_f32_e32 v9, 0x2f800000, v8
	v_trunc_f32_e32 v9, v9
	v_mac_f32_e32 v8, 0xcf800000, v9
	v_cvt_u32_f32_e32 v14, v8
	v_cvt_u32_f32_e32 v21, v9
	v_mul_lo_u32 v12, v20, v14
	v_mad_u64_u32 v[8:9], s[0:1], v15, v14, 0
	v_mul_lo_u32 v13, v15, v21
	v_add3_u32 v9, v9, v13, v12
	v_mad_u64_u32 v[12:13], s[0:1], v14, v9, 0
	v_mul_hi_u32 v29, v14, v8
	v_add_co_u32_e32 v29, vcc, v29, v12
	v_addc_co_u32_e32 v34, vcc, 0, v13, vcc
	v_mad_u64_u32 v[12:13], s[0:1], v21, v9, 0
	v_mad_u64_u32 v[8:9], s[0:1], v21, v8, 0
	v_add_co_u32_e32 v8, vcc, v29, v8
	v_addc_co_u32_e32 v8, vcc, v34, v9, vcc
	v_addc_co_u32_e32 v9, vcc, 0, v13, vcc
	v_add_co_u32_e32 v8, vcc, v8, v12
	v_addc_co_u32_e32 v9, vcc, 0, v9, vcc
	v_add_co_u32_e32 v29, vcc, v14, v8
	v_addc_co_u32_e32 v34, vcc, v21, v9, vcc
	v_mul_lo_u32 v12, v15, v34
	v_mul_lo_u32 v13, v20, v29
	v_mad_u64_u32 v[8:9], s[0:1], v15, v29, 0
	v_add3_u32 v9, v9, v12, v13
	v_mad_u64_u32 v[14:15], s[0:1], v34, v8, 0
	v_mad_u64_u32 v[20:21], s[0:1], v29, v9, 0
	v_mul_hi_u32 v8, v29, v8
	v_add_co_u32_e32 v8, vcc, v8, v20
	v_mad_u64_u32 v[12:13], s[0:1], v34, v9, 0
	v_addc_co_u32_e32 v9, vcc, 0, v21, vcc
	v_add_co_u32_e32 v8, vcc, v8, v14
	v_addc_co_u32_e32 v8, vcc, v9, v15, vcc
	v_addc_co_u32_e32 v9, vcc, 0, v13, vcc
	v_add_co_u32_e32 v8, vcc, v8, v12
	v_addc_co_u32_e32 v9, vcc, 0, v9, vcc
	v_add_co_u32_e32 v12, vcc, v29, v8
	v_addc_co_u32_e32 v13, vcc, v34, v9, vcc
	v_ashrrev_i32_e32 v14, 31, v11
	v_add_co_u32_e32 v8, vcc, v10, v14
	v_addc_co_u32_e32 v9, vcc, v11, v14, vcc
	v_xor_b32_e32 v20, v8, v14
	v_xor_b32_e32 v15, v9, v14
	v_mad_u64_u32 v[8:9], s[0:1], v20, v13, 0
	v_mul_hi_u32 v10, v20, v12
	v_add_co_u32_e32 v21, vcc, v10, v8
	v_addc_co_u32_e32 v29, vcc, 0, v9, vcc
	v_mad_u64_u32 v[10:11], s[0:1], v15, v12, 0
	v_add_co_u32_e32 v10, vcc, v21, v10
	v_mad_u64_u32 v[8:9], s[0:1], v15, v13, 0
	v_addc_co_u32_e32 v10, vcc, v29, v11, vcc
	v_addc_co_u32_e32 v9, vcc, 0, v9, vcc
	v_add_co_u32_e32 v10, vcc, v10, v8
	v_addc_co_u32_e32 v11, vcc, 0, v9, vcc
	v_mul_lo_u32 v12, v23, v10
	v_mul_lo_u32 v13, v25, v11
	v_mad_u64_u32 v[8:9], s[0:1], v25, v10, 0
	v_add3_u32 v9, v9, v13, v12
	v_sub_u32_e32 v12, v15, v9
	v_sub_co_u32_e32 v8, vcc, v20, v8
	v_subb_co_u32_e64 v12, s[0:1], v12, v23, vcc
	v_sub_co_u32_e64 v13, s[0:1], v8, v25
	v_subbrev_co_u32_e64 v12, s[0:1], 0, v12, s[0:1]
	v_cmp_ge_u32_e64 s[0:1], v12, v23
	v_cndmask_b32_e64 v20, 0, -1, s[0:1]
	v_cmp_ge_u32_e64 s[0:1], v13, v25
	v_cndmask_b32_e64 v13, 0, -1, s[0:1]
	v_cmp_eq_u32_e64 s[0:1], v12, v23
	v_cndmask_b32_e64 v12, v20, v13, s[0:1]
	v_add_co_u32_e64 v13, s[0:1], 2, v10
	v_subb_co_u32_e32 v9, vcc, v15, v9, vcc
	v_addc_co_u32_e64 v20, s[0:1], 0, v11, s[0:1]
	v_cmp_ge_u32_e32 vcc, v9, v23
	v_add_co_u32_e64 v21, s[0:1], 1, v10
	v_cndmask_b32_e64 v15, 0, -1, vcc
	v_cmp_ge_u32_e32 vcc, v8, v25
	v_addc_co_u32_e64 v29, s[0:1], 0, v11, s[0:1]
	v_cndmask_b32_e64 v8, 0, -1, vcc
	v_cmp_eq_u32_e32 vcc, v9, v23
	v_cmp_ne_u32_e64 s[0:1], 0, v12
	v_cndmask_b32_e32 v8, v15, v8, vcc
	v_cndmask_b32_e64 v12, v29, v20, s[0:1]
	v_cmp_ne_u32_e32 vcc, 0, v8
	v_cndmask_b32_e64 v9, v21, v13, s[0:1]
	v_cndmask_b32_e32 v8, v11, v12, vcc
	v_cndmask_b32_e32 v9, v10, v9, vcc
	v_xor_b32_e32 v10, v14, v22
	v_xor_b32_e32 v11, v8, v10
	;; [unrolled: 1-line block ×3, first 2 shown]
	v_sub_co_u32_e32 v8, vcc, v8, v10
	v_subb_co_u32_e32 v9, vcc, v11, v10, vcc
                                        ; implicit-def: $vgpr14_vgpr15
                                        ; implicit-def: $vgpr10_vgpr11
.LBB124_63:                             ;   in Loop: Header=BB124_49 Depth=1
	s_andn2_saveexec_b64 s[0:1], s[6:7]
	s_cbranch_execz .LBB124_48
; %bb.64:                               ;   in Loop: Header=BB124_49 Depth=1
	v_cvt_f32_u32_e32 v8, v14
	v_sub_u32_e32 v9, 0, v14
	v_rcp_iflag_f32_e32 v8, v8
	v_mul_f32_e32 v8, 0x4f7ffffe, v8
	v_cvt_u32_f32_e32 v8, v8
	v_mul_lo_u32 v9, v9, v8
	v_mul_hi_u32 v9, v8, v9
	v_add_u32_e32 v8, v8, v9
	v_mul_hi_u32 v8, v10, v8
	v_mul_lo_u32 v9, v8, v14
	v_sub_u32_e32 v9, v10, v9
	v_add_u32_e32 v11, 1, v8
	v_sub_u32_e32 v10, v9, v14
	v_cmp_ge_u32_e32 vcc, v9, v14
	v_cndmask_b32_e32 v9, v9, v10, vcc
	v_cndmask_b32_e32 v8, v8, v11, vcc
	v_add_u32_e32 v10, 1, v8
	v_cmp_ge_u32_e32 vcc, v9, v14
	v_cndmask_b32_e32 v8, v8, v10, vcc
	v_mov_b32_e32 v9, v24
	s_branch .LBB124_48
.LBB124_65:
	s_endpgm
	.section	.rodata,"a",@progbits
	.p2align	6, 0x0
	.amdhsa_kernel _ZN2at6native12_GLOBAL__N_125multi_tensor_apply_kernelINS1_28TensorListScalarListMetadataIlLi3EEENS1_28PointwiseOpScalarListFunctorIlLi3ELi3ELi0EEEJSt7dividesIlEEEEvT_T0_DpT1_
		.amdhsa_group_segment_fixed_size 0
		.amdhsa_private_segment_fixed_size 0
		.amdhsa_kernarg_size 3784
		.amdhsa_user_sgpr_count 6
		.amdhsa_user_sgpr_private_segment_buffer 1
		.amdhsa_user_sgpr_dispatch_ptr 0
		.amdhsa_user_sgpr_queue_ptr 0
		.amdhsa_user_sgpr_kernarg_segment_ptr 1
		.amdhsa_user_sgpr_dispatch_id 0
		.amdhsa_user_sgpr_flat_scratch_init 0
		.amdhsa_user_sgpr_kernarg_preload_length 0
		.amdhsa_user_sgpr_kernarg_preload_offset 0
		.amdhsa_user_sgpr_private_segment_size 0
		.amdhsa_uses_dynamic_stack 0
		.amdhsa_system_sgpr_private_segment_wavefront_offset 0
		.amdhsa_system_sgpr_workgroup_id_x 1
		.amdhsa_system_sgpr_workgroup_id_y 0
		.amdhsa_system_sgpr_workgroup_id_z 0
		.amdhsa_system_sgpr_workgroup_info 0
		.amdhsa_system_vgpr_workitem_id 0
		.amdhsa_next_free_vgpr 67
		.amdhsa_next_free_sgpr 34
		.amdhsa_accum_offset 68
		.amdhsa_reserve_vcc 1
		.amdhsa_reserve_flat_scratch 0
		.amdhsa_float_round_mode_32 0
		.amdhsa_float_round_mode_16_64 0
		.amdhsa_float_denorm_mode_32 3
		.amdhsa_float_denorm_mode_16_64 3
		.amdhsa_dx10_clamp 1
		.amdhsa_ieee_mode 1
		.amdhsa_fp16_overflow 0
		.amdhsa_tg_split 0
		.amdhsa_exception_fp_ieee_invalid_op 0
		.amdhsa_exception_fp_denorm_src 0
		.amdhsa_exception_fp_ieee_div_zero 0
		.amdhsa_exception_fp_ieee_overflow 0
		.amdhsa_exception_fp_ieee_underflow 0
		.amdhsa_exception_fp_ieee_inexact 0
		.amdhsa_exception_int_div_zero 0
	.end_amdhsa_kernel
	.section	.text._ZN2at6native12_GLOBAL__N_125multi_tensor_apply_kernelINS1_28TensorListScalarListMetadataIlLi3EEENS1_28PointwiseOpScalarListFunctorIlLi3ELi3ELi0EEEJSt7dividesIlEEEEvT_T0_DpT1_,"axG",@progbits,_ZN2at6native12_GLOBAL__N_125multi_tensor_apply_kernelINS1_28TensorListScalarListMetadataIlLi3EEENS1_28PointwiseOpScalarListFunctorIlLi3ELi3ELi0EEEJSt7dividesIlEEEEvT_T0_DpT1_,comdat
.Lfunc_end124:
	.size	_ZN2at6native12_GLOBAL__N_125multi_tensor_apply_kernelINS1_28TensorListScalarListMetadataIlLi3EEENS1_28PointwiseOpScalarListFunctorIlLi3ELi3ELi0EEEJSt7dividesIlEEEEvT_T0_DpT1_, .Lfunc_end124-_ZN2at6native12_GLOBAL__N_125multi_tensor_apply_kernelINS1_28TensorListScalarListMetadataIlLi3EEENS1_28PointwiseOpScalarListFunctorIlLi3ELi3ELi0EEEJSt7dividesIlEEEEvT_T0_DpT1_
                                        ; -- End function
	.section	.AMDGPU.csdata,"",@progbits
; Kernel info:
; codeLenInByte = 7732
; NumSgprs: 38
; NumVgprs: 67
; NumAgprs: 0
; TotalNumVgprs: 67
; ScratchSize: 0
; MemoryBound: 1
; FloatMode: 240
; IeeeMode: 1
; LDSByteSize: 0 bytes/workgroup (compile time only)
; SGPRBlocks: 4
; VGPRBlocks: 8
; NumSGPRsForWavesPerEU: 38
; NumVGPRsForWavesPerEU: 67
; AccumOffset: 68
; Occupancy: 7
; WaveLimiterHint : 1
; COMPUTE_PGM_RSRC2:SCRATCH_EN: 0
; COMPUTE_PGM_RSRC2:USER_SGPR: 6
; COMPUTE_PGM_RSRC2:TRAP_HANDLER: 0
; COMPUTE_PGM_RSRC2:TGID_X_EN: 1
; COMPUTE_PGM_RSRC2:TGID_Y_EN: 0
; COMPUTE_PGM_RSRC2:TGID_Z_EN: 0
; COMPUTE_PGM_RSRC2:TIDIG_COMP_CNT: 0
; COMPUTE_PGM_RSRC3_GFX90A:ACCUM_OFFSET: 16
; COMPUTE_PGM_RSRC3_GFX90A:TG_SPLIT: 0
	.section	.text._ZN2at6native12_GLOBAL__N_125multi_tensor_apply_kernelINS1_28TensorListScalarListMetadataIsLi3EEENS1_28PointwiseOpScalarListFunctorIsLi3ELi3ELi0EEEJSt7dividesIsEEEEvT_T0_DpT1_,"axG",@progbits,_ZN2at6native12_GLOBAL__N_125multi_tensor_apply_kernelINS1_28TensorListScalarListMetadataIsLi3EEENS1_28PointwiseOpScalarListFunctorIsLi3ELi3ELi0EEEJSt7dividesIsEEEEvT_T0_DpT1_,comdat
	.globl	_ZN2at6native12_GLOBAL__N_125multi_tensor_apply_kernelINS1_28TensorListScalarListMetadataIsLi3EEENS1_28PointwiseOpScalarListFunctorIsLi3ELi3ELi0EEEJSt7dividesIsEEEEvT_T0_DpT1_ ; -- Begin function _ZN2at6native12_GLOBAL__N_125multi_tensor_apply_kernelINS1_28TensorListScalarListMetadataIsLi3EEENS1_28PointwiseOpScalarListFunctorIsLi3ELi3ELi0EEEJSt7dividesIsEEEEvT_T0_DpT1_
	.p2align	8
	.type	_ZN2at6native12_GLOBAL__N_125multi_tensor_apply_kernelINS1_28TensorListScalarListMetadataIsLi3EEENS1_28PointwiseOpScalarListFunctorIsLi3ELi3ELi0EEEJSt7dividesIsEEEEvT_T0_DpT1_,@function
_ZN2at6native12_GLOBAL__N_125multi_tensor_apply_kernelINS1_28TensorListScalarListMetadataIsLi3EEENS1_28PointwiseOpScalarListFunctorIsLi3ELi3ELi0EEEJSt7dividesIsEEEEvT_T0_DpT1_: ; @_ZN2at6native12_GLOBAL__N_125multi_tensor_apply_kernelINS1_28TensorListScalarListMetadataIsLi3EEENS1_28PointwiseOpScalarListFunctorIsLi3ELi3ELi0EEEJSt7dividesIsEEEEvT_T0_DpT1_
; %bb.0:
	v_mov_b32_e32 v1, s6
	global_load_ubyte v1, v1, s[4:5] offset:1632
	s_add_u32 s0, s4, s6
	s_mul_i32 s1, s6, 3
	s_addc_u32 s2, s5, 0
	s_mul_hi_u32 s3, s6, 3
	s_add_u32 s0, s0, s1
	s_addc_u32 s1, s2, s3
	s_load_dword s0, s[0:1], 0x7a0
	s_mov_b32 s7, 0
	s_waitcnt lgkmcnt(0)
	s_ashr_i32 s1, s0, 31
	s_waitcnt vmcnt(0)
	v_readfirstlane_b32 s2, v1
	s_lshl_b32 s6, s2, 3
	s_add_u32 s2, s4, s6
	v_mul_hi_i32 v3, v1, -6
	v_mul_lo_u32 v1, v1, -6
	s_addc_u32 s3, s5, 0
	v_mov_b32_e32 v4, s3
	v_add_co_u32_e32 v2, vcc, s2, v1
	v_addc_co_u32_e32 v3, vcc, v4, v3, vcc
	global_load_ushort v25, v[2:3], off offset:1536
	s_load_dwordx2 s[10:11], s[4:5], s6 offset:0x0
	s_load_dwordx2 s[12:13], s[4:5], s6 offset:0x180
	;; [unrolled: 1-line block ×4, first 2 shown]
	s_lshl_b64 s[18:19], s[0:1], 17
	s_waitcnt lgkmcnt(0)
	s_and_b32 s6, s10, 7
	s_add_u32 s8, s12, s18
	s_or_b32 s8, s14, s8
	s_and_b32 s8, s8, 7
	s_cmp_eq_u32 s8, 0
	s_cselect_b64 s[8:9], -1, 0
	s_lshl_b64 s[0:1], s[0:1], 16
	s_sub_u32 s16, s2, s0
	s_subb_u32 s17, s3, s1
	s_and_b32 s0, s2, 3
	s_or_b32 s6, s6, s0
	s_cmp_eq_u64 s[6:7], 0
	s_cselect_b64 s[0:1], -1, 0
	s_and_b64 s[2:3], s[8:9], s[0:1]
	s_mov_b64 s[0:1], -1
	s_and_b64 vcc, exec, s[2:3]
	s_cbranch_vccnz .LBB125_29
; %bb.1:
	v_cmp_lt_i64_e64 s[0:1], s[16:17], 1
	s_and_b64 vcc, exec, s[0:1]
	s_cbranch_vccnz .LBB125_28
; %bb.2:
	s_load_dword s0, s[4:5], 0xcb4
	v_mov_b32_e32 v2, 0x10000
	v_mov_b32_e32 v3, 0
	v_cmp_lt_u64_e32 vcc, s[16:17], v[2:3]
	v_lshlrev_b32_e32 v14, 1, v0
	s_waitcnt lgkmcnt(0)
	s_and_b32 s2, s0, 0xffff
	s_and_b64 s[0:1], vcc, exec
	v_mov_b32_e32 v19, s11
	v_add_co_u32_e32 v2, vcc, s10, v14
	v_addc_co_u32_e32 v1, vcc, 0, v19, vcc
	v_mov_b32_e32 v21, s13
	v_add_co_u32_e32 v4, vcc, s12, v14
	v_addc_co_u32_e32 v3, vcc, 0, v21, vcc
	v_mov_b32_e32 v15, 0
	v_mov_b32_e32 v23, s15
	v_add_co_u32_e32 v6, vcc, s14, v14
	v_addc_co_u32_e32 v5, vcc, 0, v23, vcc
	v_mad_u64_u32 v[12:13], s[0:1], s2, 6, v[14:15]
	v_add_co_u32_e32 v8, vcc, s10, v12
	v_addc_co_u32_e32 v7, vcc, v19, v13, vcc
	v_add_co_u32_e32 v10, vcc, s12, v12
	v_addc_co_u32_e32 v9, vcc, v21, v13, vcc
	v_add_co_u32_e32 v12, vcc, s14, v12
	s_mul_i32 s6, s2, 3
	v_addc_co_u32_e32 v11, vcc, v23, v13, vcc
	s_cselect_b32 s21, s17, 0
	s_cselect_b32 s20, s16, 0x10000
	s_lshl_b32 s27, s2, 2
	v_add_co_u32_e32 v26, vcc, s6, v0
	v_addc_co_u32_e64 v27, s[0:1], 0, 0, vcc
	v_add_co_u32_e32 v17, vcc, s27, v14
	v_addc_co_u32_e64 v20, s[0:1], 0, 0, vcc
	v_add_co_u32_e32 v14, vcc, s10, v17
	v_addc_co_u32_e32 v13, vcc, v19, v20, vcc
	v_add_co_u32_e32 v16, vcc, s12, v17
	v_addc_co_u32_e32 v15, vcc, v21, v20, vcc
	v_add_co_u32_e32 v18, vcc, s14, v17
	s_lshl_b32 s3, s2, 1
	v_addc_co_u32_e32 v17, vcc, v23, v20, vcc
	v_add_co_u32_e32 v28, vcc, s3, v0
	v_addc_co_u32_e64 v29, s[0:1], 0, 0, vcc
	v_add_co_u32_e32 v30, vcc, s2, v0
	v_lshlrev_b32_e32 v24, 1, v30
	v_addc_co_u32_e64 v31, s[0:1], 0, 0, vcc
	v_add_co_u32_e32 v20, vcc, s10, v24
	v_addc_co_u32_e32 v19, vcc, 0, v19, vcc
	v_add_co_u32_e32 v22, vcc, s12, v24
	v_addc_co_u32_e32 v21, vcc, 0, v21, vcc
	v_add_co_u32_e32 v24, vcc, s14, v24
	s_mov_b32 s26, 0
	s_lshl_b32 s28, s2, 3
	v_addc_co_u32_e32 v23, vcc, 0, v23, vcc
	s_mov_b64 s[22:23], 0
	s_branch .LBB125_4
.LBB125_3:                              ;   in Loop: Header=BB125_4 Depth=1
	s_or_b64 exec, exec, s[0:1]
	s_add_u32 s22, s22, s27
	s_addc_u32 s23, s23, 0
	s_waitcnt vmcnt(1)
	v_pk_mov_b32 v[32:33], s[16:17], s[16:17] op_sel:[0,1]
	v_cmp_lt_i64_e32 vcc, s[22:23], v[32:33]
	v_mov_b32_e32 v32, 0x10000
	v_mov_b32_e32 v33, 0
	v_cmp_lt_u64_e64 s[0:1], s[22:23], v[32:33]
	s_and_b64 s[0:1], vcc, s[0:1]
	v_mov_b32_e32 v32, s26
	v_add_co_u32_e32 v2, vcc, s28, v2
	v_addc_co_u32_e32 v1, vcc, v1, v32, vcc
	v_add_co_u32_e32 v4, vcc, s28, v4
	v_addc_co_u32_e32 v3, vcc, v3, v32, vcc
	;; [unrolled: 2-line block ×12, first 2 shown]
	s_and_b64 vcc, exec, s[0:1]
	s_cbranch_vccz .LBB125_28
.LBB125_4:                              ; =>This Inner Loop Header: Depth=1
	v_mov_b32_e32 v33, s23
	v_add_co_u32_e32 v32, vcc, s22, v0
	v_addc_co_u32_e32 v33, vcc, 0, v33, vcc
	v_cmp_gt_u64_e32 vcc, s[20:21], v[32:33]
	v_mov_b32_e32 v33, 0
	s_waitcnt vmcnt(0)
	v_mov_b32_e32 v36, 0
	s_and_saveexec_b64 s[2:3], vcc
	s_cbranch_execz .LBB125_6
; %bb.5:                                ;   in Loop: Header=BB125_4 Depth=1
	v_mov_b32_e32 v32, s19
	v_add_co_u32_e64 v34, s[0:1], s18, v2
	v_addc_co_u32_e64 v35, s[0:1], v1, v32, s[0:1]
	v_add_co_u32_e64 v38, s[0:1], s18, v4
	v_addc_co_u32_e64 v39, s[0:1], v3, v32, s[0:1]
	global_load_ushort v33, v[34:35], off
	global_load_ushort v36, v[38:39], off
.LBB125_6:                              ;   in Loop: Header=BB125_4 Depth=1
	s_or_b64 exec, exec, s[2:3]
	v_mov_b32_e32 v32, 0
	v_mov_b32_e32 v38, 0
	s_and_saveexec_b64 s[2:3], vcc
	s_cbranch_execz .LBB125_8
; %bb.7:                                ;   in Loop: Header=BB125_4 Depth=1
	v_mov_b32_e32 v35, s19
	v_add_co_u32_e64 v34, s[0:1], s18, v6
	v_addc_co_u32_e64 v35, s[0:1], v5, v35, s[0:1]
	global_load_ushort v38, v[34:35], off
.LBB125_8:                              ;   in Loop: Header=BB125_4 Depth=1
	s_or_b64 exec, exec, s[2:3]
	v_mov_b32_e32 v35, s23
	v_add_co_u32_e64 v34, s[0:1], s22, v30
	v_addc_co_u32_e64 v35, s[0:1], v31, v35, s[0:1]
	v_cmp_gt_u64_e64 s[0:1], s[20:21], v[34:35]
	v_mov_b32_e32 v37, 0
	s_and_saveexec_b64 s[6:7], s[0:1]
	s_cbranch_execz .LBB125_10
; %bb.9:                                ;   in Loop: Header=BB125_4 Depth=1
	v_mov_b32_e32 v32, s19
	v_add_co_u32_e64 v34, s[2:3], s18, v22
	v_addc_co_u32_e64 v35, s[2:3], v21, v32, s[2:3]
	v_add_co_u32_e64 v40, s[2:3], s18, v20
	v_addc_co_u32_e64 v41, s[2:3], v19, v32, s[2:3]
	global_load_ushort v32, v[40:41], off
	global_load_ushort v37, v[34:35], off
.LBB125_10:                             ;   in Loop: Header=BB125_4 Depth=1
	s_or_b64 exec, exec, s[6:7]
	v_mov_b32_e32 v34, 0
	v_mov_b32_e32 v40, 0
	s_and_saveexec_b64 s[6:7], s[0:1]
	s_cbranch_execz .LBB125_12
; %bb.11:                               ;   in Loop: Header=BB125_4 Depth=1
	v_mov_b32_e32 v35, s19
	v_add_co_u32_e64 v40, s[2:3], s18, v24
	v_addc_co_u32_e64 v41, s[2:3], v23, v35, s[2:3]
	global_load_ushort v40, v[40:41], off
.LBB125_12:                             ;   in Loop: Header=BB125_4 Depth=1
	s_or_b64 exec, exec, s[6:7]
	v_mov_b32_e32 v35, s23
	v_add_co_u32_e64 v42, s[2:3], s22, v28
	v_addc_co_u32_e64 v43, s[2:3], v29, v35, s[2:3]
	v_cmp_gt_u64_e64 s[2:3], s[20:21], v[42:43]
	v_mov_b32_e32 v39, 0
	s_and_saveexec_b64 s[8:9], s[2:3]
	s_cbranch_execz .LBB125_14
; %bb.13:                               ;   in Loop: Header=BB125_4 Depth=1
	v_mov_b32_e32 v34, s19
	v_add_co_u32_e64 v42, s[6:7], s18, v16
	v_addc_co_u32_e64 v43, s[6:7], v15, v34, s[6:7]
	v_add_co_u32_e64 v44, s[6:7], s18, v14
	v_addc_co_u32_e64 v45, s[6:7], v13, v34, s[6:7]
	global_load_ushort v34, v[44:45], off
	global_load_ushort v39, v[42:43], off
.LBB125_14:                             ;   in Loop: Header=BB125_4 Depth=1
	s_or_b64 exec, exec, s[8:9]
	v_mov_b32_e32 v35, 0
	v_mov_b32_e32 v42, 0
	s_and_saveexec_b64 s[8:9], s[2:3]
	s_cbranch_execz .LBB125_16
; %bb.15:                               ;   in Loop: Header=BB125_4 Depth=1
	v_mov_b32_e32 v41, s19
	v_add_co_u32_e64 v42, s[6:7], s18, v18
	v_addc_co_u32_e64 v43, s[6:7], v17, v41, s[6:7]
	global_load_ushort v42, v[42:43], off
.LBB125_16:                             ;   in Loop: Header=BB125_4 Depth=1
	s_or_b64 exec, exec, s[8:9]
	v_mov_b32_e32 v41, s23
	v_add_co_u32_e64 v44, s[6:7], s22, v26
	v_addc_co_u32_e64 v45, s[6:7], v27, v41, s[6:7]
	v_cmp_gt_u64_e64 s[6:7], s[20:21], v[44:45]
	v_mov_b32_e32 v41, 0
	s_and_saveexec_b64 s[24:25], s[6:7]
	s_cbranch_execnz .LBB125_22
; %bb.17:                               ;   in Loop: Header=BB125_4 Depth=1
	s_or_b64 exec, exec, s[24:25]
	v_mov_b32_e32 v43, 0
	s_and_saveexec_b64 s[24:25], s[6:7]
	s_cbranch_execnz .LBB125_23
.LBB125_18:                             ;   in Loop: Header=BB125_4 Depth=1
	s_or_b64 exec, exec, s[24:25]
	s_and_saveexec_b64 s[8:9], vcc
	s_cbranch_execnz .LBB125_24
.LBB125_19:                             ;   in Loop: Header=BB125_4 Depth=1
	s_or_b64 exec, exec, s[8:9]
	s_and_saveexec_b64 s[8:9], s[0:1]
	s_cbranch_execnz .LBB125_25
.LBB125_20:                             ;   in Loop: Header=BB125_4 Depth=1
	s_or_b64 exec, exec, s[8:9]
	s_and_saveexec_b64 s[0:1], s[2:3]
	s_cbranch_execnz .LBB125_26
.LBB125_21:                             ;   in Loop: Header=BB125_4 Depth=1
	s_or_b64 exec, exec, s[0:1]
	s_and_saveexec_b64 s[0:1], s[6:7]
	s_cbranch_execz .LBB125_3
	s_branch .LBB125_27
.LBB125_22:                             ;   in Loop: Header=BB125_4 Depth=1
	v_mov_b32_e32 v35, s19
	v_add_co_u32_e64 v44, s[8:9], s18, v10
	v_addc_co_u32_e64 v45, s[8:9], v9, v35, s[8:9]
	v_add_co_u32_e64 v46, s[8:9], s18, v8
	v_addc_co_u32_e64 v47, s[8:9], v7, v35, s[8:9]
	global_load_ushort v35, v[46:47], off
	global_load_ushort v41, v[44:45], off
	s_or_b64 exec, exec, s[24:25]
	v_mov_b32_e32 v43, 0
	s_and_saveexec_b64 s[24:25], s[6:7]
	s_cbranch_execz .LBB125_18
.LBB125_23:                             ;   in Loop: Header=BB125_4 Depth=1
	v_mov_b32_e32 v43, s19
	v_add_co_u32_e64 v44, s[8:9], s18, v12
	v_addc_co_u32_e64 v45, s[8:9], v11, v43, s[8:9]
	global_load_ushort v43, v[44:45], off
	s_or_b64 exec, exec, s[24:25]
	s_and_saveexec_b64 s[8:9], vcc
	s_cbranch_execz .LBB125_19
.LBB125_24:                             ;   in Loop: Header=BB125_4 Depth=1
	s_waitcnt vmcnt(0)
	v_cvt_f32_i32_sdwa v44, sext(v38) dst_sel:DWORD dst_unused:UNUSED_PAD src0_sel:WORD_0
	v_xor_b32_sdwa v38, sext(v36), sext(v38) dst_sel:DWORD dst_unused:UNUSED_PAD src0_sel:WORD_0 src1_sel:WORD_0
	v_cvt_f32_i32_sdwa v36, sext(v36) dst_sel:DWORD dst_unused:UNUSED_PAD src0_sel:WORD_0
	v_ashrrev_i32_e32 v38, 30, v38
	v_rcp_iflag_f32_e32 v45, v44
	v_or_b32_e32 v38, 1, v38
	v_mov_b32_e32 v46, s19
	v_mul_f32_e32 v45, v36, v45
	v_trunc_f32_e32 v45, v45
	v_cvt_i32_f32_e32 v47, v45
	v_mad_f32 v36, -v45, v44, v36
	v_cmp_ge_f32_e64 vcc, |v36|, |v44|
	v_cndmask_b32_e32 v36, 0, v38, vcc
	v_add_u32_e32 v36, v47, v36
	v_add_co_u32_e32 v44, vcc, s18, v2
	v_mad_legacy_u16 v33, v25, v36, v33
	v_addc_co_u32_e32 v45, vcc, v1, v46, vcc
	global_store_short v[44:45], v33, off
	s_or_b64 exec, exec, s[8:9]
	s_and_saveexec_b64 s[8:9], s[0:1]
	s_cbranch_execz .LBB125_20
.LBB125_25:                             ;   in Loop: Header=BB125_4 Depth=1
	s_waitcnt vmcnt(0)
	v_cvt_f32_i32_sdwa v33, sext(v40) dst_sel:DWORD dst_unused:UNUSED_PAD src0_sel:WORD_0
	v_xor_b32_sdwa v36, sext(v37), sext(v40) dst_sel:DWORD dst_unused:UNUSED_PAD src0_sel:WORD_0 src1_sel:WORD_0
	v_cvt_f32_i32_sdwa v37, sext(v37) dst_sel:DWORD dst_unused:UNUSED_PAD src0_sel:WORD_0
	v_ashrrev_i32_e32 v36, 30, v36
	v_rcp_iflag_f32_e32 v38, v33
	v_or_b32_e32 v36, 1, v36
	v_mov_b32_e32 v40, s19
	v_mul_f32_e32 v38, v37, v38
	v_trunc_f32_e32 v38, v38
	v_cvt_i32_f32_e32 v44, v38
	v_mad_f32 v37, -v38, v33, v37
	v_cmp_ge_f32_e64 vcc, |v37|, |v33|
	v_cndmask_b32_e32 v33, 0, v36, vcc
	v_add_u32_e32 v33, v44, v33
	v_mad_legacy_u16 v36, v25, v33, v32
	v_add_co_u32_e32 v32, vcc, s18, v20
	v_addc_co_u32_e32 v33, vcc, v19, v40, vcc
	global_store_short v[32:33], v36, off
	s_or_b64 exec, exec, s[8:9]
	s_and_saveexec_b64 s[0:1], s[2:3]
	s_cbranch_execz .LBB125_21
.LBB125_26:                             ;   in Loop: Header=BB125_4 Depth=1
	s_waitcnt vmcnt(0)
	v_cvt_f32_i32_sdwa v32, sext(v42) dst_sel:DWORD dst_unused:UNUSED_PAD src0_sel:WORD_0
	v_cvt_f32_i32_sdwa v36, sext(v39) dst_sel:DWORD dst_unused:UNUSED_PAD src0_sel:WORD_0
	v_xor_b32_sdwa v33, sext(v39), sext(v42) dst_sel:DWORD dst_unused:UNUSED_PAD src0_sel:WORD_0 src1_sel:WORD_0
	v_ashrrev_i32_e32 v33, 30, v33
	v_rcp_iflag_f32_e32 v37, v32
	v_or_b32_e32 v33, 1, v33
	v_mov_b32_e32 v38, s19
	v_mul_f32_e32 v37, v36, v37
	v_trunc_f32_e32 v37, v37
	v_cvt_i32_f32_e32 v39, v37
	v_mad_f32 v36, -v37, v32, v36
	v_cmp_ge_f32_e64 vcc, |v36|, |v32|
	v_cndmask_b32_e32 v32, 0, v33, vcc
	v_add_u32_e32 v32, v39, v32
	v_mad_legacy_u16 v34, v25, v32, v34
	v_add_co_u32_e32 v32, vcc, s18, v14
	v_addc_co_u32_e32 v33, vcc, v13, v38, vcc
	global_store_short v[32:33], v34, off
	s_or_b64 exec, exec, s[0:1]
	s_and_saveexec_b64 s[0:1], s[6:7]
	s_cbranch_execz .LBB125_3
.LBB125_27:                             ;   in Loop: Header=BB125_4 Depth=1
	s_waitcnt vmcnt(0)
	v_cvt_f32_i32_sdwa v32, sext(v43) dst_sel:DWORD dst_unused:UNUSED_PAD src0_sel:WORD_0
	v_cvt_f32_i32_sdwa v34, sext(v41) dst_sel:DWORD dst_unused:UNUSED_PAD src0_sel:WORD_0
	v_xor_b32_sdwa v33, sext(v41), sext(v43) dst_sel:DWORD dst_unused:UNUSED_PAD src0_sel:WORD_0 src1_sel:WORD_0
	v_ashrrev_i32_e32 v33, 30, v33
	v_rcp_iflag_f32_e32 v36, v32
	v_or_b32_e32 v33, 1, v33
	v_mov_b32_e32 v37, s19
	v_mul_f32_e32 v36, v34, v36
	v_trunc_f32_e32 v36, v36
	v_cvt_i32_f32_e32 v38, v36
	v_mad_f32 v34, -v36, v32, v34
	v_cmp_ge_f32_e64 vcc, |v34|, |v32|
	v_cndmask_b32_e32 v32, 0, v33, vcc
	v_add_u32_e32 v32, v38, v32
	v_mad_legacy_u16 v34, v25, v32, v35
	v_add_co_u32_e32 v32, vcc, s18, v8
	v_addc_co_u32_e32 v33, vcc, v7, v37, vcc
	global_store_short v[32:33], v34, off
	s_branch .LBB125_3
.LBB125_28:
	s_mov_b64 s[0:1], 0
.LBB125_29:
	s_andn2_b64 vcc, exec, s[0:1]
	s_cbranch_vccnz .LBB125_33
; %bb.30:
	v_mov_b32_e32 v3, 0
	v_lshlrev_b32_e32 v2, 2, v0
	s_mov_b32 s0, 0
	v_cmp_gt_i64_e32 vcc, s[16:17], v[2:3]
	s_and_saveexec_b64 s[2:3], vcc
	s_cbranch_execz .LBB125_33
; %bb.31:
	s_load_dword s1, s[4:5], 0xcb4
	v_lshlrev_b32_e32 v1, 3, v0
	v_mov_b32_e32 v2, s19
	v_add_co_u32_e32 v4, vcc, s18, v1
	s_waitcnt lgkmcnt(0)
	s_and_b32 s1, s1, 0xffff
	v_addc_co_u32_e32 v1, vcc, 0, v2, vcc
	s_lshl_b32 s8, s1, 3
	v_add_lshl_u32 v2, v0, s1, 2
	s_lshl_b32 s9, s1, 2
	s_mov_b64 s[4:5], 0
	v_mov_b32_e32 v0, s11
	v_mov_b32_e32 v5, s13
	;; [unrolled: 1-line block ×3, first 2 shown]
	s_mov_b64 s[6:7], 0xffff
	v_mov_b32_e32 v7, s0
	v_mov_b32_e32 v8, s0
.LBB125_32:                             ; =>This Inner Loop Header: Depth=1
	v_add_co_u32_e32 v10, vcc, s10, v4
	v_addc_co_u32_e32 v11, vcc, v0, v1, vcc
	v_add_co_u32_e32 v12, vcc, s12, v4
	v_addc_co_u32_e32 v13, vcc, v5, v1, vcc
	;; [unrolled: 2-line block ×3, first 2 shown]
	global_load_dwordx2 v[16:17], v[12:13], off
	global_load_dwordx2 v[18:19], v[14:15], off
	;; [unrolled: 1-line block ×3, first 2 shown]
	v_cmp_le_i64_e32 vcc, s[16:17], v[2:3]
	v_cmp_lt_u64_e64 s[0:1], s[6:7], v[2:3]
	s_or_b64 s[0:1], vcc, s[0:1]
	v_add_co_u32_e64 v4, s[2:3], s8, v4
	v_addc_co_u32_e64 v1, s[2:3], v1, v7, s[2:3]
	v_add_co_u32_e64 v2, s[2:3], s9, v2
	s_and_b64 s[0:1], exec, s[0:1]
	v_addc_co_u32_e64 v3, s[2:3], v3, v8, s[2:3]
	s_or_b64 s[4:5], s[0:1], s[4:5]
	s_waitcnt vmcnt(2)
	v_cvt_f32_i32_sdwa v12, sext(v16) dst_sel:DWORD dst_unused:UNUSED_PAD src0_sel:WORD_0
	s_waitcnt vmcnt(1)
	v_cvt_f32_i32_sdwa v13, sext(v18) dst_sel:DWORD dst_unused:UNUSED_PAD src0_sel:WORD_0
	v_cvt_f32_i32_sdwa v23, sext(v18) dst_sel:DWORD dst_unused:UNUSED_PAD src0_sel:WORD_1
	v_xor_b32_sdwa v9, sext(v16), sext(v18) dst_sel:DWORD dst_unused:UNUSED_PAD src0_sel:WORD_0 src1_sel:WORD_0
	v_xor_b32_sdwa v15, sext(v16), sext(v18) dst_sel:DWORD dst_unused:UNUSED_PAD src0_sel:WORD_1 src1_sel:WORD_1
	v_cvt_f32_i32_sdwa v22, sext(v16) dst_sel:DWORD dst_unused:UNUSED_PAD src0_sel:WORD_1
	v_alignbit_b32 v16, v17, v16, 16
	v_alignbit_b32 v18, v19, v18, 16
	v_xor_b32_sdwa v26, sext(v17), sext(v19) dst_sel:DWORD dst_unused:UNUSED_PAD src0_sel:WORD_1 src1_sel:WORD_1
	v_cvt_f32_i32_sdwa v19, sext(v19) dst_sel:DWORD dst_unused:UNUSED_PAD src0_sel:WORD_1
	v_xor_b32_sdwa v27, sext(v16), sext(v18) dst_sel:DWORD dst_unused:UNUSED_PAD src0_sel:WORD_1 src1_sel:WORD_1
	v_cvt_f32_i32_sdwa v18, sext(v18) dst_sel:DWORD dst_unused:UNUSED_PAD src0_sel:WORD_1
	v_rcp_iflag_f32_e32 v28, v13
	v_rcp_iflag_f32_e32 v29, v23
	v_cvt_f32_i32_sdwa v17, sext(v17) dst_sel:DWORD dst_unused:UNUSED_PAD src0_sel:WORD_1
	v_rcp_iflag_f32_e32 v30, v19
	v_cvt_f32_i32_sdwa v16, sext(v16) dst_sel:DWORD dst_unused:UNUSED_PAD src0_sel:WORD_1
	v_rcp_iflag_f32_e32 v31, v18
	v_mul_f32_e32 v28, v12, v28
	v_mul_f32_e32 v29, v22, v29
	v_trunc_f32_e32 v28, v28
	v_ashrrev_i32_e32 v9, 30, v9
	v_mul_f32_e32 v30, v17, v30
	v_trunc_f32_e32 v29, v29
	v_mad_f32 v12, -v28, v13, v12
	v_ashrrev_i32_e32 v15, 30, v15
	v_or_b32_e32 v9, 1, v9
	v_mul_f32_e32 v31, v16, v31
	v_trunc_f32_e32 v30, v30
	v_cvt_i32_f32_e32 v28, v28
	v_mad_f32 v22, -v29, v23, v22
	v_cvt_i32_f32_e32 v29, v29
	v_cmp_ge_f32_e64 vcc, |v12|, |v13|
	v_or_b32_e32 v15, 1, v15
	v_trunc_f32_e32 v31, v31
	v_mad_f32 v17, -v30, v19, v17
	v_cvt_i32_f32_e32 v30, v30
	v_cndmask_b32_e32 v9, 0, v9, vcc
	v_cmp_ge_f32_e64 vcc, |v22|, |v23|
	v_ashrrev_i32_e32 v26, 30, v26
	v_cndmask_b32_e32 v12, 0, v15, vcc
	v_cvt_i32_f32_e32 v15, v31
	v_ashrrev_i32_e32 v27, 30, v27
	v_or_b32_e32 v26, 1, v26
	v_mad_f32 v13, -v31, v18, v16
	v_cmp_ge_f32_e64 vcc, |v17|, |v19|
	s_waitcnt vmcnt(0)
	v_lshrrev_b32_e32 v14, 16, v20
	v_or_b32_e32 v27, 1, v27
	v_cndmask_b32_e32 v16, 0, v26, vcc
	v_cmp_ge_f32_e64 vcc, |v13|, |v18|
	v_add_u32_e32 v9, v28, v9
	v_add_u32_e32 v12, v29, v12
	v_lshrrev_b32_e32 v24, 16, v21
	v_cndmask_b32_e32 v13, 0, v27, vcc
	v_add_u32_e32 v16, v30, v16
	v_mul_lo_u16_e32 v9, v25, v9
	v_mad_legacy_u16 v12, v25, v12, v14
	v_add_u32_e32 v13, v15, v13
	v_mad_legacy_u16 v14, v25, v16, v24
	v_add_u16_e32 v9, v9, v20
	v_lshlrev_b32_e32 v12, 16, v12
	v_mad_legacy_u16 v13, v25, v13, v21
	v_lshlrev_b32_e32 v14, 16, v14
	v_or_b32_e32 v9, v12, v9
	v_or3_b32 v13, 0, v13, v14
	v_or3_b32 v12, v9, 0, 0
	global_store_dwordx2 v[10:11], v[12:13], off
	s_andn2_b64 exec, exec, s[4:5]
	s_cbranch_execnz .LBB125_32
.LBB125_33:
	s_endpgm
	.section	.rodata,"a",@progbits
	.p2align	6, 0x0
	.amdhsa_kernel _ZN2at6native12_GLOBAL__N_125multi_tensor_apply_kernelINS1_28TensorListScalarListMetadataIsLi3EEENS1_28PointwiseOpScalarListFunctorIsLi3ELi3ELi0EEEJSt7dividesIsEEEEvT_T0_DpT1_
		.amdhsa_group_segment_fixed_size 0
		.amdhsa_private_segment_fixed_size 0
		.amdhsa_kernarg_size 3496
		.amdhsa_user_sgpr_count 6
		.amdhsa_user_sgpr_private_segment_buffer 1
		.amdhsa_user_sgpr_dispatch_ptr 0
		.amdhsa_user_sgpr_queue_ptr 0
		.amdhsa_user_sgpr_kernarg_segment_ptr 1
		.amdhsa_user_sgpr_dispatch_id 0
		.amdhsa_user_sgpr_flat_scratch_init 0
		.amdhsa_user_sgpr_kernarg_preload_length 0
		.amdhsa_user_sgpr_kernarg_preload_offset 0
		.amdhsa_user_sgpr_private_segment_size 0
		.amdhsa_uses_dynamic_stack 0
		.amdhsa_system_sgpr_private_segment_wavefront_offset 0
		.amdhsa_system_sgpr_workgroup_id_x 1
		.amdhsa_system_sgpr_workgroup_id_y 0
		.amdhsa_system_sgpr_workgroup_id_z 0
		.amdhsa_system_sgpr_workgroup_info 0
		.amdhsa_system_vgpr_workitem_id 0
		.amdhsa_next_free_vgpr 48
		.amdhsa_next_free_sgpr 29
		.amdhsa_accum_offset 48
		.amdhsa_reserve_vcc 1
		.amdhsa_reserve_flat_scratch 0
		.amdhsa_float_round_mode_32 0
		.amdhsa_float_round_mode_16_64 0
		.amdhsa_float_denorm_mode_32 3
		.amdhsa_float_denorm_mode_16_64 3
		.amdhsa_dx10_clamp 1
		.amdhsa_ieee_mode 1
		.amdhsa_fp16_overflow 0
		.amdhsa_tg_split 0
		.amdhsa_exception_fp_ieee_invalid_op 0
		.amdhsa_exception_fp_denorm_src 0
		.amdhsa_exception_fp_ieee_div_zero 0
		.amdhsa_exception_fp_ieee_overflow 0
		.amdhsa_exception_fp_ieee_underflow 0
		.amdhsa_exception_fp_ieee_inexact 0
		.amdhsa_exception_int_div_zero 0
	.end_amdhsa_kernel
	.section	.text._ZN2at6native12_GLOBAL__N_125multi_tensor_apply_kernelINS1_28TensorListScalarListMetadataIsLi3EEENS1_28PointwiseOpScalarListFunctorIsLi3ELi3ELi0EEEJSt7dividesIsEEEEvT_T0_DpT1_,"axG",@progbits,_ZN2at6native12_GLOBAL__N_125multi_tensor_apply_kernelINS1_28TensorListScalarListMetadataIsLi3EEENS1_28PointwiseOpScalarListFunctorIsLi3ELi3ELi0EEEJSt7dividesIsEEEEvT_T0_DpT1_,comdat
.Lfunc_end125:
	.size	_ZN2at6native12_GLOBAL__N_125multi_tensor_apply_kernelINS1_28TensorListScalarListMetadataIsLi3EEENS1_28PointwiseOpScalarListFunctorIsLi3ELi3ELi0EEEJSt7dividesIsEEEEvT_T0_DpT1_, .Lfunc_end125-_ZN2at6native12_GLOBAL__N_125multi_tensor_apply_kernelINS1_28TensorListScalarListMetadataIsLi3EEENS1_28PointwiseOpScalarListFunctorIsLi3ELi3ELi0EEEJSt7dividesIsEEEEvT_T0_DpT1_
                                        ; -- End function
	.section	.AMDGPU.csdata,"",@progbits
; Kernel info:
; codeLenInByte = 2380
; NumSgprs: 33
; NumVgprs: 48
; NumAgprs: 0
; TotalNumVgprs: 48
; ScratchSize: 0
; MemoryBound: 0
; FloatMode: 240
; IeeeMode: 1
; LDSByteSize: 0 bytes/workgroup (compile time only)
; SGPRBlocks: 4
; VGPRBlocks: 5
; NumSGPRsForWavesPerEU: 33
; NumVGPRsForWavesPerEU: 48
; AccumOffset: 48
; Occupancy: 8
; WaveLimiterHint : 0
; COMPUTE_PGM_RSRC2:SCRATCH_EN: 0
; COMPUTE_PGM_RSRC2:USER_SGPR: 6
; COMPUTE_PGM_RSRC2:TRAP_HANDLER: 0
; COMPUTE_PGM_RSRC2:TGID_X_EN: 1
; COMPUTE_PGM_RSRC2:TGID_Y_EN: 0
; COMPUTE_PGM_RSRC2:TGID_Z_EN: 0
; COMPUTE_PGM_RSRC2:TIDIG_COMP_CNT: 0
; COMPUTE_PGM_RSRC3_GFX90A:ACCUM_OFFSET: 11
; COMPUTE_PGM_RSRC3_GFX90A:TG_SPLIT: 0
	.section	.text._ZN2at6native12_GLOBAL__N_125multi_tensor_apply_kernelINS1_28TensorListScalarListMetadataIdLi3EEENS1_28PointwiseOpScalarListFunctorIdLi3ELi3ELi0EEEJSt7dividesIdEEEEvT_T0_DpT1_,"axG",@progbits,_ZN2at6native12_GLOBAL__N_125multi_tensor_apply_kernelINS1_28TensorListScalarListMetadataIdLi3EEENS1_28PointwiseOpScalarListFunctorIdLi3ELi3ELi0EEEJSt7dividesIdEEEEvT_T0_DpT1_,comdat
	.globl	_ZN2at6native12_GLOBAL__N_125multi_tensor_apply_kernelINS1_28TensorListScalarListMetadataIdLi3EEENS1_28PointwiseOpScalarListFunctorIdLi3ELi3ELi0EEEJSt7dividesIdEEEEvT_T0_DpT1_ ; -- Begin function _ZN2at6native12_GLOBAL__N_125multi_tensor_apply_kernelINS1_28TensorListScalarListMetadataIdLi3EEENS1_28PointwiseOpScalarListFunctorIdLi3ELi3ELi0EEEJSt7dividesIdEEEEvT_T0_DpT1_
	.p2align	8
	.type	_ZN2at6native12_GLOBAL__N_125multi_tensor_apply_kernelINS1_28TensorListScalarListMetadataIdLi3EEENS1_28PointwiseOpScalarListFunctorIdLi3ELi3ELi0EEEJSt7dividesIdEEEEvT_T0_DpT1_,@function
_ZN2at6native12_GLOBAL__N_125multi_tensor_apply_kernelINS1_28TensorListScalarListMetadataIdLi3EEENS1_28PointwiseOpScalarListFunctorIdLi3ELi3ELi0EEEJSt7dividesIdEEEEvT_T0_DpT1_: ; @_ZN2at6native12_GLOBAL__N_125multi_tensor_apply_kernelINS1_28TensorListScalarListMetadataIdLi3EEENS1_28PointwiseOpScalarListFunctorIdLi3ELi3ELi0EEEJSt7dividesIdEEEEvT_T0_DpT1_
; %bb.0:
	v_mov_b32_e32 v1, s6
	global_load_ubyte v1, v1, s[4:5] offset:1920
	s_add_u32 s0, s4, s6
	s_mul_hi_u32 s3, s6, 3
	s_mul_i32 s6, s6, 3
	s_addc_u32 s7, s5, 0
	s_add_u32 s2, s0, s6
	s_addc_u32 s3, s7, s3
	s_load_dword s10, s[2:3], 0x8c0
	s_mov_b32 s1, 0
	s_mov_b32 s19, s1
	s_waitcnt lgkmcnt(0)
	s_ashr_i32 s11, s10, 31
	s_lshl_b64 s[16:17], s[10:11], 19
	s_waitcnt vmcnt(0)
	v_readfirstlane_b32 s0, v1
	s_lshl_b32 s0, s0, 3
	s_load_dwordx2 s[12:13], s[4:5], s0 offset:0x600
	s_load_dwordx2 s[8:9], s[4:5], s0 offset:0x0
	;; [unrolled: 1-line block ×5, first 2 shown]
	s_waitcnt lgkmcnt(0)
	s_add_u32 s24, s8, s16
	s_addc_u32 s25, s9, s17
	s_and_b32 s0, s24, 31
	s_add_u32 s26, s6, s16
	s_addc_u32 s27, s7, s17
	s_add_u32 s28, s2, s16
	s_addc_u32 s29, s3, s17
	s_or_b32 s14, s28, s26
	s_and_b32 s14, s14, 31
	s_cmp_eq_u32 s14, 0
	s_cselect_b64 s[22:23], -1, 0
	s_lshl_b64 s[10:11], s[10:11], 16
	s_sub_u32 s14, s20, s10
	s_subb_u32 s15, s21, s11
	s_and_b32 s18, s20, 3
	s_or_b64 s[0:1], s[0:1], s[18:19]
	s_cmp_eq_u64 s[0:1], 0
	s_cselect_b64 s[0:1], -1, 0
	s_and_b64 s[10:11], s[22:23], s[0:1]
	s_mov_b64 s[0:1], -1
	s_and_b64 vcc, exec, s[10:11]
	s_cbranch_vccnz .LBB126_29
; %bb.1:
	v_cmp_lt_i64_e64 s[0:1], s[14:15], 1
	s_and_b64 vcc, exec, s[0:1]
	s_cbranch_vccnz .LBB126_28
; %bb.2:
	s_load_dword s0, s[4:5], 0xdd4
	v_mov_b32_e32 v2, 0x10000
	v_mov_b32_e32 v3, 0
	v_cmp_lt_u64_e32 vcc, s[14:15], v[2:3]
	v_lshlrev_b32_e32 v14, 3, v0
	s_waitcnt lgkmcnt(0)
	s_and_b32 s20, s0, 0xffff
	s_and_b64 s[0:1], vcc, exec
	v_mov_b32_e32 v19, s9
	v_add_co_u32_e32 v2, vcc, s8, v14
	v_addc_co_u32_e32 v1, vcc, 0, v19, vcc
	v_mov_b32_e32 v21, s7
	v_add_co_u32_e32 v4, vcc, s6, v14
	v_addc_co_u32_e32 v3, vcc, 0, v21, vcc
	v_mov_b32_e32 v15, 0
	v_mov_b32_e32 v23, s3
	v_add_co_u32_e32 v6, vcc, s2, v14
	v_addc_co_u32_e32 v5, vcc, 0, v23, vcc
	v_mad_u64_u32 v[12:13], s[10:11], s20, 24, v[14:15]
	v_add_co_u32_e32 v8, vcc, s8, v12
	v_addc_co_u32_e32 v7, vcc, v19, v13, vcc
	v_add_co_u32_e32 v10, vcc, s6, v12
	v_addc_co_u32_e32 v9, vcc, v21, v13, vcc
	v_add_co_u32_e32 v12, vcc, s2, v12
	s_mul_i32 s22, s20, 3
	v_addc_co_u32_e32 v11, vcc, v23, v13, vcc
	s_cselect_b32 s19, s15, 0
	s_cselect_b32 s18, s14, 0x10000
	v_add_co_u32_e32 v25, vcc, s22, v0
	s_lshl_b32 s3, s20, 4
	v_addc_co_u32_e64 v50, s[10:11], 0, 0, vcc
	v_add_co_u32_e32 v17, vcc, s3, v14
	v_addc_co_u32_e64 v20, s[10:11], 0, 0, vcc
	v_add_co_u32_e32 v14, vcc, s8, v17
	v_addc_co_u32_e32 v13, vcc, v19, v20, vcc
	v_add_co_u32_e32 v16, vcc, s6, v17
	v_addc_co_u32_e32 v15, vcc, v21, v20, vcc
	v_add_co_u32_e32 v18, vcc, s2, v17
	s_lshl_b32 s21, s20, 1
	v_addc_co_u32_e32 v17, vcc, v23, v20, vcc
	v_add_co_u32_e32 v51, vcc, s21, v0
	v_addc_co_u32_e64 v52, s[10:11], 0, 0, vcc
	v_add_co_u32_e32 v53, vcc, s20, v0
	v_lshlrev_b32_e32 v24, 3, v53
	v_addc_co_u32_e64 v54, s[10:11], 0, 0, vcc
	v_add_co_u32_e32 v20, vcc, s8, v24
	v_addc_co_u32_e32 v19, vcc, 0, v19, vcc
	v_add_co_u32_e32 v22, vcc, s6, v24
	v_addc_co_u32_e32 v21, vcc, 0, v21, vcc
	v_add_co_u32_e32 v24, vcc, s2, v24
	s_mov_b32 s30, 0
	v_cmp_eq_f64_e64 s[0:1], s[12:13], 1.0
	s_lshl_b32 s31, s20, 2
	s_lshl_b32 s33, s20, 5
	v_addc_co_u32_e32 v23, vcc, 0, v23, vcc
	s_mov_b64 s[20:21], 0
	s_branch .LBB126_4
.LBB126_3:                              ;   in Loop: Header=BB126_4 Depth=1
	s_or_b64 exec, exec, s[2:3]
	s_add_u32 s20, s20, s31
	s_addc_u32 s21, s21, 0
	s_waitcnt vmcnt(1)
	v_pk_mov_b32 v[26:27], s[14:15], s[14:15] op_sel:[0,1]
	v_cmp_lt_i64_e32 vcc, s[20:21], v[26:27]
	v_mov_b32_e32 v26, 0x10000
	v_mov_b32_e32 v27, 0
	v_cmp_lt_u64_e64 s[2:3], s[20:21], v[26:27]
	s_and_b64 s[2:3], vcc, s[2:3]
	v_mov_b32_e32 v26, s30
	v_add_co_u32_e32 v2, vcc, s33, v2
	v_addc_co_u32_e32 v1, vcc, v1, v26, vcc
	v_add_co_u32_e32 v4, vcc, s33, v4
	v_addc_co_u32_e32 v3, vcc, v3, v26, vcc
	;; [unrolled: 2-line block ×12, first 2 shown]
	s_and_b64 vcc, exec, s[2:3]
	s_cbranch_vccz .LBB126_28
.LBB126_4:                              ; =>This Inner Loop Header: Depth=1
	v_mov_b32_e32 v27, s21
	v_add_co_u32_e32 v26, vcc, s20, v0
	v_addc_co_u32_e32 v27, vcc, 0, v27, vcc
	s_waitcnt vmcnt(0)
	v_pk_mov_b32 v[28:29], 0, 0
	v_cmp_gt_u64_e32 vcc, s[18:19], v[26:27]
	v_pk_mov_b32 v[26:27], v[28:29], v[28:29] op_sel:[0,1]
	v_pk_mov_b32 v[30:31], v[28:29], v[28:29] op_sel:[0,1]
	s_and_saveexec_b64 s[6:7], vcc
	s_cbranch_execz .LBB126_6
; %bb.5:                                ;   in Loop: Header=BB126_4 Depth=1
	v_mov_b32_e32 v26, s17
	v_add_co_u32_e64 v32, s[2:3], s16, v2
	v_addc_co_u32_e64 v33, s[2:3], v1, v26, s[2:3]
	v_add_co_u32_e64 v34, s[2:3], s16, v4
	v_addc_co_u32_e64 v35, s[2:3], v3, v26, s[2:3]
	global_load_dwordx2 v[26:27], v[32:33], off
	global_load_dwordx2 v[30:31], v[34:35], off
.LBB126_6:                              ;   in Loop: Header=BB126_4 Depth=1
	s_or_b64 exec, exec, s[6:7]
	s_and_saveexec_b64 s[6:7], vcc
	s_cbranch_execz .LBB126_8
; %bb.7:                                ;   in Loop: Header=BB126_4 Depth=1
	v_mov_b32_e32 v29, s17
	v_add_co_u32_e64 v28, s[2:3], s16, v6
	v_addc_co_u32_e64 v29, s[2:3], v5, v29, s[2:3]
	global_load_dwordx2 v[28:29], v[28:29], off
.LBB126_8:                              ;   in Loop: Header=BB126_4 Depth=1
	s_or_b64 exec, exec, s[6:7]
	v_mov_b32_e32 v33, s21
	v_add_co_u32_e64 v32, s[2:3], s20, v53
	v_addc_co_u32_e64 v33, s[2:3], v54, v33, s[2:3]
	v_pk_mov_b32 v[34:35], 0, 0
	v_cmp_gt_u64_e64 s[2:3], s[18:19], v[32:33]
	v_pk_mov_b32 v[32:33], v[34:35], v[34:35] op_sel:[0,1]
	v_pk_mov_b32 v[36:37], v[34:35], v[34:35] op_sel:[0,1]
	s_and_saveexec_b64 s[8:9], s[2:3]
	s_cbranch_execz .LBB126_10
; %bb.9:                                ;   in Loop: Header=BB126_4 Depth=1
	v_mov_b32_e32 v32, s17
	v_add_co_u32_e64 v38, s[6:7], s16, v20
	v_addc_co_u32_e64 v39, s[6:7], v19, v32, s[6:7]
	v_add_co_u32_e64 v40, s[6:7], s16, v22
	v_addc_co_u32_e64 v41, s[6:7], v21, v32, s[6:7]
	global_load_dwordx2 v[32:33], v[38:39], off
	global_load_dwordx2 v[36:37], v[40:41], off
.LBB126_10:                             ;   in Loop: Header=BB126_4 Depth=1
	s_or_b64 exec, exec, s[8:9]
	s_and_saveexec_b64 s[8:9], s[2:3]
	s_cbranch_execz .LBB126_12
; %bb.11:                               ;   in Loop: Header=BB126_4 Depth=1
	v_mov_b32_e32 v35, s17
	v_add_co_u32_e64 v34, s[6:7], s16, v24
	v_addc_co_u32_e64 v35, s[6:7], v23, v35, s[6:7]
	global_load_dwordx2 v[34:35], v[34:35], off
.LBB126_12:                             ;   in Loop: Header=BB126_4 Depth=1
	s_or_b64 exec, exec, s[8:9]
	v_mov_b32_e32 v39, s21
	v_add_co_u32_e64 v38, s[6:7], s20, v51
	v_addc_co_u32_e64 v39, s[6:7], v52, v39, s[6:7]
	v_pk_mov_b32 v[40:41], 0, 0
	v_cmp_gt_u64_e64 s[6:7], s[18:19], v[38:39]
	v_pk_mov_b32 v[38:39], v[40:41], v[40:41] op_sel:[0,1]
	v_pk_mov_b32 v[42:43], v[40:41], v[40:41] op_sel:[0,1]
	s_and_saveexec_b64 s[10:11], s[6:7]
	s_cbranch_execz .LBB126_14
; %bb.13:                               ;   in Loop: Header=BB126_4 Depth=1
	v_mov_b32_e32 v38, s17
	v_add_co_u32_e64 v44, s[8:9], s16, v14
	v_addc_co_u32_e64 v45, s[8:9], v13, v38, s[8:9]
	v_add_co_u32_e64 v46, s[8:9], s16, v16
	v_addc_co_u32_e64 v47, s[8:9], v15, v38, s[8:9]
	global_load_dwordx2 v[38:39], v[44:45], off
	global_load_dwordx2 v[42:43], v[46:47], off
.LBB126_14:                             ;   in Loop: Header=BB126_4 Depth=1
	s_or_b64 exec, exec, s[10:11]
	s_and_saveexec_b64 s[10:11], s[6:7]
	s_cbranch_execz .LBB126_16
; %bb.15:                               ;   in Loop: Header=BB126_4 Depth=1
	v_mov_b32_e32 v41, s17
	v_add_co_u32_e64 v40, s[8:9], s16, v18
	v_addc_co_u32_e64 v41, s[8:9], v17, v41, s[8:9]
	global_load_dwordx2 v[40:41], v[40:41], off
.LBB126_16:                             ;   in Loop: Header=BB126_4 Depth=1
	s_or_b64 exec, exec, s[10:11]
	v_mov_b32_e32 v45, s21
	v_add_co_u32_e64 v44, s[8:9], s20, v25
	v_addc_co_u32_e64 v45, s[8:9], v50, v45, s[8:9]
	v_pk_mov_b32 v[46:47], 0, 0
	v_cmp_gt_u64_e64 s[8:9], s[18:19], v[44:45]
	v_pk_mov_b32 v[44:45], v[46:47], v[46:47] op_sel:[0,1]
	v_pk_mov_b32 v[48:49], v[46:47], v[46:47] op_sel:[0,1]
	s_and_saveexec_b64 s[22:23], s[8:9]
	s_cbranch_execnz .LBB126_22
; %bb.17:                               ;   in Loop: Header=BB126_4 Depth=1
	s_or_b64 exec, exec, s[22:23]
	s_and_saveexec_b64 s[22:23], s[8:9]
	s_cbranch_execnz .LBB126_23
.LBB126_18:                             ;   in Loop: Header=BB126_4 Depth=1
	s_or_b64 exec, exec, s[22:23]
	s_and_saveexec_b64 s[10:11], vcc
	s_cbranch_execnz .LBB126_24
.LBB126_19:                             ;   in Loop: Header=BB126_4 Depth=1
	s_or_b64 exec, exec, s[10:11]
	s_and_saveexec_b64 s[10:11], s[2:3]
	s_cbranch_execnz .LBB126_25
.LBB126_20:                             ;   in Loop: Header=BB126_4 Depth=1
	s_or_b64 exec, exec, s[10:11]
	s_and_saveexec_b64 s[2:3], s[6:7]
	s_cbranch_execnz .LBB126_26
.LBB126_21:                             ;   in Loop: Header=BB126_4 Depth=1
	s_or_b64 exec, exec, s[2:3]
	s_and_saveexec_b64 s[2:3], s[8:9]
	s_cbranch_execz .LBB126_3
	s_branch .LBB126_27
.LBB126_22:                             ;   in Loop: Header=BB126_4 Depth=1
	v_mov_b32_e32 v44, s17
	v_add_co_u32_e64 v56, s[10:11], s16, v8
	v_addc_co_u32_e64 v57, s[10:11], v7, v44, s[10:11]
	v_add_co_u32_e64 v58, s[10:11], s16, v10
	v_addc_co_u32_e64 v59, s[10:11], v9, v44, s[10:11]
	global_load_dwordx2 v[44:45], v[56:57], off
	global_load_dwordx2 v[48:49], v[58:59], off
	s_or_b64 exec, exec, s[22:23]
	s_and_saveexec_b64 s[22:23], s[8:9]
	s_cbranch_execz .LBB126_18
.LBB126_23:                             ;   in Loop: Header=BB126_4 Depth=1
	v_mov_b32_e32 v47, s17
	v_add_co_u32_e64 v46, s[10:11], s16, v12
	v_addc_co_u32_e64 v47, s[10:11], v11, v47, s[10:11]
	global_load_dwordx2 v[46:47], v[46:47], off
	s_or_b64 exec, exec, s[22:23]
	s_and_saveexec_b64 s[10:11], vcc
	s_cbranch_execz .LBB126_19
.LBB126_24:                             ;   in Loop: Header=BB126_4 Depth=1
	s_waitcnt vmcnt(0)
	v_div_scale_f64 v[56:57], s[22:23], v[28:29], v[28:29], v[30:31]
	v_rcp_f64_e32 v[58:59], v[56:57]
	v_mov_b32_e32 v55, s17
	v_add_co_u32_e32 v60, vcc, s16, v2
	v_fma_f64 v[62:63], -v[56:57], v[58:59], 1.0
	v_fmac_f64_e32 v[58:59], v[58:59], v[62:63]
	v_addc_co_u32_e32 v61, vcc, v1, v55, vcc
	v_fma_f64 v[62:63], -v[56:57], v[58:59], 1.0
	v_fmac_f64_e32 v[58:59], v[58:59], v[62:63]
	v_div_scale_f64 v[62:63], vcc, v[30:31], v[28:29], v[30:31]
	v_mul_f64 v[64:65], v[62:63], v[58:59]
	v_fma_f64 v[56:57], -v[56:57], v[64:65], v[62:63]
	s_nop 1
	v_div_fmas_f64 v[56:57], v[56:57], v[58:59], v[64:65]
	v_div_fixup_f64 v[28:29], v[56:57], v[28:29], v[30:31]
	v_add_f64 v[30:31], v[26:27], v[28:29]
	v_fmac_f64_e32 v[26:27], s[12:13], v[28:29]
	v_cndmask_b32_e64 v27, v27, v31, s[0:1]
	v_cndmask_b32_e64 v26, v26, v30, s[0:1]
	global_store_dwordx2 v[60:61], v[26:27], off
	s_or_b64 exec, exec, s[10:11]
	s_and_saveexec_b64 s[10:11], s[2:3]
	s_cbranch_execz .LBB126_20
.LBB126_25:                             ;   in Loop: Header=BB126_4 Depth=1
	s_waitcnt vmcnt(0)
	v_div_scale_f64 v[26:27], s[2:3], v[34:35], v[34:35], v[36:37]
	v_rcp_f64_e32 v[28:29], v[26:27]
	v_div_scale_f64 v[30:31], vcc, v[36:37], v[34:35], v[36:37]
	v_fma_f64 v[56:57], -v[26:27], v[28:29], 1.0
	v_fmac_f64_e32 v[28:29], v[28:29], v[56:57]
	v_fma_f64 v[56:57], -v[26:27], v[28:29], 1.0
	v_fmac_f64_e32 v[28:29], v[28:29], v[56:57]
	v_mul_f64 v[56:57], v[30:31], v[28:29]
	v_fma_f64 v[26:27], -v[26:27], v[56:57], v[30:31]
	v_div_fmas_f64 v[26:27], v[26:27], v[28:29], v[56:57]
	v_div_fixup_f64 v[26:27], v[26:27], v[34:35], v[36:37]
	v_add_f64 v[28:29], v[32:33], v[26:27]
	v_fmac_f64_e32 v[32:33], s[12:13], v[26:27]
	v_cndmask_b32_e64 v27, v33, v29, s[0:1]
	v_cndmask_b32_e64 v26, v32, v28, s[0:1]
	v_mov_b32_e32 v29, s17
	v_add_co_u32_e32 v28, vcc, s16, v20
	v_addc_co_u32_e32 v29, vcc, v19, v29, vcc
	global_store_dwordx2 v[28:29], v[26:27], off
	s_or_b64 exec, exec, s[10:11]
	s_and_saveexec_b64 s[2:3], s[6:7]
	s_cbranch_execz .LBB126_21
.LBB126_26:                             ;   in Loop: Header=BB126_4 Depth=1
	s_waitcnt vmcnt(0)
	v_div_scale_f64 v[26:27], s[6:7], v[40:41], v[40:41], v[42:43]
	v_rcp_f64_e32 v[28:29], v[26:27]
	v_div_scale_f64 v[30:31], vcc, v[42:43], v[40:41], v[42:43]
	v_fma_f64 v[32:33], -v[26:27], v[28:29], 1.0
	v_fmac_f64_e32 v[28:29], v[28:29], v[32:33]
	v_fma_f64 v[32:33], -v[26:27], v[28:29], 1.0
	v_fmac_f64_e32 v[28:29], v[28:29], v[32:33]
	v_mul_f64 v[32:33], v[30:31], v[28:29]
	v_fma_f64 v[26:27], -v[26:27], v[32:33], v[30:31]
	v_div_fmas_f64 v[26:27], v[26:27], v[28:29], v[32:33]
	v_div_fixup_f64 v[26:27], v[26:27], v[40:41], v[42:43]
	v_add_f64 v[28:29], v[38:39], v[26:27]
	v_fmac_f64_e32 v[38:39], s[12:13], v[26:27]
	v_cndmask_b32_e64 v27, v39, v29, s[0:1]
	v_cndmask_b32_e64 v26, v38, v28, s[0:1]
	v_mov_b32_e32 v29, s17
	v_add_co_u32_e32 v28, vcc, s16, v14
	v_addc_co_u32_e32 v29, vcc, v13, v29, vcc
	global_store_dwordx2 v[28:29], v[26:27], off
	s_or_b64 exec, exec, s[2:3]
	s_and_saveexec_b64 s[2:3], s[8:9]
	s_cbranch_execz .LBB126_3
.LBB126_27:                             ;   in Loop: Header=BB126_4 Depth=1
	s_waitcnt vmcnt(0)
	v_div_scale_f64 v[26:27], s[6:7], v[46:47], v[46:47], v[48:49]
	v_rcp_f64_e32 v[28:29], v[26:27]
	v_div_scale_f64 v[30:31], vcc, v[48:49], v[46:47], v[48:49]
	v_fma_f64 v[32:33], -v[26:27], v[28:29], 1.0
	v_fmac_f64_e32 v[28:29], v[28:29], v[32:33]
	v_fma_f64 v[32:33], -v[26:27], v[28:29], 1.0
	v_fmac_f64_e32 v[28:29], v[28:29], v[32:33]
	v_mul_f64 v[32:33], v[30:31], v[28:29]
	v_fma_f64 v[26:27], -v[26:27], v[32:33], v[30:31]
	v_div_fmas_f64 v[26:27], v[26:27], v[28:29], v[32:33]
	v_div_fixup_f64 v[26:27], v[26:27], v[46:47], v[48:49]
	v_add_f64 v[28:29], v[44:45], v[26:27]
	v_fmac_f64_e32 v[44:45], s[12:13], v[26:27]
	v_cndmask_b32_e64 v27, v45, v29, s[0:1]
	v_cndmask_b32_e64 v26, v44, v28, s[0:1]
	v_mov_b32_e32 v29, s17
	v_add_co_u32_e32 v28, vcc, s16, v8
	v_addc_co_u32_e32 v29, vcc, v7, v29, vcc
	global_store_dwordx2 v[28:29], v[26:27], off
	s_branch .LBB126_3
.LBB126_28:
	s_mov_b64 s[0:1], 0
.LBB126_29:
	s_andn2_b64 vcc, exec, s[0:1]
	s_cbranch_vccnz .LBB126_33
; %bb.30:
	v_mov_b32_e32 v3, 0
	v_lshlrev_b32_e32 v2, 2, v0
	s_mov_b32 s2, 0
	v_cmp_gt_i64_e32 vcc, s[14:15], v[2:3]
	s_and_saveexec_b64 s[0:1], vcc
	s_cbranch_execz .LBB126_33
; %bb.31:
	s_load_dword s3, s[4:5], 0xdd4
	v_cmp_eq_f64_e64 s[0:1], s[12:13], 1.0
	v_lshlrev_b32_e32 v4, 5, v0
	s_mov_b64 s[10:11], 0
	s_mov_b64 s[16:17], 0xffff
	s_waitcnt lgkmcnt(0)
	s_and_b32 s3, s3, 0xffff
	v_add_lshl_u32 v2, v0, s3, 2
	s_lshl_b32 s18, s3, 2
	s_lshl_b32 s19, s3, 5
	v_mov_b32_e32 v0, s2
.LBB126_32:                             ; =>This Inner Loop Header: Depth=1
	v_cmp_le_i64_e64 s[4:5], s[14:15], v[2:3]
	v_cmp_lt_u64_e64 s[6:7], s[16:17], v[2:3]
	v_add_co_u32_e64 v2, s[8:9], s18, v2
	v_mov_b32_e32 v5, s27
	s_waitcnt vmcnt(0)
	v_add_co_u32_e32 v30, vcc, s26, v4
	v_mov_b32_e32 v6, s29
	v_add_co_u32_e64 v32, s[2:3], s28, v4
	v_addc_co_u32_e64 v3, s[8:9], v3, v0, s[8:9]
	v_mov_b32_e32 v1, s25
	v_add_co_u32_e64 v34, s[8:9], s24, v4
	v_addc_co_u32_e32 v31, vcc, 0, v5, vcc
	v_addc_co_u32_e64 v33, vcc, 0, v6, s[2:3]
	v_addc_co_u32_e64 v35, s[8:9], 0, v1, s[8:9]
	global_load_dwordx4 v[6:9], v[32:33], off
	global_load_dwordx4 v[10:13], v[30:31], off
	global_load_dwordx4 v[14:17], v[30:31], off offset:16
	global_load_dwordx4 v[18:21], v[32:33], off offset:16
	global_load_dwordx4 v[22:25], v[34:35], off
	global_load_dwordx4 v[26:29], v[34:35], off offset:16
	s_or_b64 s[2:3], s[4:5], s[6:7]
	s_add_u32 s24, s24, s19
	s_addc_u32 s25, s25, 0
	s_add_u32 s28, s28, s19
	s_addc_u32 s29, s29, 0
	s_add_u32 s26, s26, s19
	s_addc_u32 s27, s27, 0
	s_and_b64 s[2:3], exec, s[2:3]
	s_or_b64 s[10:11], s[2:3], s[10:11]
	s_waitcnt vmcnt(4)
	v_div_scale_f64 v[30:31], s[2:3], v[6:7], v[6:7], v[10:11]
	v_div_scale_f64 v[36:37], s[2:3], v[8:9], v[8:9], v[12:13]
	v_rcp_f64_e32 v[48:49], v[30:31]
	s_waitcnt vmcnt(2)
	v_div_scale_f64 v[40:41], s[4:5], v[18:19], v[18:19], v[14:15]
	v_rcp_f64_e32 v[50:51], v[36:37]
	v_div_scale_f64 v[44:45], s[6:7], v[20:21], v[20:21], v[16:17]
	v_rcp_f64_e32 v[52:53], v[40:41]
	v_rcp_f64_e32 v[54:55], v[44:45]
	v_fma_f64 v[56:57], -v[30:31], v[48:49], 1.0
	v_fma_f64 v[58:59], -v[36:37], v[50:51], 1.0
	v_fmac_f64_e32 v[48:49], v[48:49], v[56:57]
	v_fma_f64 v[60:61], -v[40:41], v[52:53], 1.0
	v_fmac_f64_e32 v[50:51], v[50:51], v[58:59]
	v_fma_f64 v[56:57], -v[30:31], v[48:49], 1.0
	v_div_scale_f64 v[32:33], vcc, v[10:11], v[6:7], v[10:11]
	v_fma_f64 v[62:63], -v[44:45], v[54:55], 1.0
	v_fmac_f64_e32 v[52:53], v[52:53], v[60:61]
	v_fma_f64 v[58:59], -v[36:37], v[50:51], 1.0
	v_fmac_f64_e32 v[48:49], v[48:49], v[56:57]
	v_div_scale_f64 v[38:39], s[2:3], v[12:13], v[8:9], v[12:13]
	v_fmac_f64_e32 v[54:55], v[54:55], v[62:63]
	v_fma_f64 v[60:61], -v[40:41], v[52:53], 1.0
	v_fmac_f64_e32 v[50:51], v[50:51], v[58:59]
	v_mul_f64 v[56:57], v[32:33], v[48:49]
	v_div_scale_f64 v[42:43], s[4:5], v[14:15], v[18:19], v[14:15]
	v_fma_f64 v[62:63], -v[44:45], v[54:55], 1.0
	v_fmac_f64_e32 v[52:53], v[52:53], v[60:61]
	v_mul_f64 v[58:59], v[38:39], v[50:51]
	v_fma_f64 v[30:31], -v[30:31], v[56:57], v[32:33]
	v_div_scale_f64 v[46:47], s[6:7], v[16:17], v[20:21], v[16:17]
	v_fmac_f64_e32 v[54:55], v[54:55], v[62:63]
	v_mul_f64 v[60:61], v[42:43], v[52:53]
	v_fma_f64 v[32:33], -v[36:37], v[58:59], v[38:39]
	v_div_fmas_f64 v[30:31], v[30:31], v[48:49], v[56:57]
	s_mov_b64 vcc, s[2:3]
	v_mul_f64 v[62:63], v[46:47], v[54:55]
	v_fma_f64 v[36:37], -v[40:41], v[60:61], v[42:43]
	v_div_fixup_f64 v[6:7], v[30:31], v[6:7], v[10:11]
	v_div_fmas_f64 v[10:11], v[32:33], v[50:51], v[58:59]
	s_mov_b64 vcc, s[4:5]
	v_fma_f64 v[38:39], -v[44:45], v[62:63], v[46:47]
	v_div_fixup_f64 v[8:9], v[10:11], v[8:9], v[12:13]
	v_div_fmas_f64 v[10:11], v[36:37], v[52:53], v[60:61]
	s_mov_b64 vcc, s[6:7]
	s_waitcnt vmcnt(1)
	v_add_f64 v[12:13], v[24:25], v[8:9]
	v_fmac_f64_e32 v[24:25], s[12:13], v[8:9]
	v_div_fixup_f64 v[10:11], v[10:11], v[18:19], v[14:15]
	v_div_fmas_f64 v[14:15], v[38:39], v[54:55], v[62:63]
	v_cndmask_b32_e64 v9, v25, v13, s[0:1]
	v_cndmask_b32_e64 v8, v24, v12, s[0:1]
	s_waitcnt vmcnt(0)
	v_add_f64 v[12:13], v[26:27], v[10:11]
	v_fmac_f64_e32 v[26:27], s[12:13], v[10:11]
	v_div_fixup_f64 v[14:15], v[14:15], v[20:21], v[16:17]
	v_add_f64 v[30:31], v[22:23], v[6:7]
	v_fmac_f64_e32 v[22:23], s[12:13], v[6:7]
	v_cndmask_b32_e64 v11, v27, v13, s[0:1]
	v_cndmask_b32_e64 v10, v26, v12, s[0:1]
	v_add_f64 v[12:13], v[28:29], v[14:15]
	v_fmac_f64_e32 v[28:29], s[12:13], v[14:15]
	v_cndmask_b32_e64 v7, v23, v31, s[0:1]
	v_cndmask_b32_e64 v6, v22, v30, s[0:1]
	;; [unrolled: 1-line block ×4, first 2 shown]
	global_store_dwordx4 v[34:35], v[6:9], off
	global_store_dwordx4 v[34:35], v[10:13], off offset:16
	s_andn2_b64 exec, exec, s[10:11]
	s_cbranch_execnz .LBB126_32
.LBB126_33:
	s_endpgm
	.section	.rodata,"a",@progbits
	.p2align	6, 0x0
	.amdhsa_kernel _ZN2at6native12_GLOBAL__N_125multi_tensor_apply_kernelINS1_28TensorListScalarListMetadataIdLi3EEENS1_28PointwiseOpScalarListFunctorIdLi3ELi3ELi0EEEJSt7dividesIdEEEEvT_T0_DpT1_
		.amdhsa_group_segment_fixed_size 0
		.amdhsa_private_segment_fixed_size 0
		.amdhsa_kernarg_size 3784
		.amdhsa_user_sgpr_count 6
		.amdhsa_user_sgpr_private_segment_buffer 1
		.amdhsa_user_sgpr_dispatch_ptr 0
		.amdhsa_user_sgpr_queue_ptr 0
		.amdhsa_user_sgpr_kernarg_segment_ptr 1
		.amdhsa_user_sgpr_dispatch_id 0
		.amdhsa_user_sgpr_flat_scratch_init 0
		.amdhsa_user_sgpr_kernarg_preload_length 0
		.amdhsa_user_sgpr_kernarg_preload_offset 0
		.amdhsa_user_sgpr_private_segment_size 0
		.amdhsa_uses_dynamic_stack 0
		.amdhsa_system_sgpr_private_segment_wavefront_offset 0
		.amdhsa_system_sgpr_workgroup_id_x 1
		.amdhsa_system_sgpr_workgroup_id_y 0
		.amdhsa_system_sgpr_workgroup_id_z 0
		.amdhsa_system_sgpr_workgroup_info 0
		.amdhsa_system_vgpr_workitem_id 0
		.amdhsa_next_free_vgpr 66
		.amdhsa_next_free_sgpr 34
		.amdhsa_accum_offset 68
		.amdhsa_reserve_vcc 1
		.amdhsa_reserve_flat_scratch 0
		.amdhsa_float_round_mode_32 0
		.amdhsa_float_round_mode_16_64 0
		.amdhsa_float_denorm_mode_32 3
		.amdhsa_float_denorm_mode_16_64 3
		.amdhsa_dx10_clamp 1
		.amdhsa_ieee_mode 1
		.amdhsa_fp16_overflow 0
		.amdhsa_tg_split 0
		.amdhsa_exception_fp_ieee_invalid_op 0
		.amdhsa_exception_fp_denorm_src 0
		.amdhsa_exception_fp_ieee_div_zero 0
		.amdhsa_exception_fp_ieee_overflow 0
		.amdhsa_exception_fp_ieee_underflow 0
		.amdhsa_exception_fp_ieee_inexact 0
		.amdhsa_exception_int_div_zero 0
	.end_amdhsa_kernel
	.section	.text._ZN2at6native12_GLOBAL__N_125multi_tensor_apply_kernelINS1_28TensorListScalarListMetadataIdLi3EEENS1_28PointwiseOpScalarListFunctorIdLi3ELi3ELi0EEEJSt7dividesIdEEEEvT_T0_DpT1_,"axG",@progbits,_ZN2at6native12_GLOBAL__N_125multi_tensor_apply_kernelINS1_28TensorListScalarListMetadataIdLi3EEENS1_28PointwiseOpScalarListFunctorIdLi3ELi3ELi0EEEJSt7dividesIdEEEEvT_T0_DpT1_,comdat
.Lfunc_end126:
	.size	_ZN2at6native12_GLOBAL__N_125multi_tensor_apply_kernelINS1_28TensorListScalarListMetadataIdLi3EEENS1_28PointwiseOpScalarListFunctorIdLi3ELi3ELi0EEEJSt7dividesIdEEEEvT_T0_DpT1_, .Lfunc_end126-_ZN2at6native12_GLOBAL__N_125multi_tensor_apply_kernelINS1_28TensorListScalarListMetadataIdLi3EEENS1_28PointwiseOpScalarListFunctorIdLi3ELi3ELi0EEEJSt7dividesIdEEEEvT_T0_DpT1_
                                        ; -- End function
	.section	.AMDGPU.csdata,"",@progbits
; Kernel info:
; codeLenInByte = 2640
; NumSgprs: 38
; NumVgprs: 66
; NumAgprs: 0
; TotalNumVgprs: 66
; ScratchSize: 0
; MemoryBound: 0
; FloatMode: 240
; IeeeMode: 1
; LDSByteSize: 0 bytes/workgroup (compile time only)
; SGPRBlocks: 4
; VGPRBlocks: 8
; NumSGPRsForWavesPerEU: 38
; NumVGPRsForWavesPerEU: 66
; AccumOffset: 68
; Occupancy: 7
; WaveLimiterHint : 1
; COMPUTE_PGM_RSRC2:SCRATCH_EN: 0
; COMPUTE_PGM_RSRC2:USER_SGPR: 6
; COMPUTE_PGM_RSRC2:TRAP_HANDLER: 0
; COMPUTE_PGM_RSRC2:TGID_X_EN: 1
; COMPUTE_PGM_RSRC2:TGID_Y_EN: 0
; COMPUTE_PGM_RSRC2:TGID_Z_EN: 0
; COMPUTE_PGM_RSRC2:TIDIG_COMP_CNT: 0
; COMPUTE_PGM_RSRC3_GFX90A:ACCUM_OFFSET: 16
; COMPUTE_PGM_RSRC3_GFX90A:TG_SPLIT: 0
	.section	.text._ZN2at6native12_GLOBAL__N_125multi_tensor_apply_kernelINS1_28TensorListScalarListMetadataIfLi3EEENS1_28PointwiseOpScalarListFunctorIfLi3ELi3ELi0EEEJSt7dividesIfEEEEvT_T0_DpT1_,"axG",@progbits,_ZN2at6native12_GLOBAL__N_125multi_tensor_apply_kernelINS1_28TensorListScalarListMetadataIfLi3EEENS1_28PointwiseOpScalarListFunctorIfLi3ELi3ELi0EEEJSt7dividesIfEEEEvT_T0_DpT1_,comdat
	.globl	_ZN2at6native12_GLOBAL__N_125multi_tensor_apply_kernelINS1_28TensorListScalarListMetadataIfLi3EEENS1_28PointwiseOpScalarListFunctorIfLi3ELi3ELi0EEEJSt7dividesIfEEEEvT_T0_DpT1_ ; -- Begin function _ZN2at6native12_GLOBAL__N_125multi_tensor_apply_kernelINS1_28TensorListScalarListMetadataIfLi3EEENS1_28PointwiseOpScalarListFunctorIfLi3ELi3ELi0EEEJSt7dividesIfEEEEvT_T0_DpT1_
	.p2align	8
	.type	_ZN2at6native12_GLOBAL__N_125multi_tensor_apply_kernelINS1_28TensorListScalarListMetadataIfLi3EEENS1_28PointwiseOpScalarListFunctorIfLi3ELi3ELi0EEEJSt7dividesIfEEEEvT_T0_DpT1_,@function
_ZN2at6native12_GLOBAL__N_125multi_tensor_apply_kernelINS1_28TensorListScalarListMetadataIfLi3EEENS1_28PointwiseOpScalarListFunctorIfLi3ELi3ELi0EEEJSt7dividesIfEEEEvT_T0_DpT1_: ; @_ZN2at6native12_GLOBAL__N_125multi_tensor_apply_kernelINS1_28TensorListScalarListMetadataIfLi3EEENS1_28PointwiseOpScalarListFunctorIfLi3ELi3ELi0EEEJSt7dividesIfEEEEvT_T0_DpT1_
; %bb.0:
	v_mov_b32_e32 v1, s6
	global_load_ubyte v1, v1, s[4:5] offset:1728
	s_add_u32 s0, s4, s6
	s_mul_i32 s1, s6, 3
	s_addc_u32 s2, s5, 0
	s_mul_hi_u32 s3, s6, 3
	s_add_u32 s0, s0, s1
	s_addc_u32 s1, s2, s3
	s_load_dword s0, s[0:1], 0x800
	s_mov_b32 s3, 0
	s_waitcnt lgkmcnt(0)
	s_ashr_i32 s1, s0, 31
	s_waitcnt vmcnt(0)
	v_readfirstlane_b32 s2, v1
	s_lshl_b32 s2, s2, 3
	s_add_u32 s8, s4, s2
	s_load_dwordx2 s[20:21], s[4:5], s2 offset:0x0
	s_load_dwordx2 s[18:19], s[4:5], s2 offset:0x180
	;; [unrolled: 1-line block ×4, first 2 shown]
	v_lshlrev_b32_e32 v1, 2, v1
	s_addc_u32 s2, s5, 0
	v_mov_b32_e32 v3, s2
	v_sub_co_u32_e32 v2, vcc, s8, v1
	s_lshl_b64 s[22:23], s[0:1], 18
	v_subbrev_co_u32_e32 v1, vcc, 0, v3, vcc
	v_readfirstlane_b32 s8, v2
	v_readfirstlane_b32 s9, v1
	s_waitcnt lgkmcnt(0)
	s_add_u32 s10, s18, s22
	s_load_dword s14, s[8:9], 0x600
	s_or_b32 s8, s12, s10
	s_and_b32 s2, s20, 15
	s_and_b32 s8, s8, 15
	s_cmp_eq_u32 s8, 0
	s_cselect_b64 s[8:9], -1, 0
	s_lshl_b64 s[0:1], s[0:1], 16
	s_sub_u32 s16, s6, s0
	s_subb_u32 s17, s7, s1
	s_and_b32 s0, s6, 3
	s_or_b32 s2, s2, s0
	s_cmp_eq_u64 s[2:3], 0
	s_cselect_b64 s[0:1], -1, 0
	s_and_b64 s[2:3], s[8:9], s[0:1]
	s_mov_b64 s[0:1], -1
	s_and_b64 vcc, exec, s[2:3]
	s_cbranch_vccnz .LBB127_29
; %bb.1:
	v_cmp_lt_i64_e64 s[0:1], s[16:17], 1
	s_and_b64 vcc, exec, s[0:1]
	s_cbranch_vccnz .LBB127_28
; %bb.2:
	s_load_dword s0, s[4:5], 0xd14
	v_mov_b32_e32 v2, 0x10000
	v_mov_b32_e32 v3, 0
	v_cmp_lt_u64_e32 vcc, s[16:17], v[2:3]
	v_lshlrev_b32_e32 v14, 2, v0
	s_waitcnt lgkmcnt(0)
	s_and_b32 s6, s0, 0xffff
	s_and_b64 s[0:1], vcc, exec
	v_mov_b32_e32 v19, s21
	v_add_co_u32_e32 v2, vcc, s20, v14
	v_addc_co_u32_e32 v1, vcc, 0, v19, vcc
	v_mov_b32_e32 v21, s19
	v_add_co_u32_e32 v4, vcc, s18, v14
	v_addc_co_u32_e32 v3, vcc, 0, v21, vcc
	v_mov_b32_e32 v15, 0
	v_mov_b32_e32 v23, s13
	v_add_co_u32_e32 v6, vcc, s12, v14
	v_addc_co_u32_e32 v5, vcc, 0, v23, vcc
	v_mad_u64_u32 v[12:13], s[2:3], s6, 12, v[14:15]
	v_add_co_u32_e32 v8, vcc, s20, v12
	v_addc_co_u32_e32 v7, vcc, v19, v13, vcc
	v_add_co_u32_e32 v10, vcc, s18, v12
	v_addc_co_u32_e32 v9, vcc, v21, v13, vcc
	v_add_co_u32_e32 v12, vcc, s12, v12
	s_mul_i32 s8, s6, 3
	v_addc_co_u32_e32 v11, vcc, v23, v13, vcc
	v_add_co_u32_e32 v25, vcc, s8, v0
	v_addc_co_u32_e64 v26, s[2:3], 0, 0, vcc
	s_cselect_b32 s25, s17, 0
	s_cselect_b32 s24, s16, 0x10000
	s_lshl_b32 s2, s6, 3
	v_add_co_u32_e32 v17, vcc, s2, v14
	v_addc_co_u32_e64 v20, s[2:3], 0, 0, vcc
	v_add_co_u32_e32 v14, vcc, s20, v17
	v_addc_co_u32_e32 v13, vcc, v19, v20, vcc
	v_add_co_u32_e32 v16, vcc, s18, v17
	v_addc_co_u32_e32 v15, vcc, v21, v20, vcc
	v_add_co_u32_e32 v18, vcc, s12, v17
	s_lshl_b32 s7, s6, 1
	v_addc_co_u32_e32 v17, vcc, v23, v20, vcc
	v_add_co_u32_e32 v27, vcc, s7, v0
	v_addc_co_u32_e64 v28, s[2:3], 0, 0, vcc
	v_add_co_u32_e32 v29, vcc, s6, v0
	v_lshlrev_b32_e32 v24, 2, v29
	v_addc_co_u32_e64 v30, s[2:3], 0, 0, vcc
	v_add_co_u32_e32 v20, vcc, s20, v24
	v_addc_co_u32_e32 v19, vcc, 0, v19, vcc
	v_add_co_u32_e32 v22, vcc, s18, v24
	v_addc_co_u32_e32 v21, vcc, 0, v21, vcc
	v_add_co_u32_e32 v24, vcc, s12, v24
	s_mov_b32 s15, 0
	v_cmp_eq_f32_e64 s[0:1], s14, 1.0
	s_lshl_b32 s30, s6, 2
	s_lshl_b32 s31, s6, 4
	v_addc_co_u32_e32 v23, vcc, 0, v23, vcc
	s_mov_b64 s[26:27], 0
	s_branch .LBB127_4
.LBB127_3:                              ;   in Loop: Header=BB127_4 Depth=1
	s_or_b64 exec, exec, s[2:3]
	s_add_u32 s26, s26, s30
	s_addc_u32 s27, s27, 0
	s_waitcnt vmcnt(0)
	v_pk_mov_b32 v[32:33], s[16:17], s[16:17] op_sel:[0,1]
	v_cmp_lt_i64_e32 vcc, s[26:27], v[32:33]
	v_mov_b32_e32 v32, 0x10000
	v_mov_b32_e32 v33, 0
	v_cmp_lt_u64_e64 s[2:3], s[26:27], v[32:33]
	s_and_b64 s[2:3], vcc, s[2:3]
	v_mov_b32_e32 v31, s15
	v_add_co_u32_e32 v2, vcc, s31, v2
	v_addc_co_u32_e32 v1, vcc, v1, v31, vcc
	v_add_co_u32_e32 v4, vcc, s31, v4
	v_addc_co_u32_e32 v3, vcc, v3, v31, vcc
	;; [unrolled: 2-line block ×12, first 2 shown]
	s_and_b64 vcc, exec, s[2:3]
	s_cbranch_vccz .LBB127_28
.LBB127_4:                              ; =>This Inner Loop Header: Depth=1
	v_mov_b32_e32 v31, s27
	v_add_co_u32_e32 v32, vcc, s26, v0
	v_addc_co_u32_e32 v33, vcc, 0, v31, vcc
	v_cmp_gt_u64_e32 vcc, s[24:25], v[32:33]
	v_mov_b32_e32 v32, 0
	v_mov_b32_e32 v33, 0
	s_and_saveexec_b64 s[6:7], vcc
	s_cbranch_execz .LBB127_6
; %bb.5:                                ;   in Loop: Header=BB127_4 Depth=1
	v_mov_b32_e32 v31, s23
	v_add_co_u32_e64 v34, s[2:3], s22, v2
	v_addc_co_u32_e64 v35, s[2:3], v1, v31, s[2:3]
	v_add_co_u32_e64 v36, s[2:3], s22, v4
	v_addc_co_u32_e64 v37, s[2:3], v3, v31, s[2:3]
	global_load_dword v32, v[34:35], off
	global_load_dword v33, v[36:37], off
.LBB127_6:                              ;   in Loop: Header=BB127_4 Depth=1
	s_or_b64 exec, exec, s[6:7]
	v_mov_b32_e32 v31, 0
	v_mov_b32_e32 v35, 0
	s_and_saveexec_b64 s[6:7], vcc
	s_cbranch_execz .LBB127_8
; %bb.7:                                ;   in Loop: Header=BB127_4 Depth=1
	v_mov_b32_e32 v35, s23
	v_add_co_u32_e64 v34, s[2:3], s22, v6
	v_addc_co_u32_e64 v35, s[2:3], v5, v35, s[2:3]
	global_load_dword v35, v[34:35], off
.LBB127_8:                              ;   in Loop: Header=BB127_4 Depth=1
	s_or_b64 exec, exec, s[6:7]
	v_mov_b32_e32 v34, s27
	v_add_co_u32_e64 v36, s[2:3], s26, v29
	v_addc_co_u32_e64 v37, s[2:3], v30, v34, s[2:3]
	v_cmp_gt_u64_e64 s[2:3], s[24:25], v[36:37]
	v_mov_b32_e32 v36, 0
	s_and_saveexec_b64 s[8:9], s[2:3]
	s_cbranch_execz .LBB127_10
; %bb.9:                                ;   in Loop: Header=BB127_4 Depth=1
	v_mov_b32_e32 v31, s23
	v_add_co_u32_e64 v38, s[6:7], s22, v20
	v_addc_co_u32_e64 v39, s[6:7], v19, v31, s[6:7]
	v_add_co_u32_e64 v40, s[6:7], s22, v22
	v_addc_co_u32_e64 v41, s[6:7], v21, v31, s[6:7]
	global_load_dword v31, v[38:39], off
	global_load_dword v36, v[40:41], off
.LBB127_10:                             ;   in Loop: Header=BB127_4 Depth=1
	s_or_b64 exec, exec, s[8:9]
	v_mov_b32_e32 v34, 0
	v_mov_b32_e32 v39, 0
	s_and_saveexec_b64 s[8:9], s[2:3]
	s_cbranch_execz .LBB127_12
; %bb.11:                               ;   in Loop: Header=BB127_4 Depth=1
	v_mov_b32_e32 v37, s23
	v_add_co_u32_e64 v38, s[6:7], s22, v24
	v_addc_co_u32_e64 v39, s[6:7], v23, v37, s[6:7]
	global_load_dword v39, v[38:39], off
.LBB127_12:                             ;   in Loop: Header=BB127_4 Depth=1
	s_or_b64 exec, exec, s[8:9]
	v_mov_b32_e32 v37, s27
	v_add_co_u32_e64 v40, s[6:7], s26, v27
	v_addc_co_u32_e64 v41, s[6:7], v28, v37, s[6:7]
	v_cmp_gt_u64_e64 s[6:7], s[24:25], v[40:41]
	v_mov_b32_e32 v38, 0
	s_and_saveexec_b64 s[10:11], s[6:7]
	s_cbranch_execz .LBB127_14
; %bb.13:                               ;   in Loop: Header=BB127_4 Depth=1
	v_mov_b32_e32 v34, s23
	v_add_co_u32_e64 v40, s[8:9], s22, v14
	v_addc_co_u32_e64 v41, s[8:9], v13, v34, s[8:9]
	v_add_co_u32_e64 v42, s[8:9], s22, v16
	v_addc_co_u32_e64 v43, s[8:9], v15, v34, s[8:9]
	global_load_dword v34, v[40:41], off
	global_load_dword v38, v[42:43], off
.LBB127_14:                             ;   in Loop: Header=BB127_4 Depth=1
	s_or_b64 exec, exec, s[10:11]
	v_mov_b32_e32 v37, 0
	v_mov_b32_e32 v41, 0
	s_and_saveexec_b64 s[10:11], s[6:7]
	s_cbranch_execz .LBB127_16
; %bb.15:                               ;   in Loop: Header=BB127_4 Depth=1
	v_mov_b32_e32 v41, s23
	v_add_co_u32_e64 v40, s[8:9], s22, v18
	v_addc_co_u32_e64 v41, s[8:9], v17, v41, s[8:9]
	global_load_dword v41, v[40:41], off
.LBB127_16:                             ;   in Loop: Header=BB127_4 Depth=1
	s_or_b64 exec, exec, s[10:11]
	v_mov_b32_e32 v40, s27
	v_add_co_u32_e64 v42, s[8:9], s26, v25
	v_addc_co_u32_e64 v43, s[8:9], v26, v40, s[8:9]
	v_cmp_gt_u64_e64 s[8:9], s[24:25], v[42:43]
	v_mov_b32_e32 v40, 0
	s_and_saveexec_b64 s[28:29], s[8:9]
	s_cbranch_execnz .LBB127_22
; %bb.17:                               ;   in Loop: Header=BB127_4 Depth=1
	s_or_b64 exec, exec, s[28:29]
	v_mov_b32_e32 v42, 0
	s_and_saveexec_b64 s[28:29], s[8:9]
	s_cbranch_execnz .LBB127_23
.LBB127_18:                             ;   in Loop: Header=BB127_4 Depth=1
	s_or_b64 exec, exec, s[28:29]
	s_and_saveexec_b64 s[10:11], vcc
	s_cbranch_execnz .LBB127_24
.LBB127_19:                             ;   in Loop: Header=BB127_4 Depth=1
	s_or_b64 exec, exec, s[10:11]
	s_and_saveexec_b64 s[10:11], s[2:3]
	s_cbranch_execnz .LBB127_25
.LBB127_20:                             ;   in Loop: Header=BB127_4 Depth=1
	s_or_b64 exec, exec, s[10:11]
	s_and_saveexec_b64 s[2:3], s[6:7]
	s_cbranch_execnz .LBB127_26
.LBB127_21:                             ;   in Loop: Header=BB127_4 Depth=1
	s_or_b64 exec, exec, s[2:3]
	s_and_saveexec_b64 s[2:3], s[8:9]
	s_cbranch_execz .LBB127_3
	s_branch .LBB127_27
.LBB127_22:                             ;   in Loop: Header=BB127_4 Depth=1
	v_mov_b32_e32 v37, s23
	v_add_co_u32_e64 v42, s[10:11], s22, v8
	v_addc_co_u32_e64 v43, s[10:11], v7, v37, s[10:11]
	v_add_co_u32_e64 v44, s[10:11], s22, v10
	v_addc_co_u32_e64 v45, s[10:11], v9, v37, s[10:11]
	global_load_dword v37, v[42:43], off
	global_load_dword v40, v[44:45], off
	s_or_b64 exec, exec, s[28:29]
	v_mov_b32_e32 v42, 0
	s_and_saveexec_b64 s[28:29], s[8:9]
	s_cbranch_execz .LBB127_18
.LBB127_23:                             ;   in Loop: Header=BB127_4 Depth=1
	v_mov_b32_e32 v43, s23
	v_add_co_u32_e64 v42, s[10:11], s22, v12
	v_addc_co_u32_e64 v43, s[10:11], v11, v43, s[10:11]
	global_load_dword v42, v[42:43], off
	s_or_b64 exec, exec, s[28:29]
	s_and_saveexec_b64 s[10:11], vcc
	s_cbranch_execz .LBB127_19
.LBB127_24:                             ;   in Loop: Header=BB127_4 Depth=1
	s_waitcnt vmcnt(0)
	v_div_scale_f32 v46, s[28:29], v35, v35, v33
	v_rcp_f32_e32 v47, v46
	v_mov_b32_e32 v43, s23
	v_add_co_u32_e32 v44, vcc, s22, v2
	v_addc_co_u32_e32 v45, vcc, v1, v43, vcc
	v_fma_f32 v43, -v46, v47, 1.0
	v_fmac_f32_e32 v47, v43, v47
	v_div_scale_f32 v43, vcc, v33, v35, v33
	v_mul_f32_e32 v48, v43, v47
	v_fma_f32 v49, -v46, v48, v43
	v_fmac_f32_e32 v48, v49, v47
	v_fma_f32 v43, -v46, v48, v43
	v_div_fmas_f32 v43, v43, v47, v48
	v_div_fixup_f32 v33, v43, v35, v33
	v_add_f32_e32 v35, v32, v33
	v_fmac_f32_e32 v32, s14, v33
	v_cndmask_b32_e64 v32, v32, v35, s[0:1]
	global_store_dword v[44:45], v32, off
	s_or_b64 exec, exec, s[10:11]
	s_and_saveexec_b64 s[10:11], s[2:3]
	s_cbranch_execz .LBB127_20
.LBB127_25:                             ;   in Loop: Header=BB127_4 Depth=1
	s_waitcnt vmcnt(0)
	v_div_scale_f32 v32, s[2:3], v39, v39, v36
	v_rcp_f32_e32 v33, v32
	v_div_scale_f32 v35, vcc, v36, v39, v36
	v_fma_f32 v43, -v32, v33, 1.0
	v_fmac_f32_e32 v33, v43, v33
	v_mul_f32_e32 v43, v35, v33
	v_fma_f32 v44, -v32, v43, v35
	v_fmac_f32_e32 v43, v44, v33
	v_fma_f32 v32, -v32, v43, v35
	v_div_fmas_f32 v32, v32, v33, v43
	v_div_fixup_f32 v32, v32, v39, v36
	v_add_f32_e32 v33, v31, v32
	v_fmac_f32_e32 v31, s14, v32
	v_cndmask_b32_e64 v31, v31, v33, s[0:1]
	v_mov_b32_e32 v33, s23
	v_add_co_u32_e32 v32, vcc, s22, v20
	v_addc_co_u32_e32 v33, vcc, v19, v33, vcc
	global_store_dword v[32:33], v31, off
	s_or_b64 exec, exec, s[10:11]
	s_and_saveexec_b64 s[2:3], s[6:7]
	s_cbranch_execz .LBB127_21
.LBB127_26:                             ;   in Loop: Header=BB127_4 Depth=1
	s_waitcnt vmcnt(0)
	v_div_scale_f32 v31, s[6:7], v41, v41, v38
	v_rcp_f32_e32 v32, v31
	v_div_scale_f32 v33, vcc, v38, v41, v38
	v_fma_f32 v35, -v31, v32, 1.0
	v_fmac_f32_e32 v32, v35, v32
	v_mul_f32_e32 v35, v33, v32
	v_fma_f32 v36, -v31, v35, v33
	v_fmac_f32_e32 v35, v36, v32
	v_fma_f32 v31, -v31, v35, v33
	v_div_fmas_f32 v31, v31, v32, v35
	v_div_fixup_f32 v31, v31, v41, v38
	v_add_f32_e32 v32, v34, v31
	v_fmac_f32_e32 v34, s14, v31
	v_cndmask_b32_e64 v31, v34, v32, s[0:1]
	v_mov_b32_e32 v33, s23
	v_add_co_u32_e32 v32, vcc, s22, v14
	v_addc_co_u32_e32 v33, vcc, v13, v33, vcc
	global_store_dword v[32:33], v31, off
	s_or_b64 exec, exec, s[2:3]
	s_and_saveexec_b64 s[2:3], s[8:9]
	s_cbranch_execz .LBB127_3
.LBB127_27:                             ;   in Loop: Header=BB127_4 Depth=1
	s_waitcnt vmcnt(0)
	v_div_scale_f32 v31, s[6:7], v42, v42, v40
	v_rcp_f32_e32 v32, v31
	v_div_scale_f32 v33, vcc, v40, v42, v40
	v_fma_f32 v34, -v31, v32, 1.0
	v_fmac_f32_e32 v32, v34, v32
	v_mul_f32_e32 v34, v33, v32
	v_fma_f32 v35, -v31, v34, v33
	v_fmac_f32_e32 v34, v35, v32
	v_fma_f32 v31, -v31, v34, v33
	v_div_fmas_f32 v31, v31, v32, v34
	v_div_fixup_f32 v31, v31, v42, v40
	v_add_f32_e32 v32, v37, v31
	v_fmac_f32_e32 v37, s14, v31
	v_cndmask_b32_e64 v31, v37, v32, s[0:1]
	v_mov_b32_e32 v33, s23
	v_add_co_u32_e32 v32, vcc, s22, v8
	v_addc_co_u32_e32 v33, vcc, v7, v33, vcc
	global_store_dword v[32:33], v31, off
	s_branch .LBB127_3
.LBB127_28:
	s_mov_b64 s[0:1], 0
.LBB127_29:
	s_andn2_b64 vcc, exec, s[0:1]
	s_cbranch_vccnz .LBB127_33
; %bb.30:
	v_mov_b32_e32 v3, 0
	v_lshlrev_b32_e32 v2, 2, v0
	s_mov_b32 s2, 0
	v_cmp_gt_i64_e32 vcc, s[16:17], v[2:3]
	s_and_saveexec_b64 s[0:1], vcc
	s_cbranch_execz .LBB127_33
; %bb.31:
	s_load_dword s3, s[4:5], 0xd14
	v_lshlrev_b32_e32 v1, 4, v0
	v_mov_b32_e32 v4, s23
	s_waitcnt lgkmcnt(0)
	v_cmp_eq_f32_e64 s[0:1], s14, 1.0
	s_mov_b32 s15, s14
	s_and_b32 s3, s3, 0xffff
	s_lshl_b32 s24, s3, 2
	s_add_u32 s20, s20, 8
	s_addc_u32 s4, s21, 0
	s_lshl_b32 s21, s3, 4
	s_add_u32 s18, s18, 8
	v_add_lshl_u32 v2, v0, s3, 2
	v_add_co_u32_e32 v0, vcc, s22, v1
	s_addc_u32 s5, s19, 0
	v_addc_co_u32_e32 v1, vcc, 0, v4, vcc
	s_mov_b64 s[8:9], 0
	v_mov_b32_e32 v4, s4
	v_mov_b32_e32 v5, s5
	;; [unrolled: 1-line block ×3, first 2 shown]
	s_mov_b64 s[10:11], 0xffff
	v_mov_b32_e32 v7, s2
	v_mov_b32_e32 v8, s2
.LBB127_32:                             ; =>This Inner Loop Header: Depth=1
	v_add_co_u32_e32 v18, vcc, s18, v0
	v_addc_co_u32_e32 v19, vcc, v5, v1, vcc
	v_add_co_u32_e32 v20, vcc, s12, v0
	v_addc_co_u32_e32 v21, vcc, v6, v1, vcc
	global_load_dwordx4 v[10:13], v[18:19], off offset:-8
	global_load_dwordx4 v[14:17], v[20:21], off
	v_add_co_u32_e32 v22, vcc, s20, v0
	v_addc_co_u32_e32 v23, vcc, v4, v1, vcc
	global_load_dwordx4 v[18:21], v[22:23], off offset:-8
	v_cmp_le_i64_e32 vcc, s[16:17], v[2:3]
	v_cmp_lt_u64_e64 s[2:3], s[10:11], v[2:3]
	s_or_b64 s[2:3], vcc, s[2:3]
	v_add_co_u32_e64 v2, s[4:5], s24, v2
	s_and_b64 s[2:3], exec, s[2:3]
	v_addc_co_u32_e64 v3, s[4:5], v3, v7, s[4:5]
	s_or_b64 s[8:9], s[2:3], s[8:9]
	v_add_co_u32_e64 v0, s[4:5], s21, v0
	v_addc_co_u32_e64 v1, s[4:5], v1, v8, s[4:5]
	s_waitcnt vmcnt(1)
	v_div_scale_f32 v9, s[2:3], v15, v15, v11
	v_div_scale_f32 v25, s[2:3], v14, v14, v10
	v_rcp_f32_e32 v31, v9
	v_div_scale_f32 v27, s[4:5], v17, v17, v13
	v_rcp_f32_e32 v32, v25
	;; [unrolled: 2-line block ×3, first 2 shown]
	v_rcp_f32_e32 v34, v29
	v_fma_f32 v35, -v9, v31, 1.0
	v_div_scale_f32 v24, vcc, v11, v15, v11
	v_fma_f32 v36, -v25, v32, 1.0
	v_fmac_f32_e32 v31, v35, v31
	v_div_scale_f32 v26, s[2:3], v10, v14, v10
	v_fma_f32 v37, -v27, v33, 1.0
	v_fmac_f32_e32 v32, v36, v32
	v_mul_f32_e32 v35, v24, v31
	v_div_scale_f32 v28, s[4:5], v13, v17, v13
	v_fma_f32 v38, -v29, v34, 1.0
	v_fmac_f32_e32 v33, v37, v33
	v_mul_f32_e32 v36, v26, v32
	v_fma_f32 v39, -v9, v35, v24
	v_div_scale_f32 v30, s[6:7], v12, v16, v12
	v_fmac_f32_e32 v34, v38, v34
	v_mul_f32_e32 v37, v28, v33
	v_fma_f32 v40, -v25, v36, v26
	v_fmac_f32_e32 v35, v39, v31
	v_mul_f32_e32 v38, v30, v34
	v_fma_f32 v41, -v27, v37, v28
	v_fmac_f32_e32 v36, v40, v32
	v_fma_f32 v9, -v9, v35, v24
	v_fma_f32 v42, -v29, v38, v30
	v_fmac_f32_e32 v37, v41, v33
	v_fma_f32 v24, -v25, v36, v26
	v_div_fmas_f32 v9, v9, v31, v35
	s_mov_b64 vcc, s[2:3]
	v_fmac_f32_e32 v38, v42, v34
	v_fma_f32 v25, -v27, v37, v28
	v_div_fixup_f32 v11, v9, v15, v11
	v_div_fmas_f32 v9, v24, v32, v36
	s_mov_b64 vcc, s[4:5]
	v_fma_f32 v26, -v29, v38, v30
	v_div_fixup_f32 v10, v9, v14, v10
	v_div_fmas_f32 v9, v25, v33, v37
	s_mov_b64 vcc, s[6:7]
	v_div_fixup_f32 v13, v9, v17, v13
	v_div_fmas_f32 v9, v26, v34, v38
	s_waitcnt vmcnt(0)
	v_pk_add_f32 v[14:15], v[18:19], v[10:11]
	v_pk_fma_f32 v[10:11], s[14:15], v[10:11], v[18:19]
	v_div_fixup_f32 v12, v9, v16, v12
	v_cndmask_b32_e64 v11, v11, v15, s[0:1]
	v_cndmask_b32_e64 v10, v10, v14, s[0:1]
	v_pk_add_f32 v[14:15], v[20:21], v[12:13]
	v_pk_fma_f32 v[12:13], s[14:15], v[12:13], v[20:21]
	v_cndmask_b32_e64 v13, v13, v15, s[0:1]
	v_cndmask_b32_e64 v12, v12, v14, s[0:1]
	global_store_dwordx4 v[22:23], v[10:13], off offset:-8
	s_andn2_b64 exec, exec, s[8:9]
	s_cbranch_execnz .LBB127_32
.LBB127_33:
	s_endpgm
	.section	.rodata,"a",@progbits
	.p2align	6, 0x0
	.amdhsa_kernel _ZN2at6native12_GLOBAL__N_125multi_tensor_apply_kernelINS1_28TensorListScalarListMetadataIfLi3EEENS1_28PointwiseOpScalarListFunctorIfLi3ELi3ELi0EEEJSt7dividesIfEEEEvT_T0_DpT1_
		.amdhsa_group_segment_fixed_size 0
		.amdhsa_private_segment_fixed_size 0
		.amdhsa_kernarg_size 3592
		.amdhsa_user_sgpr_count 6
		.amdhsa_user_sgpr_private_segment_buffer 1
		.amdhsa_user_sgpr_dispatch_ptr 0
		.amdhsa_user_sgpr_queue_ptr 0
		.amdhsa_user_sgpr_kernarg_segment_ptr 1
		.amdhsa_user_sgpr_dispatch_id 0
		.amdhsa_user_sgpr_flat_scratch_init 0
		.amdhsa_user_sgpr_kernarg_preload_length 0
		.amdhsa_user_sgpr_kernarg_preload_offset 0
		.amdhsa_user_sgpr_private_segment_size 0
		.amdhsa_uses_dynamic_stack 0
		.amdhsa_system_sgpr_private_segment_wavefront_offset 0
		.amdhsa_system_sgpr_workgroup_id_x 1
		.amdhsa_system_sgpr_workgroup_id_y 0
		.amdhsa_system_sgpr_workgroup_id_z 0
		.amdhsa_system_sgpr_workgroup_info 0
		.amdhsa_system_vgpr_workitem_id 0
		.amdhsa_next_free_vgpr 50
		.amdhsa_next_free_sgpr 32
		.amdhsa_accum_offset 52
		.amdhsa_reserve_vcc 1
		.amdhsa_reserve_flat_scratch 0
		.amdhsa_float_round_mode_32 0
		.amdhsa_float_round_mode_16_64 0
		.amdhsa_float_denorm_mode_32 3
		.amdhsa_float_denorm_mode_16_64 3
		.amdhsa_dx10_clamp 1
		.amdhsa_ieee_mode 1
		.amdhsa_fp16_overflow 0
		.amdhsa_tg_split 0
		.amdhsa_exception_fp_ieee_invalid_op 0
		.amdhsa_exception_fp_denorm_src 0
		.amdhsa_exception_fp_ieee_div_zero 0
		.amdhsa_exception_fp_ieee_overflow 0
		.amdhsa_exception_fp_ieee_underflow 0
		.amdhsa_exception_fp_ieee_inexact 0
		.amdhsa_exception_int_div_zero 0
	.end_amdhsa_kernel
	.section	.text._ZN2at6native12_GLOBAL__N_125multi_tensor_apply_kernelINS1_28TensorListScalarListMetadataIfLi3EEENS1_28PointwiseOpScalarListFunctorIfLi3ELi3ELi0EEEJSt7dividesIfEEEEvT_T0_DpT1_,"axG",@progbits,_ZN2at6native12_GLOBAL__N_125multi_tensor_apply_kernelINS1_28TensorListScalarListMetadataIfLi3EEENS1_28PointwiseOpScalarListFunctorIfLi3ELi3ELi0EEEJSt7dividesIfEEEEvT_T0_DpT1_,comdat
.Lfunc_end127:
	.size	_ZN2at6native12_GLOBAL__N_125multi_tensor_apply_kernelINS1_28TensorListScalarListMetadataIfLi3EEENS1_28PointwiseOpScalarListFunctorIfLi3ELi3ELi0EEEJSt7dividesIfEEEEvT_T0_DpT1_, .Lfunc_end127-_ZN2at6native12_GLOBAL__N_125multi_tensor_apply_kernelINS1_28TensorListScalarListMetadataIfLi3EEENS1_28PointwiseOpScalarListFunctorIfLi3ELi3ELi0EEEJSt7dividesIfEEEEvT_T0_DpT1_
                                        ; -- End function
	.section	.AMDGPU.csdata,"",@progbits
; Kernel info:
; codeLenInByte = 2432
; NumSgprs: 36
; NumVgprs: 50
; NumAgprs: 0
; TotalNumVgprs: 50
; ScratchSize: 0
; MemoryBound: 0
; FloatMode: 240
; IeeeMode: 1
; LDSByteSize: 0 bytes/workgroup (compile time only)
; SGPRBlocks: 4
; VGPRBlocks: 6
; NumSGPRsForWavesPerEU: 36
; NumVGPRsForWavesPerEU: 50
; AccumOffset: 52
; Occupancy: 8
; WaveLimiterHint : 0
; COMPUTE_PGM_RSRC2:SCRATCH_EN: 0
; COMPUTE_PGM_RSRC2:USER_SGPR: 6
; COMPUTE_PGM_RSRC2:TRAP_HANDLER: 0
; COMPUTE_PGM_RSRC2:TGID_X_EN: 1
; COMPUTE_PGM_RSRC2:TGID_Y_EN: 0
; COMPUTE_PGM_RSRC2:TGID_Z_EN: 0
; COMPUTE_PGM_RSRC2:TIDIG_COMP_CNT: 0
; COMPUTE_PGM_RSRC3_GFX90A:ACCUM_OFFSET: 12
; COMPUTE_PGM_RSRC3_GFX90A:TG_SPLIT: 0
	.section	.text._ZN2at6native12_GLOBAL__N_125multi_tensor_apply_kernelINS1_28TensorListScalarListMetadataIN3c107complexIdEELi3EEENS1_28PointwiseOpScalarListFunctorIS6_Li3ELi3ELi0EEEJSt7dividesIS6_EEEEvT_T0_DpT1_,"axG",@progbits,_ZN2at6native12_GLOBAL__N_125multi_tensor_apply_kernelINS1_28TensorListScalarListMetadataIN3c107complexIdEELi3EEENS1_28PointwiseOpScalarListFunctorIS6_Li3ELi3ELi0EEEJSt7dividesIS6_EEEEvT_T0_DpT1_,comdat
	.globl	_ZN2at6native12_GLOBAL__N_125multi_tensor_apply_kernelINS1_28TensorListScalarListMetadataIN3c107complexIdEELi3EEENS1_28PointwiseOpScalarListFunctorIS6_Li3ELi3ELi0EEEJSt7dividesIS6_EEEEvT_T0_DpT1_ ; -- Begin function _ZN2at6native12_GLOBAL__N_125multi_tensor_apply_kernelINS1_28TensorListScalarListMetadataIN3c107complexIdEELi3EEENS1_28PointwiseOpScalarListFunctorIS6_Li3ELi3ELi0EEEJSt7dividesIS6_EEEEvT_T0_DpT1_
	.p2align	8
	.type	_ZN2at6native12_GLOBAL__N_125multi_tensor_apply_kernelINS1_28TensorListScalarListMetadataIN3c107complexIdEELi3EEENS1_28PointwiseOpScalarListFunctorIS6_Li3ELi3ELi0EEEJSt7dividesIS6_EEEEvT_T0_DpT1_,@function
_ZN2at6native12_GLOBAL__N_125multi_tensor_apply_kernelINS1_28TensorListScalarListMetadataIN3c107complexIdEELi3EEENS1_28PointwiseOpScalarListFunctorIS6_Li3ELi3ELi0EEEJSt7dividesIS6_EEEEvT_T0_DpT1_: ; @_ZN2at6native12_GLOBAL__N_125multi_tensor_apply_kernelINS1_28TensorListScalarListMetadataIN3c107complexIdEELi3EEENS1_28PointwiseOpScalarListFunctorIS6_Li3ELi3ELi0EEEJSt7dividesIS6_EEEEvT_T0_DpT1_
; %bb.0:
	v_mov_b32_e32 v1, s6
	global_load_ubyte v1, v1, s[4:5] offset:2304
	s_add_u32 s0, s4, s6
	s_mul_i32 s1, s6, 3
	s_addc_u32 s2, s5, 0
	s_mul_hi_u32 s3, s6, 3
	s_add_u32 s0, s0, s1
	s_addc_u32 s1, s2, s3
	s_load_dword s8, s[0:1], 0xa40
	s_mov_b32 s11, 0
	s_waitcnt lgkmcnt(0)
	s_ashr_i32 s9, s8, 31
	s_waitcnt vmcnt(0)
	v_readfirstlane_b32 s0, v1
	s_lshl_b32 s10, s0, 3
	s_add_u32 s12, s4, s10
	s_load_dwordx2 s[0:1], s[4:5], s10 offset:0x0
	s_load_dwordx2 s[2:3], s[4:5], s10 offset:0x180
	;; [unrolled: 1-line block ×4, first 2 shown]
	s_addc_u32 s13, s5, 0
	s_lshl_b64 s[22:23], s[8:9], 20
	s_waitcnt lgkmcnt(0)
	s_add_u32 s33, s0, s22
	s_addc_u32 s36, s1, s23
	s_add_u32 s37, s2, s22
	s_addc_u32 s38, s3, s23
	s_add_u32 s39, s6, s22
	s_load_dwordx4 s[16:19], s[12:13], s10 offset:0x600
	s_addc_u32 s40, s7, s23
	s_or_b32 s10, s39, s37
	s_and_b32 s24, s33, 63
	s_and_b32 s10, s10, 63
	s_cmp_eq_u32 s10, 0
	s_cselect_b64 s[12:13], -1, 0
	s_lshl_b64 s[8:9], s[8:9], 16
	s_sub_u32 s20, s14, s8
	s_subb_u32 s21, s15, s9
	s_and_b32 s8, s14, 3
	s_or_b32 s10, s24, s8
	s_cmp_eq_u64 s[10:11], 0
	s_cselect_b64 s[8:9], -1, 0
	s_and_b64 s[10:11], s[12:13], s[8:9]
	s_mov_b64 s[8:9], -1
	s_and_b64 vcc, exec, s[10:11]
	s_cbranch_vccnz .LBB128_109
; %bb.1:
	v_cmp_lt_i64_e64 s[8:9], s[20:21], 1
	s_and_b64 vcc, exec, s[8:9]
	s_cbranch_vccnz .LBB128_108
; %bb.2:
	s_load_dword s8, s[4:5], 0xf54
	v_mov_b32_e32 v2, 0x10000
	v_mov_b32_e32 v3, 0
	v_lshlrev_b32_e32 v4, 4, v0
	v_cmp_lt_u64_e32 vcc, s[20:21], v[2:3]
	s_waitcnt lgkmcnt(0)
	s_and_b32 s42, s8, 0xffff
	v_or_b32_e32 v2, 8, v4
	s_and_b64 s[8:9], vcc, exec
	v_mov_b32_e32 v5, s3
	v_add_co_u32_e32 v50, vcc, s2, v2
	v_addc_co_u32_e32 v51, vcc, 0, v5, vcc
	v_mov_b32_e32 v6, s1
	v_add_co_u32_e32 v52, vcc, s0, v2
	v_addc_co_u32_e32 v53, vcc, 0, v6, vcc
	v_add_lshl_u32 v7, v0, s42, 4
	v_mov_b32_e32 v8, s7
	v_add_co_u32_e32 v54, vcc, s6, v7
	v_addc_co_u32_e32 v55, vcc, 0, v8, vcc
	v_add_co_u32_e32 v56, vcc, s6, v2
	v_mov_b32_e32 v1, 0
	v_addc_co_u32_e32 v57, vcc, 0, v8, vcc
	v_cmp_neq_f64_e64 s[8:9], s[16:17], 1.0
	v_cmp_neq_f64_e64 s[10:11], s[18:19], 0
	v_mov_b32_e32 v3, v1
	v_add_co_u32_e32 v58, vcc, s0, v7
	s_cselect_b32 s25, s21, 0
	s_cselect_b32 s24, s20, 0x10000
	s_or_b64 s[26:27], s[8:9], s[10:11]
	v_addc_co_u32_e32 v59, vcc, 0, v6, vcc
	v_mad_u64_u32 v[2:3], s[8:9], s42, 48, v[2:3]
	v_add_co_u32_e32 v60, vcc, s2, v2
	v_addc_co_u32_e32 v61, vcc, v5, v3, vcc
	v_add_co_u32_e32 v62, vcc, s2, v7
	v_addc_co_u32_e32 v63, vcc, 0, v5, vcc
	;; [unrolled: 2-line block ×4, first 2 shown]
	s_lshl_b32 s1, s42, 5
	v_add_co_u32_e32 v2, vcc, s1, v4
	v_addc_co_u32_e64 v3, s[8:9], 0, 0, vcc
	v_add_co_u32_e32 v68, vcc, s6, v2
	v_addc_co_u32_e32 v69, vcc, v8, v3, vcc
	v_or_b32_e32 v2, 8, v2
	v_add_co_u32_e32 v70, vcc, s2, v2
	s_mov_b32 s41, 0
	v_addc_co_u32_e32 v71, vcc, v5, v3, vcc
	s_lshl_b32 s28, s42, 2
	s_mov_b32 s29, s41
	v_add_co_u32_e32 v72, vcc, s0, v2
	s_lshl_b32 s43, s42, 1
	s_mov_b32 s44, s41
	s_mul_i32 s45, s42, 3
	s_mov_b32 s46, s41
	s_lshl_b32 s47, s42, 6
	s_mov_b32 s48, s41
	v_addc_co_u32_e32 v73, vcc, v6, v3, vcc
	v_pk_mov_b32 v[74:75], v[0:1], v[0:1] op_sel:[0,1]
	s_mov_b64 s[30:31], s[28:29]
	s_branch .LBB128_4
.LBB128_3:                              ;   in Loop: Header=BB128_4 Depth=1
	s_or_b64 exec, exec, s[0:1]
	v_pk_mov_b32 v[2:3], s[20:21], s[20:21] op_sel:[0,1]
	v_cmp_ge_i64_e32 vcc, s[30:31], v[2:3]
	v_mov_b32_e32 v2, 0xffff
	v_mov_b32_e32 v3, 0
	v_cmp_gt_u64_e64 s[0:1], s[30:31], v[2:3]
	s_or_b64 s[0:1], vcc, s[0:1]
	v_mov_b32_e32 v1, s29
	v_add_co_u32_e32 v74, vcc, s28, v74
	v_addc_co_u32_e32 v75, vcc, v75, v1, vcc
	v_mov_b32_e32 v1, s48
	v_add_co_u32_e32 v50, vcc, s47, v50
	v_addc_co_u32_e32 v51, vcc, v51, v1, vcc
	v_add_co_u32_e32 v52, vcc, s47, v52
	v_addc_co_u32_e32 v53, vcc, v53, v1, vcc
	;; [unrolled: 2-line block ×11, first 2 shown]
	v_add_co_u32_e32 v72, vcc, s47, v72
	s_add_u32 s30, s30, s28
	v_addc_co_u32_e32 v73, vcc, v73, v1, vcc
	s_addc_u32 s31, s31, 0
	s_and_b64 vcc, exec, s[0:1]
	s_cbranch_vccnz .LBB128_108
.LBB128_4:                              ; =>This Inner Loop Header: Depth=1
	v_pk_mov_b32 v[48:49], 0, 0
	v_cmp_gt_u64_e64 s[0:1], s[24:25], v[74:75]
	v_pk_mov_b32 v[44:45], v[48:49], v[48:49] op_sel:[0,1]
	v_pk_mov_b32 v[42:43], v[48:49], v[48:49] op_sel:[0,1]
	;; [unrolled: 1-line block ×4, first 2 shown]
	s_and_saveexec_b64 s[2:3], s[0:1]
	s_cbranch_execz .LBB128_6
; %bb.5:                                ;   in Loop: Header=BB128_4 Depth=1
	v_mov_b32_e32 v1, s23
	v_add_co_u32_e32 v6, vcc, s22, v50
	v_addc_co_u32_e32 v7, vcc, v51, v1, vcc
	v_add_co_u32_e32 v8, vcc, s22, v52
	v_addc_co_u32_e32 v9, vcc, v53, v1, vcc
	global_load_dwordx4 v[2:5], v[8:9], off offset:-8
	global_load_dwordx4 v[42:45], v[6:7], off offset:-8
.LBB128_6:                              ;   in Loop: Header=BB128_4 Depth=1
	s_or_b64 exec, exec, s[2:3]
	v_pk_mov_b32 v[46:47], v[48:49], v[48:49] op_sel:[0,1]
	s_and_saveexec_b64 s[2:3], s[0:1]
	s_cbranch_execz .LBB128_8
; %bb.7:                                ;   in Loop: Header=BB128_4 Depth=1
	v_mov_b32_e32 v1, s23
	v_add_co_u32_e32 v6, vcc, s22, v56
	v_addc_co_u32_e32 v7, vcc, v57, v1, vcc
	global_load_dwordx4 v[46:49], v[6:7], off offset:-8
.LBB128_8:                              ;   in Loop: Header=BB128_4 Depth=1
	s_or_b64 exec, exec, s[2:3]
	v_mov_b32_e32 v1, s41
	v_add_co_u32_e32 v6, vcc, s42, v74
	v_addc_co_u32_e32 v7, vcc, v1, v75, vcc
	v_pk_mov_b32 v[40:41], 0, 0
	v_cmp_gt_u64_e64 s[2:3], s[24:25], v[6:7]
	v_pk_mov_b32 v[36:37], v[40:41], v[40:41] op_sel:[0,1]
	v_pk_mov_b32 v[34:35], v[40:41], v[40:41] op_sel:[0,1]
	;; [unrolled: 1-line block ×4, first 2 shown]
	s_and_saveexec_b64 s[6:7], s[2:3]
	s_cbranch_execz .LBB128_10
; %bb.9:                                ;   in Loop: Header=BB128_4 Depth=1
	v_mov_b32_e32 v1, s23
	v_add_co_u32_e32 v10, vcc, s22, v62
	v_addc_co_u32_e32 v11, vcc, v63, v1, vcc
	v_add_co_u32_e32 v12, vcc, s22, v58
	v_addc_co_u32_e32 v13, vcc, v59, v1, vcc
	global_load_dwordx4 v[6:9], v[12:13], off
	global_load_dwordx4 v[34:37], v[10:11], off
.LBB128_10:                             ;   in Loop: Header=BB128_4 Depth=1
	s_or_b64 exec, exec, s[6:7]
	v_pk_mov_b32 v[38:39], v[40:41], v[40:41] op_sel:[0,1]
	s_and_saveexec_b64 s[6:7], s[2:3]
	s_cbranch_execz .LBB128_12
; %bb.11:                               ;   in Loop: Header=BB128_4 Depth=1
	v_mov_b32_e32 v1, s23
	v_add_co_u32_e32 v10, vcc, s22, v54
	v_addc_co_u32_e32 v11, vcc, v55, v1, vcc
	global_load_dwordx4 v[38:41], v[10:11], off
.LBB128_12:                             ;   in Loop: Header=BB128_4 Depth=1
	s_or_b64 exec, exec, s[6:7]
	v_mov_b32_e32 v1, s44
	v_add_co_u32_e32 v10, vcc, s43, v74
	v_addc_co_u32_e32 v11, vcc, v1, v75, vcc
	v_pk_mov_b32 v[32:33], 0, 0
	v_cmp_gt_u64_e64 s[6:7], s[24:25], v[10:11]
	v_pk_mov_b32 v[28:29], v[32:33], v[32:33] op_sel:[0,1]
	v_pk_mov_b32 v[26:27], v[32:33], v[32:33] op_sel:[0,1]
	v_pk_mov_b32 v[12:13], v[32:33], v[32:33] op_sel:[0,1]
	v_pk_mov_b32 v[10:11], v[32:33], v[32:33] op_sel:[0,1]
	s_and_saveexec_b64 s[8:9], s[6:7]
	s_cbranch_execz .LBB128_14
; %bb.13:                               ;   in Loop: Header=BB128_4 Depth=1
	v_mov_b32_e32 v1, s23
	v_add_co_u32_e32 v14, vcc, s22, v70
	v_addc_co_u32_e32 v15, vcc, v71, v1, vcc
	v_add_co_u32_e32 v16, vcc, s22, v72
	v_addc_co_u32_e32 v17, vcc, v73, v1, vcc
	global_load_dwordx4 v[10:13], v[16:17], off offset:-8
	global_load_dwordx4 v[26:29], v[14:15], off offset:-8
.LBB128_14:                             ;   in Loop: Header=BB128_4 Depth=1
	s_or_b64 exec, exec, s[8:9]
	v_pk_mov_b32 v[30:31], v[32:33], v[32:33] op_sel:[0,1]
	s_and_saveexec_b64 s[8:9], s[6:7]
	s_cbranch_execz .LBB128_16
; %bb.15:                               ;   in Loop: Header=BB128_4 Depth=1
	v_mov_b32_e32 v1, s23
	v_add_co_u32_e32 v14, vcc, s22, v68
	v_addc_co_u32_e32 v15, vcc, v69, v1, vcc
	global_load_dwordx4 v[30:33], v[14:15], off
.LBB128_16:                             ;   in Loop: Header=BB128_4 Depth=1
	s_or_b64 exec, exec, s[8:9]
	v_mov_b32_e32 v1, s46
	v_add_co_u32_e32 v14, vcc, s45, v74
	v_addc_co_u32_e32 v15, vcc, v1, v75, vcc
	v_pk_mov_b32 v[24:25], 0, 0
	v_cmp_gt_u64_e64 s[8:9], s[24:25], v[14:15]
	v_pk_mov_b32 v[20:21], v[24:25], v[24:25] op_sel:[0,1]
	v_pk_mov_b32 v[18:19], v[24:25], v[24:25] op_sel:[0,1]
	;; [unrolled: 1-line block ×4, first 2 shown]
	s_and_saveexec_b64 s[10:11], s[8:9]
	s_cbranch_execz .LBB128_18
; %bb.17:                               ;   in Loop: Header=BB128_4 Depth=1
	v_mov_b32_e32 v1, s23
	v_add_co_u32_e32 v22, vcc, s22, v60
	v_addc_co_u32_e32 v23, vcc, v61, v1, vcc
	v_add_co_u32_e32 v76, vcc, s22, v64
	v_addc_co_u32_e32 v77, vcc, v65, v1, vcc
	global_load_dwordx4 v[14:17], v[76:77], off offset:-8
	global_load_dwordx4 v[18:21], v[22:23], off offset:-8
.LBB128_18:                             ;   in Loop: Header=BB128_4 Depth=1
	s_or_b64 exec, exec, s[10:11]
	v_pk_mov_b32 v[22:23], v[24:25], v[24:25] op_sel:[0,1]
	s_and_saveexec_b64 s[10:11], s[8:9]
	s_cbranch_execz .LBB128_20
; %bb.19:                               ;   in Loop: Header=BB128_4 Depth=1
	v_mov_b32_e32 v1, s23
	v_add_co_u32_e32 v22, vcc, s22, v66
	v_addc_co_u32_e32 v23, vcc, v67, v1, vcc
	global_load_dwordx4 v[22:25], v[22:23], off offset:-8
.LBB128_20:                             ;   in Loop: Header=BB128_4 Depth=1
	s_or_b64 exec, exec, s[10:11]
	s_waitcnt vmcnt(0)
	v_xor_b32_e32 v1, 0x80000000, v47
	v_cmp_gt_f64_e32 vcc, 0, v[46:47]
	v_cndmask_b32_e32 v83, v47, v1, vcc
	v_cndmask_b32_e32 v82, v46, v46, vcc
	v_xor_b32_e32 v1, 0x80000000, v49
	v_cmp_gt_f64_e32 vcc, 0, v[48:49]
	v_cndmask_b32_e32 v81, v49, v1, vcc
	v_cndmask_b32_e32 v80, v48, v48, vcc
	v_cmp_ge_f64_e64 s[10:11], v[82:83], v[80:81]
	s_and_b64 vcc, exec, s[26:27]
	s_cbranch_vccz .LBB128_30
; %bb.21:                               ;   in Loop: Header=BB128_4 Depth=1
                                        ; implicit-def: $vgpr78_vgpr79
                                        ; implicit-def: $vgpr84_vgpr85
	s_and_saveexec_b64 s[12:13], s[10:11]
	s_xor_b64 s[14:15], exec, s[12:13]
	s_cbranch_execz .LBB128_27
; %bb.22:                               ;   in Loop: Header=BB128_4 Depth=1
	v_cmp_neq_f64_e32 vcc, 0, v[46:47]
	v_cmp_neq_f64_e64 s[12:13], 0, v[48:49]
	s_or_b64 s[12:13], s[12:13], vcc
                                        ; implicit-def: $vgpr78_vgpr79
                                        ; implicit-def: $vgpr84_vgpr85
	s_and_saveexec_b64 s[34:35], s[12:13]
	s_xor_b64 s[12:13], exec, s[34:35]
	s_cbranch_execz .LBB128_24
; %bb.23:                               ;   in Loop: Header=BB128_4 Depth=1
	v_div_scale_f64 v[76:77], s[34:35], v[46:47], v[46:47], v[48:49]
	v_rcp_f64_e32 v[78:79], v[76:77]
	v_div_scale_f64 v[84:85], vcc, v[48:49], v[46:47], v[48:49]
	v_fma_f64 v[86:87], -v[76:77], v[78:79], 1.0
	v_fmac_f64_e32 v[78:79], v[78:79], v[86:87]
	v_fma_f64 v[86:87], -v[76:77], v[78:79], 1.0
	v_fmac_f64_e32 v[78:79], v[78:79], v[86:87]
	v_mul_f64 v[86:87], v[84:85], v[78:79]
	v_fma_f64 v[76:77], -v[76:77], v[86:87], v[84:85]
	v_div_fmas_f64 v[76:77], v[76:77], v[78:79], v[86:87]
	v_div_fixup_f64 v[76:77], v[76:77], v[46:47], v[48:49]
	v_fma_f64 v[78:79], v[48:49], v[76:77], v[46:47]
	v_div_scale_f64 v[84:85], s[34:35], v[78:79], v[78:79], 1.0
	v_rcp_f64_e32 v[86:87], v[84:85]
	v_fma_f64 v[88:89], -v[84:85], v[86:87], 1.0
	v_fmac_f64_e32 v[86:87], v[86:87], v[88:89]
	v_fma_f64 v[88:89], -v[84:85], v[86:87], 1.0
	v_fmac_f64_e32 v[86:87], v[86:87], v[88:89]
	v_div_scale_f64 v[88:89], vcc, 1.0, v[78:79], 1.0
	v_mul_f64 v[90:91], v[88:89], v[86:87]
	v_fma_f64 v[84:85], -v[84:85], v[90:91], v[88:89]
	s_nop 1
	v_div_fmas_f64 v[84:85], v[84:85], v[86:87], v[90:91]
	v_div_fixup_f64 v[78:79], v[84:85], v[78:79], 1.0
	v_fma_f64 v[84:85], v[44:45], v[76:77], v[42:43]
	v_fma_f64 v[76:77], -v[42:43], v[76:77], v[44:45]
	v_mul_f64 v[84:85], v[84:85], v[78:79]
	v_mul_f64 v[78:79], v[76:77], v[78:79]
.LBB128_24:                             ;   in Loop: Header=BB128_4 Depth=1
	s_andn2_saveexec_b64 s[12:13], s[12:13]
	s_cbranch_execz .LBB128_26
; %bb.25:                               ;   in Loop: Header=BB128_4 Depth=1
	v_div_scale_f64 v[76:77], s[34:35], v[82:83], v[82:83], v[42:43]
	v_rcp_f64_e32 v[78:79], v[76:77]
	v_div_scale_f64 v[88:89], s[34:35], v[80:81], v[80:81], v[44:45]
	v_div_scale_f64 v[84:85], vcc, v[42:43], v[82:83], v[42:43]
	v_fma_f64 v[86:87], -v[76:77], v[78:79], 1.0
	v_fmac_f64_e32 v[78:79], v[78:79], v[86:87]
	v_fma_f64 v[86:87], -v[76:77], v[78:79], 1.0
	v_fmac_f64_e32 v[78:79], v[78:79], v[86:87]
	v_rcp_f64_e32 v[90:91], v[88:89]
	v_mul_f64 v[86:87], v[84:85], v[78:79]
	v_fma_f64 v[76:77], -v[76:77], v[86:87], v[84:85]
	v_div_fmas_f64 v[76:77], v[76:77], v[78:79], v[86:87]
	v_div_fixup_f64 v[84:85], v[76:77], v[82:83], v[42:43]
	v_fma_f64 v[76:77], -v[88:89], v[90:91], 1.0
	v_fmac_f64_e32 v[90:91], v[90:91], v[76:77]
	v_fma_f64 v[76:77], -v[88:89], v[90:91], 1.0
	v_fmac_f64_e32 v[90:91], v[90:91], v[76:77]
	v_div_scale_f64 v[76:77], vcc, v[44:45], v[80:81], v[44:45]
	v_mul_f64 v[78:79], v[76:77], v[90:91]
	v_fma_f64 v[76:77], -v[88:89], v[78:79], v[76:77]
	s_nop 1
	v_div_fmas_f64 v[76:77], v[76:77], v[90:91], v[78:79]
	v_div_fixup_f64 v[78:79], v[76:77], v[80:81], v[44:45]
.LBB128_26:                             ;   in Loop: Header=BB128_4 Depth=1
	s_or_b64 exec, exec, s[12:13]
.LBB128_27:                             ;   in Loop: Header=BB128_4 Depth=1
	s_andn2_saveexec_b64 s[12:13], s[14:15]
	s_cbranch_execz .LBB128_29
; %bb.28:                               ;   in Loop: Header=BB128_4 Depth=1
	v_div_scale_f64 v[76:77], s[14:15], v[48:49], v[48:49], v[46:47]
	v_rcp_f64_e32 v[78:79], v[76:77]
	v_div_scale_f64 v[84:85], vcc, v[46:47], v[48:49], v[46:47]
	v_fma_f64 v[86:87], -v[76:77], v[78:79], 1.0
	v_fmac_f64_e32 v[78:79], v[78:79], v[86:87]
	v_fma_f64 v[86:87], -v[76:77], v[78:79], 1.0
	v_fmac_f64_e32 v[78:79], v[78:79], v[86:87]
	v_mul_f64 v[86:87], v[84:85], v[78:79]
	v_fma_f64 v[76:77], -v[76:77], v[86:87], v[84:85]
	v_div_fmas_f64 v[76:77], v[76:77], v[78:79], v[86:87]
	v_div_fixup_f64 v[76:77], v[76:77], v[48:49], v[46:47]
	v_fma_f64 v[78:79], v[46:47], v[76:77], v[48:49]
	v_div_scale_f64 v[84:85], s[14:15], v[78:79], v[78:79], 1.0
	v_rcp_f64_e32 v[86:87], v[84:85]
	v_fma_f64 v[88:89], -v[84:85], v[86:87], 1.0
	v_fmac_f64_e32 v[86:87], v[86:87], v[88:89]
	v_fma_f64 v[88:89], -v[84:85], v[86:87], 1.0
	v_fmac_f64_e32 v[86:87], v[86:87], v[88:89]
	v_div_scale_f64 v[88:89], vcc, 1.0, v[78:79], 1.0
	v_mul_f64 v[90:91], v[88:89], v[86:87]
	v_fma_f64 v[84:85], -v[84:85], v[90:91], v[88:89]
	s_nop 1
	v_div_fmas_f64 v[84:85], v[84:85], v[86:87], v[90:91]
	v_div_fixup_f64 v[78:79], v[84:85], v[78:79], 1.0
	v_fma_f64 v[84:85], v[42:43], v[76:77], v[44:45]
	v_fma_f64 v[76:77], v[44:45], v[76:77], -v[42:43]
	v_mul_f64 v[84:85], v[84:85], v[78:79]
	v_mul_f64 v[78:79], v[76:77], v[78:79]
.LBB128_29:                             ;   in Loop: Header=BB128_4 Depth=1
	s_or_b64 exec, exec, s[12:13]
	v_mul_f64 v[76:77], s[18:19], v[78:79]
	v_mul_f64 v[78:79], s[16:17], v[78:79]
	v_fma_f64 v[76:77], s[16:17], v[84:85], -v[76:77]
	v_fmac_f64_e32 v[78:79], s[18:19], v[84:85]
	s_branch .LBB128_40
.LBB128_30:                             ;   in Loop: Header=BB128_4 Depth=1
                                        ; implicit-def: $vgpr78_vgpr79
                                        ; implicit-def: $vgpr76_vgpr77
	s_cbranch_execz .LBB128_40
; %bb.31:                               ;   in Loop: Header=BB128_4 Depth=1
                                        ; implicit-def: $vgpr78_vgpr79
                                        ; implicit-def: $vgpr76_vgpr77
	s_and_saveexec_b64 s[12:13], s[10:11]
	s_xor_b64 s[12:13], exec, s[12:13]
	s_cbranch_execz .LBB128_37
; %bb.32:                               ;   in Loop: Header=BB128_4 Depth=1
	v_cmp_neq_f64_e32 vcc, 0, v[46:47]
	v_cmp_neq_f64_e64 s[10:11], 0, v[48:49]
	s_or_b64 s[10:11], s[10:11], vcc
                                        ; implicit-def: $vgpr78_vgpr79
                                        ; implicit-def: $vgpr76_vgpr77
	s_and_saveexec_b64 s[14:15], s[10:11]
	s_xor_b64 s[10:11], exec, s[14:15]
	s_cbranch_execz .LBB128_34
; %bb.33:                               ;   in Loop: Header=BB128_4 Depth=1
	v_div_scale_f64 v[76:77], s[14:15], v[46:47], v[46:47], v[48:49]
	v_rcp_f64_e32 v[78:79], v[76:77]
	v_div_scale_f64 v[80:81], vcc, v[48:49], v[46:47], v[48:49]
	v_fma_f64 v[82:83], -v[76:77], v[78:79], 1.0
	v_fmac_f64_e32 v[78:79], v[78:79], v[82:83]
	v_fma_f64 v[82:83], -v[76:77], v[78:79], 1.0
	v_fmac_f64_e32 v[78:79], v[78:79], v[82:83]
	v_mul_f64 v[82:83], v[80:81], v[78:79]
	v_fma_f64 v[76:77], -v[76:77], v[82:83], v[80:81]
	v_div_fmas_f64 v[76:77], v[76:77], v[78:79], v[82:83]
	v_div_fixup_f64 v[78:79], v[76:77], v[46:47], v[48:49]
	v_fmac_f64_e32 v[46:47], v[48:49], v[78:79]
	v_div_scale_f64 v[48:49], s[14:15], v[46:47], v[46:47], 1.0
	v_rcp_f64_e32 v[76:77], v[48:49]
	v_fma_f64 v[80:81], -v[48:49], v[76:77], 1.0
	v_fmac_f64_e32 v[76:77], v[76:77], v[80:81]
	v_fma_f64 v[80:81], -v[48:49], v[76:77], 1.0
	v_fmac_f64_e32 v[76:77], v[76:77], v[80:81]
	v_div_scale_f64 v[80:81], vcc, 1.0, v[46:47], 1.0
	v_mul_f64 v[82:83], v[80:81], v[76:77]
	v_fma_f64 v[48:49], -v[48:49], v[82:83], v[80:81]
                                        ; implicit-def: $vgpr80_vgpr81
	s_nop 1
	v_div_fmas_f64 v[48:49], v[48:49], v[76:77], v[82:83]
	v_div_fixup_f64 v[46:47], v[48:49], v[46:47], 1.0
	v_fma_f64 v[48:49], v[44:45], v[78:79], v[42:43]
	v_fma_f64 v[42:43], -v[42:43], v[78:79], v[44:45]
	v_mul_f64 v[76:77], v[48:49], v[46:47]
	v_mul_f64 v[78:79], v[42:43], v[46:47]
                                        ; implicit-def: $vgpr82_vgpr83
                                        ; implicit-def: $vgpr42_vgpr43
.LBB128_34:                             ;   in Loop: Header=BB128_4 Depth=1
	s_andn2_saveexec_b64 s[10:11], s[10:11]
	s_cbranch_execz .LBB128_36
; %bb.35:                               ;   in Loop: Header=BB128_4 Depth=1
	v_div_scale_f64 v[46:47], s[14:15], v[82:83], v[82:83], v[42:43]
	v_rcp_f64_e32 v[48:49], v[46:47]
	v_div_scale_f64 v[84:85], s[14:15], v[80:81], v[80:81], v[44:45]
	v_div_scale_f64 v[76:77], vcc, v[42:43], v[82:83], v[42:43]
	v_fma_f64 v[78:79], -v[46:47], v[48:49], 1.0
	v_fmac_f64_e32 v[48:49], v[48:49], v[78:79]
	v_fma_f64 v[78:79], -v[46:47], v[48:49], 1.0
	v_fmac_f64_e32 v[48:49], v[48:49], v[78:79]
	v_rcp_f64_e32 v[86:87], v[84:85]
	v_mul_f64 v[78:79], v[76:77], v[48:49]
	v_fma_f64 v[46:47], -v[46:47], v[78:79], v[76:77]
	v_div_fmas_f64 v[46:47], v[46:47], v[48:49], v[78:79]
	v_div_fixup_f64 v[76:77], v[46:47], v[82:83], v[42:43]
	v_fma_f64 v[42:43], -v[84:85], v[86:87], 1.0
	v_fmac_f64_e32 v[86:87], v[86:87], v[42:43]
	v_fma_f64 v[42:43], -v[84:85], v[86:87], 1.0
	v_fmac_f64_e32 v[86:87], v[86:87], v[42:43]
	v_div_scale_f64 v[42:43], vcc, v[44:45], v[80:81], v[44:45]
	v_mul_f64 v[46:47], v[42:43], v[86:87]
	v_fma_f64 v[42:43], -v[84:85], v[46:47], v[42:43]
	s_nop 1
	v_div_fmas_f64 v[42:43], v[42:43], v[86:87], v[46:47]
	v_div_fixup_f64 v[78:79], v[42:43], v[80:81], v[44:45]
.LBB128_36:                             ;   in Loop: Header=BB128_4 Depth=1
	s_or_b64 exec, exec, s[10:11]
                                        ; implicit-def: $vgpr48_vgpr49
                                        ; implicit-def: $vgpr42_vgpr43
.LBB128_37:                             ;   in Loop: Header=BB128_4 Depth=1
	s_andn2_saveexec_b64 s[10:11], s[12:13]
	s_cbranch_execz .LBB128_39
; %bb.38:                               ;   in Loop: Header=BB128_4 Depth=1
	v_div_scale_f64 v[76:77], s[12:13], v[48:49], v[48:49], v[46:47]
	v_rcp_f64_e32 v[78:79], v[76:77]
	v_div_scale_f64 v[80:81], vcc, v[46:47], v[48:49], v[46:47]
	v_fma_f64 v[82:83], -v[76:77], v[78:79], 1.0
	v_fmac_f64_e32 v[78:79], v[78:79], v[82:83]
	v_fma_f64 v[82:83], -v[76:77], v[78:79], 1.0
	v_fmac_f64_e32 v[78:79], v[78:79], v[82:83]
	v_mul_f64 v[82:83], v[80:81], v[78:79]
	v_fma_f64 v[76:77], -v[76:77], v[82:83], v[80:81]
	v_div_fmas_f64 v[76:77], v[76:77], v[78:79], v[82:83]
	v_div_fixup_f64 v[78:79], v[76:77], v[48:49], v[46:47]
	v_fmac_f64_e32 v[48:49], v[46:47], v[78:79]
	v_div_scale_f64 v[46:47], s[12:13], v[48:49], v[48:49], 1.0
	v_rcp_f64_e32 v[76:77], v[46:47]
	v_fma_f64 v[80:81], -v[46:47], v[76:77], 1.0
	v_fmac_f64_e32 v[76:77], v[76:77], v[80:81]
	v_fma_f64 v[80:81], -v[46:47], v[76:77], 1.0
	v_fmac_f64_e32 v[76:77], v[76:77], v[80:81]
	v_div_scale_f64 v[80:81], vcc, 1.0, v[48:49], 1.0
	v_mul_f64 v[82:83], v[80:81], v[76:77]
	v_fma_f64 v[46:47], -v[46:47], v[82:83], v[80:81]
	s_nop 1
	v_div_fmas_f64 v[46:47], v[46:47], v[76:77], v[82:83]
	v_div_fixup_f64 v[46:47], v[46:47], v[48:49], 1.0
	v_fma_f64 v[48:49], v[42:43], v[78:79], v[44:45]
	v_fma_f64 v[42:43], v[44:45], v[78:79], -v[42:43]
	v_mul_f64 v[76:77], v[48:49], v[46:47]
	v_mul_f64 v[78:79], v[42:43], v[46:47]
.LBB128_39:                             ;   in Loop: Header=BB128_4 Depth=1
	s_or_b64 exec, exec, s[10:11]
.LBB128_40:                             ;   in Loop: Header=BB128_4 Depth=1
	v_xor_b32_e32 v1, 0x80000000, v39
	v_cmp_gt_f64_e32 vcc, 0, v[38:39]
	v_cndmask_b32_e32 v49, v39, v1, vcc
	v_cndmask_b32_e32 v48, v38, v38, vcc
	v_xor_b32_e32 v1, 0x80000000, v41
	v_cmp_gt_f64_e32 vcc, 0, v[40:41]
	v_cndmask_b32_e32 v47, v41, v1, vcc
	v_cndmask_b32_e32 v46, v40, v40, vcc
	v_cndmask_b32_e64 v1, 0, 1, s[26:27]
	v_cmp_ne_u32_e64 s[10:11], 1, v1
	s_andn2_b64 vcc, exec, s[26:27]
	v_cmp_ge_f64_e64 s[12:13], v[48:49], v[46:47]
	s_cbranch_vccnz .LBB128_50
; %bb.41:                               ;   in Loop: Header=BB128_4 Depth=1
                                        ; implicit-def: $vgpr44_vgpr45
                                        ; implicit-def: $vgpr80_vgpr81
	s_and_saveexec_b64 s[14:15], s[12:13]
	s_xor_b64 s[34:35], exec, s[14:15]
	s_cbranch_execz .LBB128_47
; %bb.42:                               ;   in Loop: Header=BB128_4 Depth=1
	v_cmp_neq_f64_e32 vcc, 0, v[38:39]
	v_cmp_neq_f64_e64 s[14:15], 0, v[40:41]
	s_or_b64 s[14:15], s[14:15], vcc
                                        ; implicit-def: $vgpr44_vgpr45
                                        ; implicit-def: $vgpr80_vgpr81
	s_and_saveexec_b64 s[50:51], s[14:15]
	s_xor_b64 s[14:15], exec, s[50:51]
	s_cbranch_execz .LBB128_44
; %bb.43:                               ;   in Loop: Header=BB128_4 Depth=1
	v_div_scale_f64 v[42:43], s[50:51], v[38:39], v[38:39], v[40:41]
	v_rcp_f64_e32 v[44:45], v[42:43]
	v_div_scale_f64 v[80:81], vcc, v[40:41], v[38:39], v[40:41]
	v_fma_f64 v[82:83], -v[42:43], v[44:45], 1.0
	v_fmac_f64_e32 v[44:45], v[44:45], v[82:83]
	v_fma_f64 v[82:83], -v[42:43], v[44:45], 1.0
	v_fmac_f64_e32 v[44:45], v[44:45], v[82:83]
	v_mul_f64 v[82:83], v[80:81], v[44:45]
	v_fma_f64 v[42:43], -v[42:43], v[82:83], v[80:81]
	v_div_fmas_f64 v[42:43], v[42:43], v[44:45], v[82:83]
	v_div_fixup_f64 v[42:43], v[42:43], v[38:39], v[40:41]
	v_fma_f64 v[44:45], v[40:41], v[42:43], v[38:39]
	v_div_scale_f64 v[80:81], s[50:51], v[44:45], v[44:45], 1.0
	v_rcp_f64_e32 v[82:83], v[80:81]
	v_fma_f64 v[84:85], -v[80:81], v[82:83], 1.0
	v_fmac_f64_e32 v[82:83], v[82:83], v[84:85]
	v_fma_f64 v[84:85], -v[80:81], v[82:83], 1.0
	v_fmac_f64_e32 v[82:83], v[82:83], v[84:85]
	v_div_scale_f64 v[84:85], vcc, 1.0, v[44:45], 1.0
	v_mul_f64 v[86:87], v[84:85], v[82:83]
	v_fma_f64 v[80:81], -v[80:81], v[86:87], v[84:85]
	s_nop 1
	v_div_fmas_f64 v[80:81], v[80:81], v[82:83], v[86:87]
	v_div_fixup_f64 v[44:45], v[80:81], v[44:45], 1.0
	v_fma_f64 v[80:81], v[36:37], v[42:43], v[34:35]
	v_fma_f64 v[42:43], -v[34:35], v[42:43], v[36:37]
	v_mul_f64 v[80:81], v[80:81], v[44:45]
	v_mul_f64 v[44:45], v[42:43], v[44:45]
.LBB128_44:                             ;   in Loop: Header=BB128_4 Depth=1
	s_andn2_saveexec_b64 s[14:15], s[14:15]
	s_cbranch_execz .LBB128_46
; %bb.45:                               ;   in Loop: Header=BB128_4 Depth=1
	v_div_scale_f64 v[42:43], s[50:51], v[48:49], v[48:49], v[34:35]
	v_rcp_f64_e32 v[44:45], v[42:43]
	v_div_scale_f64 v[84:85], s[50:51], v[46:47], v[46:47], v[36:37]
	v_div_scale_f64 v[80:81], vcc, v[34:35], v[48:49], v[34:35]
	v_fma_f64 v[82:83], -v[42:43], v[44:45], 1.0
	v_fmac_f64_e32 v[44:45], v[44:45], v[82:83]
	v_fma_f64 v[82:83], -v[42:43], v[44:45], 1.0
	v_fmac_f64_e32 v[44:45], v[44:45], v[82:83]
	v_rcp_f64_e32 v[86:87], v[84:85]
	v_mul_f64 v[82:83], v[80:81], v[44:45]
	v_fma_f64 v[42:43], -v[42:43], v[82:83], v[80:81]
	v_div_fmas_f64 v[42:43], v[42:43], v[44:45], v[82:83]
	v_div_fixup_f64 v[80:81], v[42:43], v[48:49], v[34:35]
	v_fma_f64 v[42:43], -v[84:85], v[86:87], 1.0
	v_fmac_f64_e32 v[86:87], v[86:87], v[42:43]
	v_fma_f64 v[42:43], -v[84:85], v[86:87], 1.0
	v_fmac_f64_e32 v[86:87], v[86:87], v[42:43]
	v_div_scale_f64 v[42:43], vcc, v[36:37], v[46:47], v[36:37]
	v_mul_f64 v[44:45], v[42:43], v[86:87]
	v_fma_f64 v[42:43], -v[84:85], v[44:45], v[42:43]
	s_nop 1
	v_div_fmas_f64 v[42:43], v[42:43], v[86:87], v[44:45]
	v_div_fixup_f64 v[44:45], v[42:43], v[46:47], v[36:37]
.LBB128_46:                             ;   in Loop: Header=BB128_4 Depth=1
	s_or_b64 exec, exec, s[14:15]
.LBB128_47:                             ;   in Loop: Header=BB128_4 Depth=1
	s_andn2_saveexec_b64 s[14:15], s[34:35]
	s_cbranch_execz .LBB128_49
; %bb.48:                               ;   in Loop: Header=BB128_4 Depth=1
	v_div_scale_f64 v[42:43], s[34:35], v[40:41], v[40:41], v[38:39]
	v_rcp_f64_e32 v[44:45], v[42:43]
	v_div_scale_f64 v[80:81], vcc, v[38:39], v[40:41], v[38:39]
	v_fma_f64 v[82:83], -v[42:43], v[44:45], 1.0
	v_fmac_f64_e32 v[44:45], v[44:45], v[82:83]
	v_fma_f64 v[82:83], -v[42:43], v[44:45], 1.0
	v_fmac_f64_e32 v[44:45], v[44:45], v[82:83]
	v_mul_f64 v[82:83], v[80:81], v[44:45]
	v_fma_f64 v[42:43], -v[42:43], v[82:83], v[80:81]
	v_div_fmas_f64 v[42:43], v[42:43], v[44:45], v[82:83]
	v_div_fixup_f64 v[42:43], v[42:43], v[40:41], v[38:39]
	v_fma_f64 v[44:45], v[38:39], v[42:43], v[40:41]
	v_div_scale_f64 v[80:81], s[34:35], v[44:45], v[44:45], 1.0
	v_rcp_f64_e32 v[82:83], v[80:81]
	v_fma_f64 v[84:85], -v[80:81], v[82:83], 1.0
	v_fmac_f64_e32 v[82:83], v[82:83], v[84:85]
	v_fma_f64 v[84:85], -v[80:81], v[82:83], 1.0
	v_fmac_f64_e32 v[82:83], v[82:83], v[84:85]
	v_div_scale_f64 v[84:85], vcc, 1.0, v[44:45], 1.0
	v_mul_f64 v[86:87], v[84:85], v[82:83]
	v_fma_f64 v[80:81], -v[80:81], v[86:87], v[84:85]
	s_nop 1
	v_div_fmas_f64 v[80:81], v[80:81], v[82:83], v[86:87]
	v_div_fixup_f64 v[44:45], v[80:81], v[44:45], 1.0
	v_fma_f64 v[80:81], v[34:35], v[42:43], v[36:37]
	v_fma_f64 v[42:43], v[36:37], v[42:43], -v[34:35]
	v_mul_f64 v[80:81], v[80:81], v[44:45]
	v_mul_f64 v[44:45], v[42:43], v[44:45]
.LBB128_49:                             ;   in Loop: Header=BB128_4 Depth=1
	s_or_b64 exec, exec, s[14:15]
	v_mul_f64 v[42:43], s[18:19], v[44:45]
	v_mul_f64 v[44:45], s[16:17], v[44:45]
	v_fma_f64 v[42:43], s[16:17], v[80:81], -v[42:43]
	v_fmac_f64_e32 v[44:45], s[18:19], v[80:81]
	s_branch .LBB128_60
.LBB128_50:                             ;   in Loop: Header=BB128_4 Depth=1
                                        ; implicit-def: $vgpr44_vgpr45
                                        ; implicit-def: $vgpr42_vgpr43
	s_cbranch_execz .LBB128_60
; %bb.51:                               ;   in Loop: Header=BB128_4 Depth=1
                                        ; implicit-def: $vgpr44_vgpr45
                                        ; implicit-def: $vgpr42_vgpr43
	s_and_saveexec_b64 s[14:15], s[12:13]
	s_xor_b64 s[14:15], exec, s[14:15]
	s_cbranch_execz .LBB128_57
; %bb.52:                               ;   in Loop: Header=BB128_4 Depth=1
	v_cmp_neq_f64_e32 vcc, 0, v[38:39]
	v_cmp_neq_f64_e64 s[12:13], 0, v[40:41]
	s_or_b64 s[12:13], s[12:13], vcc
                                        ; implicit-def: $vgpr44_vgpr45
                                        ; implicit-def: $vgpr42_vgpr43
	s_and_saveexec_b64 s[34:35], s[12:13]
	s_xor_b64 s[12:13], exec, s[34:35]
	s_cbranch_execz .LBB128_54
; %bb.53:                               ;   in Loop: Header=BB128_4 Depth=1
	v_div_scale_f64 v[42:43], s[34:35], v[38:39], v[38:39], v[40:41]
	v_rcp_f64_e32 v[44:45], v[42:43]
	v_div_scale_f64 v[46:47], vcc, v[40:41], v[38:39], v[40:41]
	v_fma_f64 v[48:49], -v[42:43], v[44:45], 1.0
	v_fmac_f64_e32 v[44:45], v[44:45], v[48:49]
	v_fma_f64 v[48:49], -v[42:43], v[44:45], 1.0
	v_fmac_f64_e32 v[44:45], v[44:45], v[48:49]
	v_mul_f64 v[48:49], v[46:47], v[44:45]
	v_fma_f64 v[42:43], -v[42:43], v[48:49], v[46:47]
	v_div_fmas_f64 v[42:43], v[42:43], v[44:45], v[48:49]
	v_div_fixup_f64 v[44:45], v[42:43], v[38:39], v[40:41]
	v_fmac_f64_e32 v[38:39], v[40:41], v[44:45]
	v_div_scale_f64 v[40:41], s[34:35], v[38:39], v[38:39], 1.0
	v_rcp_f64_e32 v[42:43], v[40:41]
	v_fma_f64 v[46:47], -v[40:41], v[42:43], 1.0
	v_fmac_f64_e32 v[42:43], v[42:43], v[46:47]
	v_fma_f64 v[46:47], -v[40:41], v[42:43], 1.0
	v_fmac_f64_e32 v[42:43], v[42:43], v[46:47]
	v_div_scale_f64 v[46:47], vcc, 1.0, v[38:39], 1.0
	v_mul_f64 v[48:49], v[46:47], v[42:43]
	v_fma_f64 v[40:41], -v[40:41], v[48:49], v[46:47]
                                        ; implicit-def: $vgpr46_vgpr47
	s_nop 1
	v_div_fmas_f64 v[40:41], v[40:41], v[42:43], v[48:49]
	v_div_fixup_f64 v[38:39], v[40:41], v[38:39], 1.0
	v_fma_f64 v[40:41], v[36:37], v[44:45], v[34:35]
	v_fma_f64 v[34:35], -v[34:35], v[44:45], v[36:37]
	v_mul_f64 v[42:43], v[40:41], v[38:39]
	v_mul_f64 v[44:45], v[34:35], v[38:39]
                                        ; implicit-def: $vgpr48_vgpr49
                                        ; implicit-def: $vgpr34_vgpr35
.LBB128_54:                             ;   in Loop: Header=BB128_4 Depth=1
	s_andn2_saveexec_b64 s[12:13], s[12:13]
	s_cbranch_execz .LBB128_56
; %bb.55:                               ;   in Loop: Header=BB128_4 Depth=1
	v_div_scale_f64 v[38:39], s[34:35], v[48:49], v[48:49], v[34:35]
	v_rcp_f64_e32 v[40:41], v[38:39]
	v_div_scale_f64 v[80:81], s[34:35], v[46:47], v[46:47], v[36:37]
	v_div_scale_f64 v[42:43], vcc, v[34:35], v[48:49], v[34:35]
	v_fma_f64 v[44:45], -v[38:39], v[40:41], 1.0
	v_fmac_f64_e32 v[40:41], v[40:41], v[44:45]
	v_fma_f64 v[44:45], -v[38:39], v[40:41], 1.0
	v_fmac_f64_e32 v[40:41], v[40:41], v[44:45]
	v_rcp_f64_e32 v[82:83], v[80:81]
	v_mul_f64 v[44:45], v[42:43], v[40:41]
	v_fma_f64 v[38:39], -v[38:39], v[44:45], v[42:43]
	v_div_fmas_f64 v[38:39], v[38:39], v[40:41], v[44:45]
	v_div_fixup_f64 v[42:43], v[38:39], v[48:49], v[34:35]
	v_fma_f64 v[34:35], -v[80:81], v[82:83], 1.0
	v_fmac_f64_e32 v[82:83], v[82:83], v[34:35]
	v_fma_f64 v[34:35], -v[80:81], v[82:83], 1.0
	v_fmac_f64_e32 v[82:83], v[82:83], v[34:35]
	v_div_scale_f64 v[34:35], vcc, v[36:37], v[46:47], v[36:37]
	v_mul_f64 v[38:39], v[34:35], v[82:83]
	v_fma_f64 v[34:35], -v[80:81], v[38:39], v[34:35]
	s_nop 1
	v_div_fmas_f64 v[34:35], v[34:35], v[82:83], v[38:39]
	v_div_fixup_f64 v[44:45], v[34:35], v[46:47], v[36:37]
.LBB128_56:                             ;   in Loop: Header=BB128_4 Depth=1
	s_or_b64 exec, exec, s[12:13]
                                        ; implicit-def: $vgpr40_vgpr41
                                        ; implicit-def: $vgpr34_vgpr35
.LBB128_57:                             ;   in Loop: Header=BB128_4 Depth=1
	s_andn2_saveexec_b64 s[12:13], s[14:15]
	s_cbranch_execz .LBB128_59
; %bb.58:                               ;   in Loop: Header=BB128_4 Depth=1
	v_div_scale_f64 v[42:43], s[14:15], v[40:41], v[40:41], v[38:39]
	v_rcp_f64_e32 v[44:45], v[42:43]
	v_div_scale_f64 v[46:47], vcc, v[38:39], v[40:41], v[38:39]
	v_fma_f64 v[48:49], -v[42:43], v[44:45], 1.0
	v_fmac_f64_e32 v[44:45], v[44:45], v[48:49]
	v_fma_f64 v[48:49], -v[42:43], v[44:45], 1.0
	v_fmac_f64_e32 v[44:45], v[44:45], v[48:49]
	v_mul_f64 v[48:49], v[46:47], v[44:45]
	v_fma_f64 v[42:43], -v[42:43], v[48:49], v[46:47]
	v_div_fmas_f64 v[42:43], v[42:43], v[44:45], v[48:49]
	v_div_fixup_f64 v[44:45], v[42:43], v[40:41], v[38:39]
	v_fmac_f64_e32 v[40:41], v[38:39], v[44:45]
	v_div_scale_f64 v[38:39], s[14:15], v[40:41], v[40:41], 1.0
	v_rcp_f64_e32 v[42:43], v[38:39]
	v_fma_f64 v[46:47], -v[38:39], v[42:43], 1.0
	v_fmac_f64_e32 v[42:43], v[42:43], v[46:47]
	v_fma_f64 v[46:47], -v[38:39], v[42:43], 1.0
	v_fmac_f64_e32 v[42:43], v[42:43], v[46:47]
	v_div_scale_f64 v[46:47], vcc, 1.0, v[40:41], 1.0
	v_mul_f64 v[48:49], v[46:47], v[42:43]
	v_fma_f64 v[38:39], -v[38:39], v[48:49], v[46:47]
	s_nop 1
	v_div_fmas_f64 v[38:39], v[38:39], v[42:43], v[48:49]
	v_div_fixup_f64 v[38:39], v[38:39], v[40:41], 1.0
	v_fma_f64 v[40:41], v[34:35], v[44:45], v[36:37]
	v_fma_f64 v[34:35], v[36:37], v[44:45], -v[34:35]
	v_mul_f64 v[42:43], v[40:41], v[38:39]
	v_mul_f64 v[44:45], v[34:35], v[38:39]
.LBB128_59:                             ;   in Loop: Header=BB128_4 Depth=1
	s_or_b64 exec, exec, s[12:13]
.LBB128_60:                             ;   in Loop: Header=BB128_4 Depth=1
	v_xor_b32_e32 v1, 0x80000000, v31
	v_cmp_gt_f64_e32 vcc, 0, v[30:31]
	v_cndmask_b32_e32 v41, v31, v1, vcc
	v_cndmask_b32_e32 v40, v30, v30, vcc
	v_xor_b32_e32 v1, 0x80000000, v33
	v_cmp_gt_f64_e32 vcc, 0, v[32:33]
	v_cndmask_b32_e32 v39, v33, v1, vcc
	v_cndmask_b32_e32 v38, v32, v32, vcc
	s_and_b64 vcc, exec, s[10:11]
	v_cmp_ge_f64_e64 s[12:13], v[40:41], v[38:39]
	s_cbranch_vccnz .LBB128_70
; %bb.61:                               ;   in Loop: Header=BB128_4 Depth=1
                                        ; implicit-def: $vgpr36_vgpr37
                                        ; implicit-def: $vgpr46_vgpr47
	s_and_saveexec_b64 s[14:15], s[12:13]
	s_xor_b64 s[34:35], exec, s[14:15]
	s_cbranch_execz .LBB128_67
; %bb.62:                               ;   in Loop: Header=BB128_4 Depth=1
	v_cmp_neq_f64_e32 vcc, 0, v[30:31]
	v_cmp_neq_f64_e64 s[14:15], 0, v[32:33]
	s_or_b64 s[14:15], s[14:15], vcc
                                        ; implicit-def: $vgpr36_vgpr37
                                        ; implicit-def: $vgpr46_vgpr47
	s_and_saveexec_b64 s[50:51], s[14:15]
	s_xor_b64 s[14:15], exec, s[50:51]
	s_cbranch_execz .LBB128_64
; %bb.63:                               ;   in Loop: Header=BB128_4 Depth=1
	v_div_scale_f64 v[34:35], s[50:51], v[30:31], v[30:31], v[32:33]
	v_rcp_f64_e32 v[36:37], v[34:35]
	v_div_scale_f64 v[46:47], vcc, v[32:33], v[30:31], v[32:33]
	v_fma_f64 v[48:49], -v[34:35], v[36:37], 1.0
	v_fmac_f64_e32 v[36:37], v[36:37], v[48:49]
	v_fma_f64 v[48:49], -v[34:35], v[36:37], 1.0
	v_fmac_f64_e32 v[36:37], v[36:37], v[48:49]
	v_mul_f64 v[48:49], v[46:47], v[36:37]
	v_fma_f64 v[34:35], -v[34:35], v[48:49], v[46:47]
	v_div_fmas_f64 v[34:35], v[34:35], v[36:37], v[48:49]
	v_div_fixup_f64 v[34:35], v[34:35], v[30:31], v[32:33]
	v_fma_f64 v[36:37], v[32:33], v[34:35], v[30:31]
	v_div_scale_f64 v[46:47], s[50:51], v[36:37], v[36:37], 1.0
	v_rcp_f64_e32 v[48:49], v[46:47]
	v_fma_f64 v[80:81], -v[46:47], v[48:49], 1.0
	v_fmac_f64_e32 v[48:49], v[48:49], v[80:81]
	v_fma_f64 v[80:81], -v[46:47], v[48:49], 1.0
	v_fmac_f64_e32 v[48:49], v[48:49], v[80:81]
	v_div_scale_f64 v[80:81], vcc, 1.0, v[36:37], 1.0
	v_mul_f64 v[82:83], v[80:81], v[48:49]
	v_fma_f64 v[46:47], -v[46:47], v[82:83], v[80:81]
	s_nop 1
	v_div_fmas_f64 v[46:47], v[46:47], v[48:49], v[82:83]
	v_div_fixup_f64 v[36:37], v[46:47], v[36:37], 1.0
	v_fma_f64 v[46:47], v[28:29], v[34:35], v[26:27]
	v_fma_f64 v[34:35], -v[26:27], v[34:35], v[28:29]
	v_mul_f64 v[46:47], v[46:47], v[36:37]
	v_mul_f64 v[36:37], v[34:35], v[36:37]
.LBB128_64:                             ;   in Loop: Header=BB128_4 Depth=1
	s_andn2_saveexec_b64 s[14:15], s[14:15]
	s_cbranch_execz .LBB128_66
; %bb.65:                               ;   in Loop: Header=BB128_4 Depth=1
	v_div_scale_f64 v[34:35], s[50:51], v[40:41], v[40:41], v[26:27]
	v_rcp_f64_e32 v[36:37], v[34:35]
	v_div_scale_f64 v[80:81], s[50:51], v[38:39], v[38:39], v[28:29]
	v_div_scale_f64 v[46:47], vcc, v[26:27], v[40:41], v[26:27]
	v_fma_f64 v[48:49], -v[34:35], v[36:37], 1.0
	v_fmac_f64_e32 v[36:37], v[36:37], v[48:49]
	v_fma_f64 v[48:49], -v[34:35], v[36:37], 1.0
	v_fmac_f64_e32 v[36:37], v[36:37], v[48:49]
	v_rcp_f64_e32 v[82:83], v[80:81]
	v_mul_f64 v[48:49], v[46:47], v[36:37]
	v_fma_f64 v[34:35], -v[34:35], v[48:49], v[46:47]
	v_div_fmas_f64 v[34:35], v[34:35], v[36:37], v[48:49]
	v_div_fixup_f64 v[46:47], v[34:35], v[40:41], v[26:27]
	v_fma_f64 v[34:35], -v[80:81], v[82:83], 1.0
	v_fmac_f64_e32 v[82:83], v[82:83], v[34:35]
	v_fma_f64 v[34:35], -v[80:81], v[82:83], 1.0
	v_fmac_f64_e32 v[82:83], v[82:83], v[34:35]
	v_div_scale_f64 v[34:35], vcc, v[28:29], v[38:39], v[28:29]
	v_mul_f64 v[36:37], v[34:35], v[82:83]
	v_fma_f64 v[34:35], -v[80:81], v[36:37], v[34:35]
	s_nop 1
	v_div_fmas_f64 v[34:35], v[34:35], v[82:83], v[36:37]
	v_div_fixup_f64 v[36:37], v[34:35], v[38:39], v[28:29]
.LBB128_66:                             ;   in Loop: Header=BB128_4 Depth=1
	s_or_b64 exec, exec, s[14:15]
.LBB128_67:                             ;   in Loop: Header=BB128_4 Depth=1
	s_andn2_saveexec_b64 s[14:15], s[34:35]
	s_cbranch_execz .LBB128_69
; %bb.68:                               ;   in Loop: Header=BB128_4 Depth=1
	v_div_scale_f64 v[34:35], s[34:35], v[32:33], v[32:33], v[30:31]
	v_rcp_f64_e32 v[36:37], v[34:35]
	v_div_scale_f64 v[46:47], vcc, v[30:31], v[32:33], v[30:31]
	v_fma_f64 v[48:49], -v[34:35], v[36:37], 1.0
	v_fmac_f64_e32 v[36:37], v[36:37], v[48:49]
	v_fma_f64 v[48:49], -v[34:35], v[36:37], 1.0
	v_fmac_f64_e32 v[36:37], v[36:37], v[48:49]
	v_mul_f64 v[48:49], v[46:47], v[36:37]
	v_fma_f64 v[34:35], -v[34:35], v[48:49], v[46:47]
	v_div_fmas_f64 v[34:35], v[34:35], v[36:37], v[48:49]
	v_div_fixup_f64 v[34:35], v[34:35], v[32:33], v[30:31]
	v_fma_f64 v[36:37], v[30:31], v[34:35], v[32:33]
	v_div_scale_f64 v[46:47], s[34:35], v[36:37], v[36:37], 1.0
	v_rcp_f64_e32 v[48:49], v[46:47]
	v_fma_f64 v[80:81], -v[46:47], v[48:49], 1.0
	v_fmac_f64_e32 v[48:49], v[48:49], v[80:81]
	v_fma_f64 v[80:81], -v[46:47], v[48:49], 1.0
	v_fmac_f64_e32 v[48:49], v[48:49], v[80:81]
	v_div_scale_f64 v[80:81], vcc, 1.0, v[36:37], 1.0
	v_mul_f64 v[82:83], v[80:81], v[48:49]
	v_fma_f64 v[46:47], -v[46:47], v[82:83], v[80:81]
	s_nop 1
	v_div_fmas_f64 v[46:47], v[46:47], v[48:49], v[82:83]
	v_div_fixup_f64 v[36:37], v[46:47], v[36:37], 1.0
	v_fma_f64 v[46:47], v[26:27], v[34:35], v[28:29]
	v_fma_f64 v[34:35], v[28:29], v[34:35], -v[26:27]
	v_mul_f64 v[46:47], v[46:47], v[36:37]
	v_mul_f64 v[36:37], v[34:35], v[36:37]
.LBB128_69:                             ;   in Loop: Header=BB128_4 Depth=1
	s_or_b64 exec, exec, s[14:15]
	v_mul_f64 v[34:35], s[18:19], v[36:37]
	v_mul_f64 v[36:37], s[16:17], v[36:37]
	v_fma_f64 v[34:35], s[16:17], v[46:47], -v[34:35]
	v_fmac_f64_e32 v[36:37], s[18:19], v[46:47]
	s_branch .LBB128_80
.LBB128_70:                             ;   in Loop: Header=BB128_4 Depth=1
                                        ; implicit-def: $vgpr36_vgpr37
                                        ; implicit-def: $vgpr34_vgpr35
	s_cbranch_execz .LBB128_80
; %bb.71:                               ;   in Loop: Header=BB128_4 Depth=1
                                        ; implicit-def: $vgpr36_vgpr37
                                        ; implicit-def: $vgpr34_vgpr35
	s_and_saveexec_b64 s[14:15], s[12:13]
	s_xor_b64 s[14:15], exec, s[14:15]
	s_cbranch_execz .LBB128_77
; %bb.72:                               ;   in Loop: Header=BB128_4 Depth=1
	v_cmp_neq_f64_e32 vcc, 0, v[30:31]
	v_cmp_neq_f64_e64 s[12:13], 0, v[32:33]
	s_or_b64 s[12:13], s[12:13], vcc
                                        ; implicit-def: $vgpr36_vgpr37
                                        ; implicit-def: $vgpr34_vgpr35
	s_and_saveexec_b64 s[34:35], s[12:13]
	s_xor_b64 s[12:13], exec, s[34:35]
	s_cbranch_execz .LBB128_74
; %bb.73:                               ;   in Loop: Header=BB128_4 Depth=1
	v_div_scale_f64 v[34:35], s[34:35], v[30:31], v[30:31], v[32:33]
	v_rcp_f64_e32 v[36:37], v[34:35]
	v_div_scale_f64 v[38:39], vcc, v[32:33], v[30:31], v[32:33]
	v_fma_f64 v[40:41], -v[34:35], v[36:37], 1.0
	v_fmac_f64_e32 v[36:37], v[36:37], v[40:41]
	v_fma_f64 v[40:41], -v[34:35], v[36:37], 1.0
	v_fmac_f64_e32 v[36:37], v[36:37], v[40:41]
	v_mul_f64 v[40:41], v[38:39], v[36:37]
	v_fma_f64 v[34:35], -v[34:35], v[40:41], v[38:39]
	v_div_fmas_f64 v[34:35], v[34:35], v[36:37], v[40:41]
	v_div_fixup_f64 v[36:37], v[34:35], v[30:31], v[32:33]
	v_fmac_f64_e32 v[30:31], v[32:33], v[36:37]
	v_div_scale_f64 v[32:33], s[34:35], v[30:31], v[30:31], 1.0
	v_rcp_f64_e32 v[34:35], v[32:33]
	v_fma_f64 v[38:39], -v[32:33], v[34:35], 1.0
	v_fmac_f64_e32 v[34:35], v[34:35], v[38:39]
	v_fma_f64 v[38:39], -v[32:33], v[34:35], 1.0
	v_fmac_f64_e32 v[34:35], v[34:35], v[38:39]
	v_div_scale_f64 v[38:39], vcc, 1.0, v[30:31], 1.0
	v_mul_f64 v[40:41], v[38:39], v[34:35]
	v_fma_f64 v[32:33], -v[32:33], v[40:41], v[38:39]
                                        ; implicit-def: $vgpr38_vgpr39
	s_nop 1
	v_div_fmas_f64 v[32:33], v[32:33], v[34:35], v[40:41]
	v_div_fixup_f64 v[30:31], v[32:33], v[30:31], 1.0
	v_fma_f64 v[32:33], v[28:29], v[36:37], v[26:27]
	v_fma_f64 v[26:27], -v[26:27], v[36:37], v[28:29]
	v_mul_f64 v[34:35], v[32:33], v[30:31]
	v_mul_f64 v[36:37], v[26:27], v[30:31]
                                        ; implicit-def: $vgpr40_vgpr41
                                        ; implicit-def: $vgpr26_vgpr27
.LBB128_74:                             ;   in Loop: Header=BB128_4 Depth=1
	s_andn2_saveexec_b64 s[12:13], s[12:13]
	s_cbranch_execz .LBB128_76
; %bb.75:                               ;   in Loop: Header=BB128_4 Depth=1
	v_div_scale_f64 v[30:31], s[34:35], v[40:41], v[40:41], v[26:27]
	v_rcp_f64_e32 v[32:33], v[30:31]
	v_div_scale_f64 v[46:47], s[34:35], v[38:39], v[38:39], v[28:29]
	v_div_scale_f64 v[34:35], vcc, v[26:27], v[40:41], v[26:27]
	v_fma_f64 v[36:37], -v[30:31], v[32:33], 1.0
	v_fmac_f64_e32 v[32:33], v[32:33], v[36:37]
	v_fma_f64 v[36:37], -v[30:31], v[32:33], 1.0
	v_fmac_f64_e32 v[32:33], v[32:33], v[36:37]
	v_rcp_f64_e32 v[48:49], v[46:47]
	v_mul_f64 v[36:37], v[34:35], v[32:33]
	v_fma_f64 v[30:31], -v[30:31], v[36:37], v[34:35]
	v_div_fmas_f64 v[30:31], v[30:31], v[32:33], v[36:37]
	v_div_fixup_f64 v[34:35], v[30:31], v[40:41], v[26:27]
	v_fma_f64 v[26:27], -v[46:47], v[48:49], 1.0
	v_fmac_f64_e32 v[48:49], v[48:49], v[26:27]
	v_fma_f64 v[26:27], -v[46:47], v[48:49], 1.0
	v_fmac_f64_e32 v[48:49], v[48:49], v[26:27]
	v_div_scale_f64 v[26:27], vcc, v[28:29], v[38:39], v[28:29]
	v_mul_f64 v[30:31], v[26:27], v[48:49]
	v_fma_f64 v[26:27], -v[46:47], v[30:31], v[26:27]
	s_nop 1
	v_div_fmas_f64 v[26:27], v[26:27], v[48:49], v[30:31]
	v_div_fixup_f64 v[36:37], v[26:27], v[38:39], v[28:29]
.LBB128_76:                             ;   in Loop: Header=BB128_4 Depth=1
	s_or_b64 exec, exec, s[12:13]
                                        ; implicit-def: $vgpr32_vgpr33
                                        ; implicit-def: $vgpr26_vgpr27
.LBB128_77:                             ;   in Loop: Header=BB128_4 Depth=1
	s_andn2_saveexec_b64 s[12:13], s[14:15]
	s_cbranch_execz .LBB128_79
; %bb.78:                               ;   in Loop: Header=BB128_4 Depth=1
	v_div_scale_f64 v[34:35], s[14:15], v[32:33], v[32:33], v[30:31]
	v_rcp_f64_e32 v[36:37], v[34:35]
	v_div_scale_f64 v[38:39], vcc, v[30:31], v[32:33], v[30:31]
	v_fma_f64 v[40:41], -v[34:35], v[36:37], 1.0
	v_fmac_f64_e32 v[36:37], v[36:37], v[40:41]
	v_fma_f64 v[40:41], -v[34:35], v[36:37], 1.0
	v_fmac_f64_e32 v[36:37], v[36:37], v[40:41]
	v_mul_f64 v[40:41], v[38:39], v[36:37]
	v_fma_f64 v[34:35], -v[34:35], v[40:41], v[38:39]
	v_div_fmas_f64 v[34:35], v[34:35], v[36:37], v[40:41]
	v_div_fixup_f64 v[36:37], v[34:35], v[32:33], v[30:31]
	v_fmac_f64_e32 v[32:33], v[30:31], v[36:37]
	v_div_scale_f64 v[30:31], s[14:15], v[32:33], v[32:33], 1.0
	v_rcp_f64_e32 v[34:35], v[30:31]
	v_fma_f64 v[38:39], -v[30:31], v[34:35], 1.0
	v_fmac_f64_e32 v[34:35], v[34:35], v[38:39]
	v_fma_f64 v[38:39], -v[30:31], v[34:35], 1.0
	v_fmac_f64_e32 v[34:35], v[34:35], v[38:39]
	v_div_scale_f64 v[38:39], vcc, 1.0, v[32:33], 1.0
	v_mul_f64 v[40:41], v[38:39], v[34:35]
	v_fma_f64 v[30:31], -v[30:31], v[40:41], v[38:39]
	s_nop 1
	v_div_fmas_f64 v[30:31], v[30:31], v[34:35], v[40:41]
	v_div_fixup_f64 v[30:31], v[30:31], v[32:33], 1.0
	v_fma_f64 v[32:33], v[26:27], v[36:37], v[28:29]
	v_fma_f64 v[26:27], v[28:29], v[36:37], -v[26:27]
	v_mul_f64 v[34:35], v[32:33], v[30:31]
	v_mul_f64 v[36:37], v[26:27], v[30:31]
.LBB128_79:                             ;   in Loop: Header=BB128_4 Depth=1
	s_or_b64 exec, exec, s[12:13]
.LBB128_80:                             ;   in Loop: Header=BB128_4 Depth=1
	v_xor_b32_e32 v1, 0x80000000, v23
	v_cmp_gt_f64_e32 vcc, 0, v[22:23]
	v_cndmask_b32_e32 v29, v23, v1, vcc
	v_cndmask_b32_e32 v28, v22, v22, vcc
	v_xor_b32_e32 v1, 0x80000000, v25
	v_cmp_gt_f64_e32 vcc, 0, v[24:25]
	v_cndmask_b32_e32 v27, v25, v1, vcc
	v_cndmask_b32_e32 v26, v24, v24, vcc
	s_and_b64 vcc, exec, s[10:11]
	v_cmp_ge_f64_e64 s[10:11], v[28:29], v[26:27]
	s_cbranch_vccnz .LBB128_90
; %bb.81:                               ;   in Loop: Header=BB128_4 Depth=1
                                        ; implicit-def: $vgpr32_vgpr33
                                        ; implicit-def: $vgpr38_vgpr39
	s_and_saveexec_b64 s[12:13], s[10:11]
	s_xor_b64 s[14:15], exec, s[12:13]
	s_cbranch_execz .LBB128_87
; %bb.82:                               ;   in Loop: Header=BB128_4 Depth=1
	v_cmp_neq_f64_e32 vcc, 0, v[22:23]
	v_cmp_neq_f64_e64 s[12:13], 0, v[24:25]
	s_or_b64 s[12:13], s[12:13], vcc
                                        ; implicit-def: $vgpr32_vgpr33
                                        ; implicit-def: $vgpr38_vgpr39
	s_and_saveexec_b64 s[34:35], s[12:13]
	s_xor_b64 s[12:13], exec, s[34:35]
	s_cbranch_execz .LBB128_84
; %bb.83:                               ;   in Loop: Header=BB128_4 Depth=1
	v_div_scale_f64 v[30:31], s[34:35], v[22:23], v[22:23], v[24:25]
	v_rcp_f64_e32 v[32:33], v[30:31]
	v_div_scale_f64 v[38:39], vcc, v[24:25], v[22:23], v[24:25]
	v_fma_f64 v[40:41], -v[30:31], v[32:33], 1.0
	v_fmac_f64_e32 v[32:33], v[32:33], v[40:41]
	v_fma_f64 v[40:41], -v[30:31], v[32:33], 1.0
	v_fmac_f64_e32 v[32:33], v[32:33], v[40:41]
	v_mul_f64 v[40:41], v[38:39], v[32:33]
	v_fma_f64 v[30:31], -v[30:31], v[40:41], v[38:39]
	v_div_fmas_f64 v[30:31], v[30:31], v[32:33], v[40:41]
	v_div_fixup_f64 v[30:31], v[30:31], v[22:23], v[24:25]
	v_fma_f64 v[32:33], v[24:25], v[30:31], v[22:23]
	v_div_scale_f64 v[38:39], s[34:35], v[32:33], v[32:33], 1.0
	v_rcp_f64_e32 v[40:41], v[38:39]
	v_fma_f64 v[46:47], -v[38:39], v[40:41], 1.0
	v_fmac_f64_e32 v[40:41], v[40:41], v[46:47]
	v_fma_f64 v[46:47], -v[38:39], v[40:41], 1.0
	v_fmac_f64_e32 v[40:41], v[40:41], v[46:47]
	v_div_scale_f64 v[46:47], vcc, 1.0, v[32:33], 1.0
	v_mul_f64 v[48:49], v[46:47], v[40:41]
	v_fma_f64 v[38:39], -v[38:39], v[48:49], v[46:47]
	s_nop 1
	v_div_fmas_f64 v[38:39], v[38:39], v[40:41], v[48:49]
	v_div_fixup_f64 v[32:33], v[38:39], v[32:33], 1.0
	v_fma_f64 v[38:39], v[20:21], v[30:31], v[18:19]
	v_fma_f64 v[30:31], -v[18:19], v[30:31], v[20:21]
	v_mul_f64 v[38:39], v[38:39], v[32:33]
	v_mul_f64 v[32:33], v[30:31], v[32:33]
.LBB128_84:                             ;   in Loop: Header=BB128_4 Depth=1
	s_andn2_saveexec_b64 s[12:13], s[12:13]
	s_cbranch_execz .LBB128_86
; %bb.85:                               ;   in Loop: Header=BB128_4 Depth=1
	v_div_scale_f64 v[30:31], s[34:35], v[28:29], v[28:29], v[18:19]
	v_rcp_f64_e32 v[32:33], v[30:31]
	v_div_scale_f64 v[46:47], s[34:35], v[26:27], v[26:27], v[20:21]
	v_div_scale_f64 v[38:39], vcc, v[18:19], v[28:29], v[18:19]
	v_fma_f64 v[40:41], -v[30:31], v[32:33], 1.0
	v_fmac_f64_e32 v[32:33], v[32:33], v[40:41]
	v_fma_f64 v[40:41], -v[30:31], v[32:33], 1.0
	v_fmac_f64_e32 v[32:33], v[32:33], v[40:41]
	v_rcp_f64_e32 v[48:49], v[46:47]
	v_mul_f64 v[40:41], v[38:39], v[32:33]
	v_fma_f64 v[30:31], -v[30:31], v[40:41], v[38:39]
	v_div_fmas_f64 v[30:31], v[30:31], v[32:33], v[40:41]
	v_div_fixup_f64 v[38:39], v[30:31], v[28:29], v[18:19]
	v_fma_f64 v[30:31], -v[46:47], v[48:49], 1.0
	v_fmac_f64_e32 v[48:49], v[48:49], v[30:31]
	v_fma_f64 v[30:31], -v[46:47], v[48:49], 1.0
	v_fmac_f64_e32 v[48:49], v[48:49], v[30:31]
	v_div_scale_f64 v[30:31], vcc, v[20:21], v[26:27], v[20:21]
	v_mul_f64 v[32:33], v[30:31], v[48:49]
	v_fma_f64 v[30:31], -v[46:47], v[32:33], v[30:31]
	s_nop 1
	v_div_fmas_f64 v[30:31], v[30:31], v[48:49], v[32:33]
	v_div_fixup_f64 v[32:33], v[30:31], v[26:27], v[20:21]
.LBB128_86:                             ;   in Loop: Header=BB128_4 Depth=1
	s_or_b64 exec, exec, s[12:13]
.LBB128_87:                             ;   in Loop: Header=BB128_4 Depth=1
	s_andn2_saveexec_b64 s[12:13], s[14:15]
	s_cbranch_execz .LBB128_89
; %bb.88:                               ;   in Loop: Header=BB128_4 Depth=1
	v_div_scale_f64 v[30:31], s[14:15], v[24:25], v[24:25], v[22:23]
	v_rcp_f64_e32 v[32:33], v[30:31]
	v_div_scale_f64 v[38:39], vcc, v[22:23], v[24:25], v[22:23]
	v_fma_f64 v[40:41], -v[30:31], v[32:33], 1.0
	v_fmac_f64_e32 v[32:33], v[32:33], v[40:41]
	v_fma_f64 v[40:41], -v[30:31], v[32:33], 1.0
	v_fmac_f64_e32 v[32:33], v[32:33], v[40:41]
	v_mul_f64 v[40:41], v[38:39], v[32:33]
	v_fma_f64 v[30:31], -v[30:31], v[40:41], v[38:39]
	v_div_fmas_f64 v[30:31], v[30:31], v[32:33], v[40:41]
	v_div_fixup_f64 v[30:31], v[30:31], v[24:25], v[22:23]
	v_fma_f64 v[32:33], v[22:23], v[30:31], v[24:25]
	v_div_scale_f64 v[38:39], s[14:15], v[32:33], v[32:33], 1.0
	v_rcp_f64_e32 v[40:41], v[38:39]
	v_fma_f64 v[46:47], -v[38:39], v[40:41], 1.0
	v_fmac_f64_e32 v[40:41], v[40:41], v[46:47]
	v_fma_f64 v[46:47], -v[38:39], v[40:41], 1.0
	v_fmac_f64_e32 v[40:41], v[40:41], v[46:47]
	v_div_scale_f64 v[46:47], vcc, 1.0, v[32:33], 1.0
	v_mul_f64 v[48:49], v[46:47], v[40:41]
	v_fma_f64 v[38:39], -v[38:39], v[48:49], v[46:47]
	s_nop 1
	v_div_fmas_f64 v[38:39], v[38:39], v[40:41], v[48:49]
	v_div_fixup_f64 v[32:33], v[38:39], v[32:33], 1.0
	v_fma_f64 v[38:39], v[18:19], v[30:31], v[20:21]
	v_fma_f64 v[30:31], v[20:21], v[30:31], -v[18:19]
	v_mul_f64 v[38:39], v[38:39], v[32:33]
	v_mul_f64 v[32:33], v[30:31], v[32:33]
.LBB128_89:                             ;   in Loop: Header=BB128_4 Depth=1
	s_or_b64 exec, exec, s[12:13]
	v_mul_f64 v[30:31], s[18:19], v[32:33]
	v_mul_f64 v[32:33], s[16:17], v[32:33]
	v_fma_f64 v[30:31], s[16:17], v[38:39], -v[30:31]
	v_fmac_f64_e32 v[32:33], s[18:19], v[38:39]
	s_branch .LBB128_100
.LBB128_90:                             ;   in Loop: Header=BB128_4 Depth=1
                                        ; implicit-def: $vgpr32_vgpr33
                                        ; implicit-def: $vgpr30_vgpr31
	s_cbranch_execz .LBB128_100
; %bb.91:                               ;   in Loop: Header=BB128_4 Depth=1
                                        ; implicit-def: $vgpr32_vgpr33
                                        ; implicit-def: $vgpr30_vgpr31
	s_and_saveexec_b64 s[12:13], s[10:11]
	s_xor_b64 s[12:13], exec, s[12:13]
	s_cbranch_execz .LBB128_97
; %bb.92:                               ;   in Loop: Header=BB128_4 Depth=1
	v_cmp_neq_f64_e32 vcc, 0, v[22:23]
	v_cmp_neq_f64_e64 s[10:11], 0, v[24:25]
	s_or_b64 s[10:11], s[10:11], vcc
                                        ; implicit-def: $vgpr32_vgpr33
                                        ; implicit-def: $vgpr30_vgpr31
	s_and_saveexec_b64 s[14:15], s[10:11]
	s_xor_b64 s[10:11], exec, s[14:15]
	s_cbranch_execz .LBB128_94
; %bb.93:                               ;   in Loop: Header=BB128_4 Depth=1
	v_div_scale_f64 v[26:27], s[14:15], v[22:23], v[22:23], v[24:25]
	v_rcp_f64_e32 v[28:29], v[26:27]
	v_div_scale_f64 v[30:31], vcc, v[24:25], v[22:23], v[24:25]
	v_fma_f64 v[32:33], -v[26:27], v[28:29], 1.0
	v_fmac_f64_e32 v[28:29], v[28:29], v[32:33]
	v_fma_f64 v[32:33], -v[26:27], v[28:29], 1.0
	v_fmac_f64_e32 v[28:29], v[28:29], v[32:33]
	v_mul_f64 v[32:33], v[30:31], v[28:29]
	v_fma_f64 v[26:27], -v[26:27], v[32:33], v[30:31]
	v_div_fmas_f64 v[26:27], v[26:27], v[28:29], v[32:33]
	v_div_fixup_f64 v[26:27], v[26:27], v[22:23], v[24:25]
	v_fmac_f64_e32 v[22:23], v[24:25], v[26:27]
	v_div_scale_f64 v[24:25], s[14:15], v[22:23], v[22:23], 1.0
	v_rcp_f64_e32 v[28:29], v[24:25]
	v_fma_f64 v[30:31], -v[24:25], v[28:29], 1.0
	v_fmac_f64_e32 v[28:29], v[28:29], v[30:31]
	v_fma_f64 v[30:31], -v[24:25], v[28:29], 1.0
	v_fmac_f64_e32 v[28:29], v[28:29], v[30:31]
	v_div_scale_f64 v[30:31], vcc, 1.0, v[22:23], 1.0
	v_mul_f64 v[32:33], v[30:31], v[28:29]
	v_fma_f64 v[24:25], -v[24:25], v[32:33], v[30:31]
	s_nop 1
	v_div_fmas_f64 v[24:25], v[24:25], v[28:29], v[32:33]
	v_div_fixup_f64 v[22:23], v[24:25], v[22:23], 1.0
	v_fma_f64 v[24:25], v[20:21], v[26:27], v[18:19]
	v_fma_f64 v[18:19], -v[18:19], v[26:27], v[20:21]
	v_mul_f64 v[30:31], v[24:25], v[22:23]
	v_mul_f64 v[32:33], v[18:19], v[22:23]
                                        ; implicit-def: $vgpr28_vgpr29
                                        ; implicit-def: $vgpr18_vgpr19
                                        ; implicit-def: $vgpr26_vgpr27
.LBB128_94:                             ;   in Loop: Header=BB128_4 Depth=1
	s_andn2_saveexec_b64 s[10:11], s[10:11]
	s_cbranch_execz .LBB128_96
; %bb.95:                               ;   in Loop: Header=BB128_4 Depth=1
	v_div_scale_f64 v[22:23], s[14:15], v[28:29], v[28:29], v[18:19]
	v_rcp_f64_e32 v[24:25], v[22:23]
	v_div_scale_f64 v[38:39], s[14:15], v[26:27], v[26:27], v[20:21]
	v_div_scale_f64 v[30:31], vcc, v[18:19], v[28:29], v[18:19]
	v_fma_f64 v[32:33], -v[22:23], v[24:25], 1.0
	v_fmac_f64_e32 v[24:25], v[24:25], v[32:33]
	v_fma_f64 v[32:33], -v[22:23], v[24:25], 1.0
	v_fmac_f64_e32 v[24:25], v[24:25], v[32:33]
	v_rcp_f64_e32 v[40:41], v[38:39]
	v_mul_f64 v[32:33], v[30:31], v[24:25]
	v_fma_f64 v[22:23], -v[22:23], v[32:33], v[30:31]
	v_div_fmas_f64 v[22:23], v[22:23], v[24:25], v[32:33]
	v_div_fixup_f64 v[30:31], v[22:23], v[28:29], v[18:19]
	v_fma_f64 v[18:19], -v[38:39], v[40:41], 1.0
	v_fmac_f64_e32 v[40:41], v[40:41], v[18:19]
	v_fma_f64 v[18:19], -v[38:39], v[40:41], 1.0
	v_fmac_f64_e32 v[40:41], v[40:41], v[18:19]
	v_div_scale_f64 v[18:19], vcc, v[20:21], v[26:27], v[20:21]
	v_mul_f64 v[22:23], v[18:19], v[40:41]
	v_fma_f64 v[18:19], -v[38:39], v[22:23], v[18:19]
	s_nop 1
	v_div_fmas_f64 v[18:19], v[18:19], v[40:41], v[22:23]
	v_div_fixup_f64 v[32:33], v[18:19], v[26:27], v[20:21]
.LBB128_96:                             ;   in Loop: Header=BB128_4 Depth=1
	s_or_b64 exec, exec, s[10:11]
                                        ; implicit-def: $vgpr24_vgpr25
                                        ; implicit-def: $vgpr18_vgpr19
.LBB128_97:                             ;   in Loop: Header=BB128_4 Depth=1
	s_andn2_saveexec_b64 s[10:11], s[12:13]
	s_cbranch_execz .LBB128_99
; %bb.98:                               ;   in Loop: Header=BB128_4 Depth=1
	v_div_scale_f64 v[26:27], s[12:13], v[24:25], v[24:25], v[22:23]
	v_rcp_f64_e32 v[28:29], v[26:27]
	v_div_scale_f64 v[30:31], vcc, v[22:23], v[24:25], v[22:23]
	v_fma_f64 v[32:33], -v[26:27], v[28:29], 1.0
	v_fmac_f64_e32 v[28:29], v[28:29], v[32:33]
	v_fma_f64 v[32:33], -v[26:27], v[28:29], 1.0
	v_fmac_f64_e32 v[28:29], v[28:29], v[32:33]
	v_mul_f64 v[32:33], v[30:31], v[28:29]
	v_fma_f64 v[26:27], -v[26:27], v[32:33], v[30:31]
	v_div_fmas_f64 v[26:27], v[26:27], v[28:29], v[32:33]
	v_div_fixup_f64 v[26:27], v[26:27], v[24:25], v[22:23]
	v_fmac_f64_e32 v[24:25], v[22:23], v[26:27]
	v_div_scale_f64 v[22:23], s[12:13], v[24:25], v[24:25], 1.0
	v_rcp_f64_e32 v[28:29], v[22:23]
	v_fma_f64 v[30:31], -v[22:23], v[28:29], 1.0
	v_fmac_f64_e32 v[28:29], v[28:29], v[30:31]
	v_fma_f64 v[30:31], -v[22:23], v[28:29], 1.0
	v_fmac_f64_e32 v[28:29], v[28:29], v[30:31]
	v_div_scale_f64 v[30:31], vcc, 1.0, v[24:25], 1.0
	v_mul_f64 v[32:33], v[30:31], v[28:29]
	v_fma_f64 v[22:23], -v[22:23], v[32:33], v[30:31]
	s_nop 1
	v_div_fmas_f64 v[22:23], v[22:23], v[28:29], v[32:33]
	v_div_fixup_f64 v[22:23], v[22:23], v[24:25], 1.0
	v_fma_f64 v[24:25], v[18:19], v[26:27], v[20:21]
	v_fma_f64 v[18:19], v[20:21], v[26:27], -v[18:19]
	v_mul_f64 v[30:31], v[24:25], v[22:23]
	v_mul_f64 v[32:33], v[18:19], v[22:23]
.LBB128_99:                             ;   in Loop: Header=BB128_4 Depth=1
	s_or_b64 exec, exec, s[10:11]
.LBB128_100:                            ;   in Loop: Header=BB128_4 Depth=1
	s_and_saveexec_b64 s[10:11], s[0:1]
	s_xor_b64 s[0:1], exec, s[10:11]
	s_cbranch_execnz .LBB128_104
; %bb.101:                              ;   in Loop: Header=BB128_4 Depth=1
	s_or_b64 exec, exec, s[0:1]
	s_and_saveexec_b64 s[0:1], s[2:3]
	s_cbranch_execnz .LBB128_105
.LBB128_102:                            ;   in Loop: Header=BB128_4 Depth=1
	s_or_b64 exec, exec, s[0:1]
	s_and_saveexec_b64 s[0:1], s[6:7]
	s_cbranch_execnz .LBB128_106
.LBB128_103:                            ;   in Loop: Header=BB128_4 Depth=1
	s_or_b64 exec, exec, s[0:1]
	s_and_saveexec_b64 s[0:1], s[8:9]
	s_cbranch_execz .LBB128_3
	s_branch .LBB128_107
.LBB128_104:                            ;   in Loop: Header=BB128_4 Depth=1
	v_mov_b32_e32 v1, s23
	v_add_co_u32_e32 v18, vcc, s22, v52
	v_add_f64 v[4:5], v[4:5], v[78:79]
	v_add_f64 v[2:3], v[2:3], v[76:77]
	v_addc_co_u32_e32 v19, vcc, v53, v1, vcc
	global_store_dwordx4 v[18:19], v[2:5], off offset:-8
	s_or_b64 exec, exec, s[0:1]
	s_and_saveexec_b64 s[0:1], s[2:3]
	s_cbranch_execz .LBB128_102
.LBB128_105:                            ;   in Loop: Header=BB128_4 Depth=1
	v_add_f64 v[2:3], v[6:7], v[42:43]
	v_mov_b32_e32 v1, s23
	v_add_co_u32_e32 v6, vcc, s22, v58
	v_add_f64 v[4:5], v[8:9], v[44:45]
	v_addc_co_u32_e32 v7, vcc, v59, v1, vcc
	global_store_dwordx4 v[6:7], v[2:5], off
	s_or_b64 exec, exec, s[0:1]
	s_and_saveexec_b64 s[0:1], s[6:7]
	s_cbranch_execz .LBB128_103
.LBB128_106:                            ;   in Loop: Header=BB128_4 Depth=1
	v_mov_b32_e32 v1, s23
	v_add_co_u32_e32 v6, vcc, s22, v72
	v_add_f64 v[4:5], v[12:13], v[36:37]
	v_add_f64 v[2:3], v[10:11], v[34:35]
	v_addc_co_u32_e32 v7, vcc, v73, v1, vcc
	global_store_dwordx4 v[6:7], v[2:5], off offset:-8
	s_or_b64 exec, exec, s[0:1]
	s_and_saveexec_b64 s[0:1], s[8:9]
	s_cbranch_execz .LBB128_3
.LBB128_107:                            ;   in Loop: Header=BB128_4 Depth=1
	v_mov_b32_e32 v1, s23
	v_add_co_u32_e32 v6, vcc, s22, v64
	v_add_f64 v[4:5], v[16:17], v[32:33]
	v_add_f64 v[2:3], v[14:15], v[30:31]
	v_addc_co_u32_e32 v7, vcc, v65, v1, vcc
	global_store_dwordx4 v[6:7], v[2:5], off offset:-8
	s_branch .LBB128_3
.LBB128_108:
	s_mov_b64 s[8:9], 0
.LBB128_109:
	s_andn2_b64 vcc, exec, s[8:9]
	s_cbranch_vccnz .LBB128_193
; %bb.110:
	v_mov_b32_e32 v49, 0
	v_lshlrev_b32_e32 v48, 2, v0
	s_mov_b32 s14, 0
	v_cmp_gt_i64_e32 vcc, s[20:21], v[48:49]
	s_and_saveexec_b64 s[0:1], vcc
	s_cbranch_execz .LBB128_193
; %bb.111:
	s_load_dword s4, s[4:5], 0xf54
	s_waitcnt lgkmcnt(0)
	v_cmp_neq_f64_e64 s[0:1], s[16:17], 1.0
	v_cmp_neq_f64_e64 s[2:3], s[18:19], 0
	s_or_b64 s[8:9], s[0:1], s[2:3]
	s_mov_b64 s[6:7], 0
	s_and_b32 s0, s4, 0xffff
	v_add_lshl_u32 v48, v0, s0, 2
	s_lshl_b32 s15, s0, 2
	v_lshlrev_b32_e32 v50, 6, v0
	s_lshl_b32 s22, s0, 6
	s_mov_b64 s[10:11], 0xffff
	s_branch .LBB128_114
.LBB128_112:                            ;   in Loop: Header=BB128_114 Depth=1
	s_or_b64 exec, exec, s[0:1]
.LBB128_113:                            ;   in Loop: Header=BB128_114 Depth=1
	v_cmp_le_i64_e32 vcc, s[20:21], v[48:49]
	v_cmp_lt_u64_e64 s[0:1], s[10:11], v[48:49]
	s_or_b64 s[0:1], vcc, s[0:1]
	s_add_u32 s33, s33, s22
	s_addc_u32 s36, s36, 0
	s_add_u32 s39, s39, s22
	s_addc_u32 s40, s40, 0
	s_add_u32 s37, s37, s22
	v_add_f64 v[6:7], v[6:7], v[56:57]
	v_add_f64 v[4:5], v[4:5], v[54:55]
	;; [unrolled: 1-line block ×3, first 2 shown]
	s_addc_u32 s38, s38, 0
	v_add_f64 v[14:15], v[14:15], v[34:35]
	v_add_f64 v[12:13], v[12:13], v[32:33]
	;; [unrolled: 1-line block ×5, first 2 shown]
	global_store_dwordx4 v[52:53], v[4:7], off
	global_store_dwordx4 v[52:53], v[8:11], off offset:16
	global_store_dwordx4 v[52:53], v[12:15], off offset:32
	global_store_dwordx4 v[52:53], v[0:3], off offset:48
	s_and_b64 s[0:1], exec, s[0:1]
	v_mov_b32_e32 v0, s14
	v_add_co_u32_e32 v48, vcc, s15, v48
	s_or_b64 s[6:7], s[0:1], s[6:7]
	v_addc_co_u32_e32 v49, vcc, v49, v0, vcc
	s_andn2_b64 exec, exec, s[6:7]
	s_cbranch_execz .LBB128_193
.LBB128_114:                            ; =>This Inner Loop Header: Depth=1
	v_mov_b32_e32 v0, s36
	v_add_co_u32_e32 v52, vcc, s33, v50
	v_addc_co_u32_e32 v53, vcc, 0, v0, vcc
	v_mov_b32_e32 v16, s40
	v_add_co_u32_e32 v54, vcc, s39, v50
	v_addc_co_u32_e32 v55, vcc, 0, v16, vcc
	;; [unrolled: 3-line block ×3, first 2 shown]
	global_load_dwordx4 v[0:3], v[52:53], off offset:48
	global_load_dwordx4 v[12:15], v[52:53], off offset:32
	;; [unrolled: 1-line block ×3, first 2 shown]
	global_load_dwordx4 v[4:7], v[52:53], off
	global_load_dwordx4 v[36:39], v[54:55], off offset:16
	global_load_dwordx4 v[44:47], v[54:55], off
	global_load_dwordx4 v[16:19], v[56:57], off offset:48
	global_load_dwordx4 v[24:27], v[56:57], off offset:32
	;; [unrolled: 1-line block ×3, first 2 shown]
	global_load_dwordx4 v[40:43], v[56:57], off
	global_load_dwordx4 v[20:23], v[54:55], off offset:48
	global_load_dwordx4 v[28:31], v[54:55], off offset:32
	s_and_b64 vcc, exec, s[8:9]
	s_waitcnt vmcnt(6)
	v_xor_b32_e32 v51, 0x80000000, v45
	v_cmp_gt_f64_e64 s[0:1], 0, v[44:45]
	v_xor_b32_e32 v54, 0x80000000, v47
	v_cndmask_b32_e64 v61, v45, v51, s[0:1]
	v_cmp_gt_f64_e64 s[0:1], 0, v[46:47]
	v_mov_b32_e32 v60, v44
	v_mov_b32_e32 v58, v46
	v_cndmask_b32_e64 v59, v47, v54, s[0:1]
	v_cmp_ge_f64_e64 s[0:1], v[60:61], v[58:59]
	s_cbranch_vccz .LBB128_124
; %bb.115:                              ;   in Loop: Header=BB128_114 Depth=1
                                        ; implicit-def: $vgpr56_vgpr57
                                        ; implicit-def: $vgpr62_vgpr63
	s_and_saveexec_b64 s[2:3], s[0:1]
	s_xor_b64 s[4:5], exec, s[2:3]
	s_cbranch_execz .LBB128_121
; %bb.116:                              ;   in Loop: Header=BB128_114 Depth=1
	v_cmp_neq_f64_e32 vcc, 0, v[44:45]
	v_cmp_neq_f64_e64 s[2:3], 0, v[46:47]
	s_or_b64 s[2:3], vcc, s[2:3]
                                        ; implicit-def: $vgpr56_vgpr57
                                        ; implicit-def: $vgpr62_vgpr63
	s_and_saveexec_b64 s[12:13], s[2:3]
	s_xor_b64 s[2:3], exec, s[12:13]
	s_cbranch_execz .LBB128_118
; %bb.117:                              ;   in Loop: Header=BB128_114 Depth=1
	v_div_scale_f64 v[54:55], s[12:13], v[44:45], v[44:45], v[46:47]
	v_rcp_f64_e32 v[56:57], v[54:55]
	v_div_scale_f64 v[62:63], vcc, v[46:47], v[44:45], v[46:47]
	v_fma_f64 v[64:65], -v[54:55], v[56:57], 1.0
	v_fmac_f64_e32 v[56:57], v[56:57], v[64:65]
	v_fma_f64 v[64:65], -v[54:55], v[56:57], 1.0
	v_fmac_f64_e32 v[56:57], v[56:57], v[64:65]
	v_mul_f64 v[64:65], v[62:63], v[56:57]
	v_fma_f64 v[54:55], -v[54:55], v[64:65], v[62:63]
	v_div_fmas_f64 v[54:55], v[54:55], v[56:57], v[64:65]
	v_div_fixup_f64 v[54:55], v[54:55], v[44:45], v[46:47]
	v_fma_f64 v[56:57], v[46:47], v[54:55], v[44:45]
	v_div_scale_f64 v[62:63], s[12:13], v[56:57], v[56:57], 1.0
	v_rcp_f64_e32 v[64:65], v[62:63]
	v_fma_f64 v[66:67], -v[62:63], v[64:65], 1.0
	v_fmac_f64_e32 v[64:65], v[64:65], v[66:67]
	v_fma_f64 v[66:67], -v[62:63], v[64:65], 1.0
	v_fmac_f64_e32 v[64:65], v[64:65], v[66:67]
	v_div_scale_f64 v[66:67], vcc, 1.0, v[56:57], 1.0
	v_mul_f64 v[68:69], v[66:67], v[64:65]
	v_fma_f64 v[62:63], -v[62:63], v[68:69], v[66:67]
	s_nop 1
	v_div_fmas_f64 v[62:63], v[62:63], v[64:65], v[68:69]
	v_div_fixup_f64 v[56:57], v[62:63], v[56:57], 1.0
	s_waitcnt vmcnt(2)
	v_fma_f64 v[62:63], v[42:43], v[54:55], v[40:41]
	v_fma_f64 v[54:55], -v[40:41], v[54:55], v[42:43]
	v_mul_f64 v[62:63], v[62:63], v[56:57]
	v_mul_f64 v[56:57], v[54:55], v[56:57]
.LBB128_118:                            ;   in Loop: Header=BB128_114 Depth=1
	s_andn2_saveexec_b64 s[2:3], s[2:3]
	s_cbranch_execz .LBB128_120
; %bb.119:                              ;   in Loop: Header=BB128_114 Depth=1
	s_waitcnt vmcnt(2)
	v_div_scale_f64 v[54:55], s[12:13], v[60:61], v[60:61], v[40:41]
	v_rcp_f64_e32 v[56:57], v[54:55]
	v_div_scale_f64 v[66:67], s[12:13], v[58:59], v[58:59], v[42:43]
	v_div_scale_f64 v[62:63], vcc, v[40:41], v[60:61], v[40:41]
	v_fma_f64 v[64:65], -v[54:55], v[56:57], 1.0
	v_fmac_f64_e32 v[56:57], v[56:57], v[64:65]
	v_fma_f64 v[64:65], -v[54:55], v[56:57], 1.0
	v_fmac_f64_e32 v[56:57], v[56:57], v[64:65]
	v_rcp_f64_e32 v[68:69], v[66:67]
	v_mul_f64 v[64:65], v[62:63], v[56:57]
	v_fma_f64 v[54:55], -v[54:55], v[64:65], v[62:63]
	v_div_fmas_f64 v[54:55], v[54:55], v[56:57], v[64:65]
	v_div_fixup_f64 v[62:63], v[54:55], v[60:61], v[40:41]
	v_fma_f64 v[54:55], -v[66:67], v[68:69], 1.0
	v_fmac_f64_e32 v[68:69], v[68:69], v[54:55]
	v_fma_f64 v[54:55], -v[66:67], v[68:69], 1.0
	v_fmac_f64_e32 v[68:69], v[68:69], v[54:55]
	v_div_scale_f64 v[54:55], vcc, v[42:43], v[58:59], v[42:43]
	v_mul_f64 v[56:57], v[54:55], v[68:69]
	v_fma_f64 v[54:55], -v[66:67], v[56:57], v[54:55]
	s_nop 1
	v_div_fmas_f64 v[54:55], v[54:55], v[68:69], v[56:57]
	v_div_fixup_f64 v[56:57], v[54:55], v[58:59], v[42:43]
.LBB128_120:                            ;   in Loop: Header=BB128_114 Depth=1
	s_or_b64 exec, exec, s[2:3]
.LBB128_121:                            ;   in Loop: Header=BB128_114 Depth=1
	s_andn2_saveexec_b64 s[2:3], s[4:5]
	s_cbranch_execz .LBB128_123
; %bb.122:                              ;   in Loop: Header=BB128_114 Depth=1
	v_div_scale_f64 v[54:55], s[4:5], v[46:47], v[46:47], v[44:45]
	v_rcp_f64_e32 v[56:57], v[54:55]
	v_div_scale_f64 v[62:63], vcc, v[44:45], v[46:47], v[44:45]
	v_fma_f64 v[64:65], -v[54:55], v[56:57], 1.0
	v_fmac_f64_e32 v[56:57], v[56:57], v[64:65]
	v_fma_f64 v[64:65], -v[54:55], v[56:57], 1.0
	v_fmac_f64_e32 v[56:57], v[56:57], v[64:65]
	v_mul_f64 v[64:65], v[62:63], v[56:57]
	v_fma_f64 v[54:55], -v[54:55], v[64:65], v[62:63]
	v_div_fmas_f64 v[54:55], v[54:55], v[56:57], v[64:65]
	v_div_fixup_f64 v[54:55], v[54:55], v[46:47], v[44:45]
	v_fma_f64 v[56:57], v[44:45], v[54:55], v[46:47]
	v_div_scale_f64 v[62:63], s[4:5], v[56:57], v[56:57], 1.0
	v_rcp_f64_e32 v[64:65], v[62:63]
	v_fma_f64 v[66:67], -v[62:63], v[64:65], 1.0
	v_fmac_f64_e32 v[64:65], v[64:65], v[66:67]
	v_fma_f64 v[66:67], -v[62:63], v[64:65], 1.0
	v_fmac_f64_e32 v[64:65], v[64:65], v[66:67]
	v_div_scale_f64 v[66:67], vcc, 1.0, v[56:57], 1.0
	v_mul_f64 v[68:69], v[66:67], v[64:65]
	v_fma_f64 v[62:63], -v[62:63], v[68:69], v[66:67]
	s_nop 1
	v_div_fmas_f64 v[62:63], v[62:63], v[64:65], v[68:69]
	v_div_fixup_f64 v[56:57], v[62:63], v[56:57], 1.0
	s_waitcnt vmcnt(2)
	v_fma_f64 v[62:63], v[40:41], v[54:55], v[42:43]
	v_fma_f64 v[54:55], v[42:43], v[54:55], -v[40:41]
	v_mul_f64 v[62:63], v[62:63], v[56:57]
	v_mul_f64 v[56:57], v[54:55], v[56:57]
.LBB128_123:                            ;   in Loop: Header=BB128_114 Depth=1
	s_or_b64 exec, exec, s[2:3]
	v_mul_f64 v[54:55], s[18:19], v[56:57]
	v_mul_f64 v[56:57], s[16:17], v[56:57]
	v_fma_f64 v[54:55], s[16:17], v[62:63], -v[54:55]
	v_fmac_f64_e32 v[56:57], s[18:19], v[62:63]
	s_branch .LBB128_134
.LBB128_124:                            ;   in Loop: Header=BB128_114 Depth=1
                                        ; implicit-def: $vgpr56_vgpr57
                                        ; implicit-def: $vgpr54_vgpr55
	s_cbranch_execz .LBB128_134
; %bb.125:                              ;   in Loop: Header=BB128_114 Depth=1
                                        ; implicit-def: $vgpr56_vgpr57
                                        ; implicit-def: $vgpr54_vgpr55
	s_and_saveexec_b64 s[2:3], s[0:1]
	s_xor_b64 s[2:3], exec, s[2:3]
	s_cbranch_execz .LBB128_131
; %bb.126:                              ;   in Loop: Header=BB128_114 Depth=1
	v_cmp_neq_f64_e32 vcc, 0, v[44:45]
	v_cmp_neq_f64_e64 s[0:1], 0, v[46:47]
	s_or_b64 s[0:1], vcc, s[0:1]
                                        ; implicit-def: $vgpr56_vgpr57
                                        ; implicit-def: $vgpr54_vgpr55
	s_and_saveexec_b64 s[4:5], s[0:1]
	s_xor_b64 s[0:1], exec, s[4:5]
	s_cbranch_execz .LBB128_128
; %bb.127:                              ;   in Loop: Header=BB128_114 Depth=1
	v_div_scale_f64 v[54:55], s[4:5], v[44:45], v[44:45], v[46:47]
	v_rcp_f64_e32 v[56:57], v[54:55]
	v_div_scale_f64 v[58:59], vcc, v[46:47], v[44:45], v[46:47]
	v_fma_f64 v[60:61], -v[54:55], v[56:57], 1.0
	v_fmac_f64_e32 v[56:57], v[56:57], v[60:61]
	v_fma_f64 v[60:61], -v[54:55], v[56:57], 1.0
	v_fmac_f64_e32 v[56:57], v[56:57], v[60:61]
	v_mul_f64 v[60:61], v[58:59], v[56:57]
	v_fma_f64 v[54:55], -v[54:55], v[60:61], v[58:59]
	v_div_fmas_f64 v[54:55], v[54:55], v[56:57], v[60:61]
	v_div_fixup_f64 v[56:57], v[54:55], v[44:45], v[46:47]
	v_fmac_f64_e32 v[44:45], v[46:47], v[56:57]
	v_div_scale_f64 v[46:47], s[4:5], v[44:45], v[44:45], 1.0
	v_rcp_f64_e32 v[54:55], v[46:47]
	v_fma_f64 v[58:59], -v[46:47], v[54:55], 1.0
	v_fmac_f64_e32 v[54:55], v[54:55], v[58:59]
	v_fma_f64 v[58:59], -v[46:47], v[54:55], 1.0
	v_fmac_f64_e32 v[54:55], v[54:55], v[58:59]
	v_div_scale_f64 v[58:59], vcc, 1.0, v[44:45], 1.0
	v_mul_f64 v[60:61], v[58:59], v[54:55]
	v_fma_f64 v[46:47], -v[46:47], v[60:61], v[58:59]
                                        ; implicit-def: $vgpr58_vgpr59
	s_nop 1
	v_div_fmas_f64 v[46:47], v[46:47], v[54:55], v[60:61]
	v_div_fixup_f64 v[44:45], v[46:47], v[44:45], 1.0
	s_waitcnt vmcnt(2)
	v_fma_f64 v[46:47], v[42:43], v[56:57], v[40:41]
	v_fma_f64 v[40:41], -v[40:41], v[56:57], v[42:43]
	v_mul_f64 v[54:55], v[46:47], v[44:45]
	v_mul_f64 v[56:57], v[40:41], v[44:45]
                                        ; implicit-def: $vgpr60_vgpr61
                                        ; implicit-def: $vgpr40_vgpr41
.LBB128_128:                            ;   in Loop: Header=BB128_114 Depth=1
	s_andn2_saveexec_b64 s[0:1], s[0:1]
	s_cbranch_execz .LBB128_130
; %bb.129:                              ;   in Loop: Header=BB128_114 Depth=1
	s_waitcnt vmcnt(2)
	v_div_scale_f64 v[44:45], s[4:5], v[60:61], v[60:61], v[40:41]
	v_rcp_f64_e32 v[46:47], v[44:45]
	v_div_scale_f64 v[62:63], s[4:5], v[58:59], v[58:59], v[42:43]
	v_div_scale_f64 v[54:55], vcc, v[40:41], v[60:61], v[40:41]
	v_fma_f64 v[56:57], -v[44:45], v[46:47], 1.0
	v_fmac_f64_e32 v[46:47], v[46:47], v[56:57]
	v_fma_f64 v[56:57], -v[44:45], v[46:47], 1.0
	v_fmac_f64_e32 v[46:47], v[46:47], v[56:57]
	v_rcp_f64_e32 v[64:65], v[62:63]
	v_mul_f64 v[56:57], v[54:55], v[46:47]
	v_fma_f64 v[44:45], -v[44:45], v[56:57], v[54:55]
	v_div_fmas_f64 v[44:45], v[44:45], v[46:47], v[56:57]
	v_div_fixup_f64 v[54:55], v[44:45], v[60:61], v[40:41]
	v_fma_f64 v[40:41], -v[62:63], v[64:65], 1.0
	v_fmac_f64_e32 v[64:65], v[64:65], v[40:41]
	v_fma_f64 v[40:41], -v[62:63], v[64:65], 1.0
	v_fmac_f64_e32 v[64:65], v[64:65], v[40:41]
	v_div_scale_f64 v[40:41], vcc, v[42:43], v[58:59], v[42:43]
	v_mul_f64 v[44:45], v[40:41], v[64:65]
	v_fma_f64 v[40:41], -v[62:63], v[44:45], v[40:41]
	s_nop 1
	v_div_fmas_f64 v[40:41], v[40:41], v[64:65], v[44:45]
	v_div_fixup_f64 v[56:57], v[40:41], v[58:59], v[42:43]
.LBB128_130:                            ;   in Loop: Header=BB128_114 Depth=1
	s_or_b64 exec, exec, s[0:1]
                                        ; implicit-def: $vgpr46_vgpr47
                                        ; implicit-def: $vgpr40_vgpr41
.LBB128_131:                            ;   in Loop: Header=BB128_114 Depth=1
	s_andn2_saveexec_b64 s[0:1], s[2:3]
	s_cbranch_execz .LBB128_133
; %bb.132:                              ;   in Loop: Header=BB128_114 Depth=1
	v_div_scale_f64 v[54:55], s[2:3], v[46:47], v[46:47], v[44:45]
	v_rcp_f64_e32 v[56:57], v[54:55]
	v_div_scale_f64 v[58:59], vcc, v[44:45], v[46:47], v[44:45]
	v_fma_f64 v[60:61], -v[54:55], v[56:57], 1.0
	v_fmac_f64_e32 v[56:57], v[56:57], v[60:61]
	v_fma_f64 v[60:61], -v[54:55], v[56:57], 1.0
	v_fmac_f64_e32 v[56:57], v[56:57], v[60:61]
	v_mul_f64 v[60:61], v[58:59], v[56:57]
	v_fma_f64 v[54:55], -v[54:55], v[60:61], v[58:59]
	v_div_fmas_f64 v[54:55], v[54:55], v[56:57], v[60:61]
	v_div_fixup_f64 v[56:57], v[54:55], v[46:47], v[44:45]
	v_fmac_f64_e32 v[46:47], v[44:45], v[56:57]
	v_div_scale_f64 v[44:45], s[2:3], v[46:47], v[46:47], 1.0
	v_rcp_f64_e32 v[54:55], v[44:45]
	v_fma_f64 v[58:59], -v[44:45], v[54:55], 1.0
	v_fmac_f64_e32 v[54:55], v[54:55], v[58:59]
	v_fma_f64 v[58:59], -v[44:45], v[54:55], 1.0
	v_fmac_f64_e32 v[54:55], v[54:55], v[58:59]
	v_div_scale_f64 v[58:59], vcc, 1.0, v[46:47], 1.0
	v_mul_f64 v[60:61], v[58:59], v[54:55]
	v_fma_f64 v[44:45], -v[44:45], v[60:61], v[58:59]
	s_nop 1
	v_div_fmas_f64 v[44:45], v[44:45], v[54:55], v[60:61]
	v_div_fixup_f64 v[44:45], v[44:45], v[46:47], 1.0
	s_waitcnt vmcnt(2)
	v_fma_f64 v[46:47], v[40:41], v[56:57], v[42:43]
	v_fma_f64 v[40:41], v[42:43], v[56:57], -v[40:41]
	v_mul_f64 v[54:55], v[46:47], v[44:45]
	v_mul_f64 v[56:57], v[40:41], v[44:45]
.LBB128_133:                            ;   in Loop: Header=BB128_114 Depth=1
	s_or_b64 exec, exec, s[0:1]
.LBB128_134:                            ;   in Loop: Header=BB128_114 Depth=1
	s_waitcnt vmcnt(2)
	v_xor_b32_e32 v40, 0x80000000, v37
	v_cmp_gt_f64_e32 vcc, 0, v[36:37]
	v_cndmask_b32_e32 v47, v37, v40, vcc
	v_xor_b32_e32 v40, 0x80000000, v39
	v_cmp_gt_f64_e32 vcc, 0, v[38:39]
	v_mov_b32_e32 v46, v36
	v_cndmask_b32_e32 v45, v39, v40, vcc
	v_mov_b32_e32 v44, v38
	v_cndmask_b32_e64 v40, 0, 1, s[8:9]
	v_cmp_ne_u32_e64 s[0:1], 1, v40
	s_andn2_b64 vcc, exec, s[8:9]
	v_cmp_ge_f64_e64 s[2:3], v[46:47], v[44:45]
	s_cbranch_vccnz .LBB128_144
; %bb.135:                              ;   in Loop: Header=BB128_114 Depth=1
                                        ; implicit-def: $vgpr42_vgpr43
                                        ; implicit-def: $vgpr58_vgpr59
	s_and_saveexec_b64 s[4:5], s[2:3]
	s_xor_b64 s[12:13], exec, s[4:5]
	s_cbranch_execz .LBB128_141
; %bb.136:                              ;   in Loop: Header=BB128_114 Depth=1
	v_cmp_neq_f64_e32 vcc, 0, v[36:37]
	v_cmp_neq_f64_e64 s[4:5], 0, v[38:39]
	s_or_b64 s[4:5], vcc, s[4:5]
                                        ; implicit-def: $vgpr42_vgpr43
                                        ; implicit-def: $vgpr58_vgpr59
	s_and_saveexec_b64 s[24:25], s[4:5]
	s_xor_b64 s[4:5], exec, s[24:25]
	s_cbranch_execz .LBB128_138
; %bb.137:                              ;   in Loop: Header=BB128_114 Depth=1
	v_div_scale_f64 v[40:41], s[24:25], v[36:37], v[36:37], v[38:39]
	v_rcp_f64_e32 v[42:43], v[40:41]
	v_div_scale_f64 v[58:59], vcc, v[38:39], v[36:37], v[38:39]
	v_fma_f64 v[60:61], -v[40:41], v[42:43], 1.0
	v_fmac_f64_e32 v[42:43], v[42:43], v[60:61]
	v_fma_f64 v[60:61], -v[40:41], v[42:43], 1.0
	v_fmac_f64_e32 v[42:43], v[42:43], v[60:61]
	v_mul_f64 v[60:61], v[58:59], v[42:43]
	v_fma_f64 v[40:41], -v[40:41], v[60:61], v[58:59]
	v_div_fmas_f64 v[40:41], v[40:41], v[42:43], v[60:61]
	v_div_fixup_f64 v[40:41], v[40:41], v[36:37], v[38:39]
	v_fma_f64 v[42:43], v[38:39], v[40:41], v[36:37]
	v_div_scale_f64 v[58:59], s[24:25], v[42:43], v[42:43], 1.0
	v_rcp_f64_e32 v[60:61], v[58:59]
	v_fma_f64 v[62:63], -v[58:59], v[60:61], 1.0
	v_fmac_f64_e32 v[60:61], v[60:61], v[62:63]
	v_fma_f64 v[62:63], -v[58:59], v[60:61], 1.0
	v_fmac_f64_e32 v[60:61], v[60:61], v[62:63]
	v_div_scale_f64 v[62:63], vcc, 1.0, v[42:43], 1.0
	v_mul_f64 v[64:65], v[62:63], v[60:61]
	v_fma_f64 v[58:59], -v[58:59], v[64:65], v[62:63]
	s_nop 1
	v_div_fmas_f64 v[58:59], v[58:59], v[60:61], v[64:65]
	v_div_fixup_f64 v[42:43], v[58:59], v[42:43], 1.0
	v_fma_f64 v[58:59], v[34:35], v[40:41], v[32:33]
	v_fma_f64 v[40:41], -v[32:33], v[40:41], v[34:35]
	v_mul_f64 v[58:59], v[58:59], v[42:43]
	v_mul_f64 v[42:43], v[40:41], v[42:43]
.LBB128_138:                            ;   in Loop: Header=BB128_114 Depth=1
	s_andn2_saveexec_b64 s[4:5], s[4:5]
	s_cbranch_execz .LBB128_140
; %bb.139:                              ;   in Loop: Header=BB128_114 Depth=1
	v_div_scale_f64 v[40:41], s[24:25], v[46:47], v[46:47], v[32:33]
	v_rcp_f64_e32 v[42:43], v[40:41]
	v_div_scale_f64 v[62:63], s[24:25], v[44:45], v[44:45], v[34:35]
	v_div_scale_f64 v[58:59], vcc, v[32:33], v[46:47], v[32:33]
	v_fma_f64 v[60:61], -v[40:41], v[42:43], 1.0
	v_fmac_f64_e32 v[42:43], v[42:43], v[60:61]
	v_fma_f64 v[60:61], -v[40:41], v[42:43], 1.0
	v_fmac_f64_e32 v[42:43], v[42:43], v[60:61]
	v_rcp_f64_e32 v[64:65], v[62:63]
	v_mul_f64 v[60:61], v[58:59], v[42:43]
	v_fma_f64 v[40:41], -v[40:41], v[60:61], v[58:59]
	v_div_fmas_f64 v[40:41], v[40:41], v[42:43], v[60:61]
	v_div_fixup_f64 v[58:59], v[40:41], v[46:47], v[32:33]
	v_fma_f64 v[40:41], -v[62:63], v[64:65], 1.0
	v_fmac_f64_e32 v[64:65], v[64:65], v[40:41]
	v_fma_f64 v[40:41], -v[62:63], v[64:65], 1.0
	v_fmac_f64_e32 v[64:65], v[64:65], v[40:41]
	v_div_scale_f64 v[40:41], vcc, v[34:35], v[44:45], v[34:35]
	v_mul_f64 v[42:43], v[40:41], v[64:65]
	v_fma_f64 v[40:41], -v[62:63], v[42:43], v[40:41]
	s_nop 1
	v_div_fmas_f64 v[40:41], v[40:41], v[64:65], v[42:43]
	v_div_fixup_f64 v[42:43], v[40:41], v[44:45], v[34:35]
.LBB128_140:                            ;   in Loop: Header=BB128_114 Depth=1
	s_or_b64 exec, exec, s[4:5]
.LBB128_141:                            ;   in Loop: Header=BB128_114 Depth=1
	s_andn2_saveexec_b64 s[4:5], s[12:13]
	s_cbranch_execz .LBB128_143
; %bb.142:                              ;   in Loop: Header=BB128_114 Depth=1
	v_div_scale_f64 v[40:41], s[12:13], v[38:39], v[38:39], v[36:37]
	v_rcp_f64_e32 v[42:43], v[40:41]
	v_div_scale_f64 v[58:59], vcc, v[36:37], v[38:39], v[36:37]
	v_fma_f64 v[60:61], -v[40:41], v[42:43], 1.0
	v_fmac_f64_e32 v[42:43], v[42:43], v[60:61]
	v_fma_f64 v[60:61], -v[40:41], v[42:43], 1.0
	v_fmac_f64_e32 v[42:43], v[42:43], v[60:61]
	v_mul_f64 v[60:61], v[58:59], v[42:43]
	v_fma_f64 v[40:41], -v[40:41], v[60:61], v[58:59]
	v_div_fmas_f64 v[40:41], v[40:41], v[42:43], v[60:61]
	v_div_fixup_f64 v[40:41], v[40:41], v[38:39], v[36:37]
	v_fma_f64 v[42:43], v[36:37], v[40:41], v[38:39]
	v_div_scale_f64 v[58:59], s[12:13], v[42:43], v[42:43], 1.0
	v_rcp_f64_e32 v[60:61], v[58:59]
	v_fma_f64 v[62:63], -v[58:59], v[60:61], 1.0
	v_fmac_f64_e32 v[60:61], v[60:61], v[62:63]
	v_fma_f64 v[62:63], -v[58:59], v[60:61], 1.0
	v_fmac_f64_e32 v[60:61], v[60:61], v[62:63]
	v_div_scale_f64 v[62:63], vcc, 1.0, v[42:43], 1.0
	v_mul_f64 v[64:65], v[62:63], v[60:61]
	v_fma_f64 v[58:59], -v[58:59], v[64:65], v[62:63]
	s_nop 1
	v_div_fmas_f64 v[58:59], v[58:59], v[60:61], v[64:65]
	v_div_fixup_f64 v[42:43], v[58:59], v[42:43], 1.0
	v_fma_f64 v[58:59], v[32:33], v[40:41], v[34:35]
	v_fma_f64 v[40:41], v[34:35], v[40:41], -v[32:33]
	v_mul_f64 v[58:59], v[58:59], v[42:43]
	v_mul_f64 v[42:43], v[40:41], v[42:43]
.LBB128_143:                            ;   in Loop: Header=BB128_114 Depth=1
	s_or_b64 exec, exec, s[4:5]
	v_mul_f64 v[40:41], s[18:19], v[42:43]
	v_mul_f64 v[42:43], s[16:17], v[42:43]
	v_fma_f64 v[40:41], s[16:17], v[58:59], -v[40:41]
	v_fmac_f64_e32 v[42:43], s[18:19], v[58:59]
	s_branch .LBB128_154
.LBB128_144:                            ;   in Loop: Header=BB128_114 Depth=1
                                        ; implicit-def: $vgpr42_vgpr43
                                        ; implicit-def: $vgpr40_vgpr41
	s_cbranch_execz .LBB128_154
; %bb.145:                              ;   in Loop: Header=BB128_114 Depth=1
                                        ; implicit-def: $vgpr42_vgpr43
                                        ; implicit-def: $vgpr40_vgpr41
	s_and_saveexec_b64 s[4:5], s[2:3]
	s_xor_b64 s[4:5], exec, s[4:5]
	s_cbranch_execz .LBB128_151
; %bb.146:                              ;   in Loop: Header=BB128_114 Depth=1
	v_cmp_neq_f64_e32 vcc, 0, v[36:37]
	v_cmp_neq_f64_e64 s[2:3], 0, v[38:39]
	s_or_b64 s[2:3], vcc, s[2:3]
                                        ; implicit-def: $vgpr42_vgpr43
                                        ; implicit-def: $vgpr40_vgpr41
	s_and_saveexec_b64 s[12:13], s[2:3]
	s_xor_b64 s[2:3], exec, s[12:13]
	s_cbranch_execz .LBB128_148
; %bb.147:                              ;   in Loop: Header=BB128_114 Depth=1
	v_div_scale_f64 v[40:41], s[12:13], v[36:37], v[36:37], v[38:39]
	v_rcp_f64_e32 v[42:43], v[40:41]
	v_div_scale_f64 v[44:45], vcc, v[38:39], v[36:37], v[38:39]
	v_fma_f64 v[46:47], -v[40:41], v[42:43], 1.0
	v_fmac_f64_e32 v[42:43], v[42:43], v[46:47]
	v_fma_f64 v[46:47], -v[40:41], v[42:43], 1.0
	v_fmac_f64_e32 v[42:43], v[42:43], v[46:47]
	v_mul_f64 v[46:47], v[44:45], v[42:43]
	v_fma_f64 v[40:41], -v[40:41], v[46:47], v[44:45]
	v_div_fmas_f64 v[40:41], v[40:41], v[42:43], v[46:47]
	v_div_fixup_f64 v[42:43], v[40:41], v[36:37], v[38:39]
	v_fmac_f64_e32 v[36:37], v[38:39], v[42:43]
	v_div_scale_f64 v[38:39], s[12:13], v[36:37], v[36:37], 1.0
	v_rcp_f64_e32 v[40:41], v[38:39]
	v_fma_f64 v[44:45], -v[38:39], v[40:41], 1.0
	v_fmac_f64_e32 v[40:41], v[40:41], v[44:45]
	v_fma_f64 v[44:45], -v[38:39], v[40:41], 1.0
	v_fmac_f64_e32 v[40:41], v[40:41], v[44:45]
	v_div_scale_f64 v[44:45], vcc, 1.0, v[36:37], 1.0
	v_mul_f64 v[46:47], v[44:45], v[40:41]
	v_fma_f64 v[38:39], -v[38:39], v[46:47], v[44:45]
                                        ; implicit-def: $vgpr44_vgpr45
	s_nop 1
	v_div_fmas_f64 v[38:39], v[38:39], v[40:41], v[46:47]
	v_div_fixup_f64 v[36:37], v[38:39], v[36:37], 1.0
	v_fma_f64 v[38:39], v[34:35], v[42:43], v[32:33]
	v_fma_f64 v[32:33], -v[32:33], v[42:43], v[34:35]
	v_mul_f64 v[40:41], v[38:39], v[36:37]
	v_mul_f64 v[42:43], v[32:33], v[36:37]
                                        ; implicit-def: $vgpr46_vgpr47
                                        ; implicit-def: $vgpr32_vgpr33
.LBB128_148:                            ;   in Loop: Header=BB128_114 Depth=1
	s_andn2_saveexec_b64 s[2:3], s[2:3]
	s_cbranch_execz .LBB128_150
; %bb.149:                              ;   in Loop: Header=BB128_114 Depth=1
	v_div_scale_f64 v[36:37], s[12:13], v[46:47], v[46:47], v[32:33]
	v_rcp_f64_e32 v[38:39], v[36:37]
	v_div_scale_f64 v[58:59], s[12:13], v[44:45], v[44:45], v[34:35]
	v_div_scale_f64 v[40:41], vcc, v[32:33], v[46:47], v[32:33]
	v_fma_f64 v[42:43], -v[36:37], v[38:39], 1.0
	v_fmac_f64_e32 v[38:39], v[38:39], v[42:43]
	v_fma_f64 v[42:43], -v[36:37], v[38:39], 1.0
	v_fmac_f64_e32 v[38:39], v[38:39], v[42:43]
	v_rcp_f64_e32 v[60:61], v[58:59]
	v_mul_f64 v[42:43], v[40:41], v[38:39]
	v_fma_f64 v[36:37], -v[36:37], v[42:43], v[40:41]
	v_div_fmas_f64 v[36:37], v[36:37], v[38:39], v[42:43]
	v_div_fixup_f64 v[40:41], v[36:37], v[46:47], v[32:33]
	v_fma_f64 v[32:33], -v[58:59], v[60:61], 1.0
	v_fmac_f64_e32 v[60:61], v[60:61], v[32:33]
	v_fma_f64 v[32:33], -v[58:59], v[60:61], 1.0
	v_fmac_f64_e32 v[60:61], v[60:61], v[32:33]
	v_div_scale_f64 v[32:33], vcc, v[34:35], v[44:45], v[34:35]
	v_mul_f64 v[36:37], v[32:33], v[60:61]
	v_fma_f64 v[32:33], -v[58:59], v[36:37], v[32:33]
	s_nop 1
	v_div_fmas_f64 v[32:33], v[32:33], v[60:61], v[36:37]
	v_div_fixup_f64 v[42:43], v[32:33], v[44:45], v[34:35]
.LBB128_150:                            ;   in Loop: Header=BB128_114 Depth=1
	s_or_b64 exec, exec, s[2:3]
                                        ; implicit-def: $vgpr38_vgpr39
                                        ; implicit-def: $vgpr32_vgpr33
.LBB128_151:                            ;   in Loop: Header=BB128_114 Depth=1
	s_andn2_saveexec_b64 s[2:3], s[4:5]
	s_cbranch_execz .LBB128_153
; %bb.152:                              ;   in Loop: Header=BB128_114 Depth=1
	v_div_scale_f64 v[40:41], s[4:5], v[38:39], v[38:39], v[36:37]
	v_rcp_f64_e32 v[42:43], v[40:41]
	v_div_scale_f64 v[44:45], vcc, v[36:37], v[38:39], v[36:37]
	v_fma_f64 v[46:47], -v[40:41], v[42:43], 1.0
	v_fmac_f64_e32 v[42:43], v[42:43], v[46:47]
	v_fma_f64 v[46:47], -v[40:41], v[42:43], 1.0
	v_fmac_f64_e32 v[42:43], v[42:43], v[46:47]
	v_mul_f64 v[46:47], v[44:45], v[42:43]
	v_fma_f64 v[40:41], -v[40:41], v[46:47], v[44:45]
	v_div_fmas_f64 v[40:41], v[40:41], v[42:43], v[46:47]
	v_div_fixup_f64 v[42:43], v[40:41], v[38:39], v[36:37]
	v_fmac_f64_e32 v[38:39], v[36:37], v[42:43]
	v_div_scale_f64 v[36:37], s[4:5], v[38:39], v[38:39], 1.0
	v_rcp_f64_e32 v[40:41], v[36:37]
	v_fma_f64 v[44:45], -v[36:37], v[40:41], 1.0
	v_fmac_f64_e32 v[40:41], v[40:41], v[44:45]
	v_fma_f64 v[44:45], -v[36:37], v[40:41], 1.0
	v_fmac_f64_e32 v[40:41], v[40:41], v[44:45]
	v_div_scale_f64 v[44:45], vcc, 1.0, v[38:39], 1.0
	v_mul_f64 v[46:47], v[44:45], v[40:41]
	v_fma_f64 v[36:37], -v[36:37], v[46:47], v[44:45]
	s_nop 1
	v_div_fmas_f64 v[36:37], v[36:37], v[40:41], v[46:47]
	v_div_fixup_f64 v[36:37], v[36:37], v[38:39], 1.0
	v_fma_f64 v[38:39], v[32:33], v[42:43], v[34:35]
	v_fma_f64 v[32:33], v[34:35], v[42:43], -v[32:33]
	v_mul_f64 v[40:41], v[38:39], v[36:37]
	v_mul_f64 v[42:43], v[32:33], v[36:37]
.LBB128_153:                            ;   in Loop: Header=BB128_114 Depth=1
	s_or_b64 exec, exec, s[2:3]
.LBB128_154:                            ;   in Loop: Header=BB128_114 Depth=1
	s_waitcnt vmcnt(0)
	v_xor_b32_e32 v32, 0x80000000, v29
	v_cmp_gt_f64_e32 vcc, 0, v[28:29]
	v_cndmask_b32_e32 v39, v29, v32, vcc
	v_xor_b32_e32 v32, 0x80000000, v31
	v_cmp_gt_f64_e32 vcc, 0, v[30:31]
	v_mov_b32_e32 v38, v28
	v_cndmask_b32_e32 v37, v31, v32, vcc
	v_mov_b32_e32 v36, v30
	s_and_b64 vcc, exec, s[0:1]
	v_cmp_ge_f64_e64 s[2:3], v[38:39], v[36:37]
	s_cbranch_vccnz .LBB128_164
; %bb.155:                              ;   in Loop: Header=BB128_114 Depth=1
                                        ; implicit-def: $vgpr34_vgpr35
                                        ; implicit-def: $vgpr44_vgpr45
	s_and_saveexec_b64 s[4:5], s[2:3]
	s_xor_b64 s[12:13], exec, s[4:5]
	s_cbranch_execz .LBB128_161
; %bb.156:                              ;   in Loop: Header=BB128_114 Depth=1
	v_cmp_neq_f64_e32 vcc, 0, v[28:29]
	v_cmp_neq_f64_e64 s[4:5], 0, v[30:31]
	s_or_b64 s[4:5], vcc, s[4:5]
                                        ; implicit-def: $vgpr34_vgpr35
                                        ; implicit-def: $vgpr44_vgpr45
	s_and_saveexec_b64 s[24:25], s[4:5]
	s_xor_b64 s[4:5], exec, s[24:25]
	s_cbranch_execz .LBB128_158
; %bb.157:                              ;   in Loop: Header=BB128_114 Depth=1
	v_div_scale_f64 v[32:33], s[24:25], v[28:29], v[28:29], v[30:31]
	v_rcp_f64_e32 v[34:35], v[32:33]
	v_div_scale_f64 v[44:45], vcc, v[30:31], v[28:29], v[30:31]
	v_fma_f64 v[46:47], -v[32:33], v[34:35], 1.0
	v_fmac_f64_e32 v[34:35], v[34:35], v[46:47]
	v_fma_f64 v[46:47], -v[32:33], v[34:35], 1.0
	v_fmac_f64_e32 v[34:35], v[34:35], v[46:47]
	v_mul_f64 v[46:47], v[44:45], v[34:35]
	v_fma_f64 v[32:33], -v[32:33], v[46:47], v[44:45]
	v_div_fmas_f64 v[32:33], v[32:33], v[34:35], v[46:47]
	v_div_fixup_f64 v[32:33], v[32:33], v[28:29], v[30:31]
	v_fma_f64 v[34:35], v[30:31], v[32:33], v[28:29]
	v_div_scale_f64 v[44:45], s[24:25], v[34:35], v[34:35], 1.0
	v_rcp_f64_e32 v[46:47], v[44:45]
	v_fma_f64 v[58:59], -v[44:45], v[46:47], 1.0
	v_fmac_f64_e32 v[46:47], v[46:47], v[58:59]
	v_fma_f64 v[58:59], -v[44:45], v[46:47], 1.0
	v_fmac_f64_e32 v[46:47], v[46:47], v[58:59]
	v_div_scale_f64 v[58:59], vcc, 1.0, v[34:35], 1.0
	v_mul_f64 v[60:61], v[58:59], v[46:47]
	v_fma_f64 v[44:45], -v[44:45], v[60:61], v[58:59]
	s_nop 1
	v_div_fmas_f64 v[44:45], v[44:45], v[46:47], v[60:61]
	v_div_fixup_f64 v[34:35], v[44:45], v[34:35], 1.0
	v_fma_f64 v[44:45], v[26:27], v[32:33], v[24:25]
	v_fma_f64 v[32:33], -v[24:25], v[32:33], v[26:27]
	v_mul_f64 v[44:45], v[44:45], v[34:35]
	v_mul_f64 v[34:35], v[32:33], v[34:35]
.LBB128_158:                            ;   in Loop: Header=BB128_114 Depth=1
	s_andn2_saveexec_b64 s[4:5], s[4:5]
	s_cbranch_execz .LBB128_160
; %bb.159:                              ;   in Loop: Header=BB128_114 Depth=1
	v_div_scale_f64 v[32:33], s[24:25], v[38:39], v[38:39], v[24:25]
	v_rcp_f64_e32 v[34:35], v[32:33]
	v_div_scale_f64 v[58:59], s[24:25], v[36:37], v[36:37], v[26:27]
	v_div_scale_f64 v[44:45], vcc, v[24:25], v[38:39], v[24:25]
	v_fma_f64 v[46:47], -v[32:33], v[34:35], 1.0
	v_fmac_f64_e32 v[34:35], v[34:35], v[46:47]
	v_fma_f64 v[46:47], -v[32:33], v[34:35], 1.0
	v_fmac_f64_e32 v[34:35], v[34:35], v[46:47]
	v_rcp_f64_e32 v[60:61], v[58:59]
	v_mul_f64 v[46:47], v[44:45], v[34:35]
	v_fma_f64 v[32:33], -v[32:33], v[46:47], v[44:45]
	v_div_fmas_f64 v[32:33], v[32:33], v[34:35], v[46:47]
	v_div_fixup_f64 v[44:45], v[32:33], v[38:39], v[24:25]
	v_fma_f64 v[32:33], -v[58:59], v[60:61], 1.0
	v_fmac_f64_e32 v[60:61], v[60:61], v[32:33]
	v_fma_f64 v[32:33], -v[58:59], v[60:61], 1.0
	v_fmac_f64_e32 v[60:61], v[60:61], v[32:33]
	v_div_scale_f64 v[32:33], vcc, v[26:27], v[36:37], v[26:27]
	v_mul_f64 v[34:35], v[32:33], v[60:61]
	v_fma_f64 v[32:33], -v[58:59], v[34:35], v[32:33]
	s_nop 1
	v_div_fmas_f64 v[32:33], v[32:33], v[60:61], v[34:35]
	v_div_fixup_f64 v[34:35], v[32:33], v[36:37], v[26:27]
.LBB128_160:                            ;   in Loop: Header=BB128_114 Depth=1
	s_or_b64 exec, exec, s[4:5]
.LBB128_161:                            ;   in Loop: Header=BB128_114 Depth=1
	s_andn2_saveexec_b64 s[4:5], s[12:13]
	s_cbranch_execz .LBB128_163
; %bb.162:                              ;   in Loop: Header=BB128_114 Depth=1
	v_div_scale_f64 v[32:33], s[12:13], v[30:31], v[30:31], v[28:29]
	v_rcp_f64_e32 v[34:35], v[32:33]
	v_div_scale_f64 v[44:45], vcc, v[28:29], v[30:31], v[28:29]
	v_fma_f64 v[46:47], -v[32:33], v[34:35], 1.0
	v_fmac_f64_e32 v[34:35], v[34:35], v[46:47]
	v_fma_f64 v[46:47], -v[32:33], v[34:35], 1.0
	v_fmac_f64_e32 v[34:35], v[34:35], v[46:47]
	v_mul_f64 v[46:47], v[44:45], v[34:35]
	v_fma_f64 v[32:33], -v[32:33], v[46:47], v[44:45]
	v_div_fmas_f64 v[32:33], v[32:33], v[34:35], v[46:47]
	v_div_fixup_f64 v[32:33], v[32:33], v[30:31], v[28:29]
	v_fma_f64 v[34:35], v[28:29], v[32:33], v[30:31]
	v_div_scale_f64 v[44:45], s[12:13], v[34:35], v[34:35], 1.0
	v_rcp_f64_e32 v[46:47], v[44:45]
	v_fma_f64 v[58:59], -v[44:45], v[46:47], 1.0
	v_fmac_f64_e32 v[46:47], v[46:47], v[58:59]
	v_fma_f64 v[58:59], -v[44:45], v[46:47], 1.0
	v_fmac_f64_e32 v[46:47], v[46:47], v[58:59]
	v_div_scale_f64 v[58:59], vcc, 1.0, v[34:35], 1.0
	v_mul_f64 v[60:61], v[58:59], v[46:47]
	v_fma_f64 v[44:45], -v[44:45], v[60:61], v[58:59]
	s_nop 1
	v_div_fmas_f64 v[44:45], v[44:45], v[46:47], v[60:61]
	v_div_fixup_f64 v[34:35], v[44:45], v[34:35], 1.0
	v_fma_f64 v[44:45], v[24:25], v[32:33], v[26:27]
	v_fma_f64 v[32:33], v[26:27], v[32:33], -v[24:25]
	v_mul_f64 v[44:45], v[44:45], v[34:35]
	v_mul_f64 v[34:35], v[32:33], v[34:35]
.LBB128_163:                            ;   in Loop: Header=BB128_114 Depth=1
	s_or_b64 exec, exec, s[4:5]
	v_mul_f64 v[32:33], s[18:19], v[34:35]
	v_mul_f64 v[34:35], s[16:17], v[34:35]
	v_fma_f64 v[32:33], s[16:17], v[44:45], -v[32:33]
	v_fmac_f64_e32 v[34:35], s[18:19], v[44:45]
	s_branch .LBB128_174
.LBB128_164:                            ;   in Loop: Header=BB128_114 Depth=1
                                        ; implicit-def: $vgpr34_vgpr35
                                        ; implicit-def: $vgpr32_vgpr33
	s_cbranch_execz .LBB128_174
; %bb.165:                              ;   in Loop: Header=BB128_114 Depth=1
                                        ; implicit-def: $vgpr34_vgpr35
                                        ; implicit-def: $vgpr32_vgpr33
	s_and_saveexec_b64 s[4:5], s[2:3]
	s_xor_b64 s[4:5], exec, s[4:5]
	s_cbranch_execz .LBB128_171
; %bb.166:                              ;   in Loop: Header=BB128_114 Depth=1
	v_cmp_neq_f64_e32 vcc, 0, v[28:29]
	v_cmp_neq_f64_e64 s[2:3], 0, v[30:31]
	s_or_b64 s[2:3], vcc, s[2:3]
                                        ; implicit-def: $vgpr34_vgpr35
                                        ; implicit-def: $vgpr32_vgpr33
	s_and_saveexec_b64 s[12:13], s[2:3]
	s_xor_b64 s[2:3], exec, s[12:13]
	s_cbranch_execz .LBB128_168
; %bb.167:                              ;   in Loop: Header=BB128_114 Depth=1
	v_div_scale_f64 v[32:33], s[12:13], v[28:29], v[28:29], v[30:31]
	v_rcp_f64_e32 v[34:35], v[32:33]
	v_div_scale_f64 v[36:37], vcc, v[30:31], v[28:29], v[30:31]
	v_fma_f64 v[38:39], -v[32:33], v[34:35], 1.0
	v_fmac_f64_e32 v[34:35], v[34:35], v[38:39]
	v_fma_f64 v[38:39], -v[32:33], v[34:35], 1.0
	v_fmac_f64_e32 v[34:35], v[34:35], v[38:39]
	v_mul_f64 v[38:39], v[36:37], v[34:35]
	v_fma_f64 v[32:33], -v[32:33], v[38:39], v[36:37]
	v_div_fmas_f64 v[32:33], v[32:33], v[34:35], v[38:39]
	v_div_fixup_f64 v[34:35], v[32:33], v[28:29], v[30:31]
	v_fmac_f64_e32 v[28:29], v[30:31], v[34:35]
	v_div_scale_f64 v[30:31], s[12:13], v[28:29], v[28:29], 1.0
	v_rcp_f64_e32 v[32:33], v[30:31]
	v_fma_f64 v[36:37], -v[30:31], v[32:33], 1.0
	v_fmac_f64_e32 v[32:33], v[32:33], v[36:37]
	v_fma_f64 v[36:37], -v[30:31], v[32:33], 1.0
	v_fmac_f64_e32 v[32:33], v[32:33], v[36:37]
	v_div_scale_f64 v[36:37], vcc, 1.0, v[28:29], 1.0
	v_mul_f64 v[38:39], v[36:37], v[32:33]
	v_fma_f64 v[30:31], -v[30:31], v[38:39], v[36:37]
                                        ; implicit-def: $vgpr36_vgpr37
	s_nop 1
	v_div_fmas_f64 v[30:31], v[30:31], v[32:33], v[38:39]
	v_div_fixup_f64 v[28:29], v[30:31], v[28:29], 1.0
	v_fma_f64 v[30:31], v[26:27], v[34:35], v[24:25]
	v_fma_f64 v[24:25], -v[24:25], v[34:35], v[26:27]
	v_mul_f64 v[32:33], v[30:31], v[28:29]
	v_mul_f64 v[34:35], v[24:25], v[28:29]
                                        ; implicit-def: $vgpr38_vgpr39
                                        ; implicit-def: $vgpr24_vgpr25
.LBB128_168:                            ;   in Loop: Header=BB128_114 Depth=1
	s_andn2_saveexec_b64 s[2:3], s[2:3]
	s_cbranch_execz .LBB128_170
; %bb.169:                              ;   in Loop: Header=BB128_114 Depth=1
	v_div_scale_f64 v[28:29], s[12:13], v[38:39], v[38:39], v[24:25]
	v_rcp_f64_e32 v[30:31], v[28:29]
	v_div_scale_f64 v[44:45], s[12:13], v[36:37], v[36:37], v[26:27]
	v_div_scale_f64 v[32:33], vcc, v[24:25], v[38:39], v[24:25]
	v_fma_f64 v[34:35], -v[28:29], v[30:31], 1.0
	v_fmac_f64_e32 v[30:31], v[30:31], v[34:35]
	v_fma_f64 v[34:35], -v[28:29], v[30:31], 1.0
	v_fmac_f64_e32 v[30:31], v[30:31], v[34:35]
	v_rcp_f64_e32 v[46:47], v[44:45]
	v_mul_f64 v[34:35], v[32:33], v[30:31]
	v_fma_f64 v[28:29], -v[28:29], v[34:35], v[32:33]
	v_div_fmas_f64 v[28:29], v[28:29], v[30:31], v[34:35]
	v_div_fixup_f64 v[32:33], v[28:29], v[38:39], v[24:25]
	v_fma_f64 v[24:25], -v[44:45], v[46:47], 1.0
	v_fmac_f64_e32 v[46:47], v[46:47], v[24:25]
	v_fma_f64 v[24:25], -v[44:45], v[46:47], 1.0
	v_fmac_f64_e32 v[46:47], v[46:47], v[24:25]
	v_div_scale_f64 v[24:25], vcc, v[26:27], v[36:37], v[26:27]
	v_mul_f64 v[28:29], v[24:25], v[46:47]
	v_fma_f64 v[24:25], -v[44:45], v[28:29], v[24:25]
	s_nop 1
	v_div_fmas_f64 v[24:25], v[24:25], v[46:47], v[28:29]
	v_div_fixup_f64 v[34:35], v[24:25], v[36:37], v[26:27]
.LBB128_170:                            ;   in Loop: Header=BB128_114 Depth=1
	s_or_b64 exec, exec, s[2:3]
                                        ; implicit-def: $vgpr30_vgpr31
                                        ; implicit-def: $vgpr24_vgpr25
.LBB128_171:                            ;   in Loop: Header=BB128_114 Depth=1
	s_andn2_saveexec_b64 s[2:3], s[4:5]
	s_cbranch_execz .LBB128_173
; %bb.172:                              ;   in Loop: Header=BB128_114 Depth=1
	v_div_scale_f64 v[32:33], s[4:5], v[30:31], v[30:31], v[28:29]
	v_rcp_f64_e32 v[34:35], v[32:33]
	v_div_scale_f64 v[36:37], vcc, v[28:29], v[30:31], v[28:29]
	v_fma_f64 v[38:39], -v[32:33], v[34:35], 1.0
	v_fmac_f64_e32 v[34:35], v[34:35], v[38:39]
	v_fma_f64 v[38:39], -v[32:33], v[34:35], 1.0
	v_fmac_f64_e32 v[34:35], v[34:35], v[38:39]
	v_mul_f64 v[38:39], v[36:37], v[34:35]
	v_fma_f64 v[32:33], -v[32:33], v[38:39], v[36:37]
	v_div_fmas_f64 v[32:33], v[32:33], v[34:35], v[38:39]
	v_div_fixup_f64 v[34:35], v[32:33], v[30:31], v[28:29]
	v_fmac_f64_e32 v[30:31], v[28:29], v[34:35]
	v_div_scale_f64 v[28:29], s[4:5], v[30:31], v[30:31], 1.0
	v_rcp_f64_e32 v[32:33], v[28:29]
	v_fma_f64 v[36:37], -v[28:29], v[32:33], 1.0
	v_fmac_f64_e32 v[32:33], v[32:33], v[36:37]
	v_fma_f64 v[36:37], -v[28:29], v[32:33], 1.0
	v_fmac_f64_e32 v[32:33], v[32:33], v[36:37]
	v_div_scale_f64 v[36:37], vcc, 1.0, v[30:31], 1.0
	v_mul_f64 v[38:39], v[36:37], v[32:33]
	v_fma_f64 v[28:29], -v[28:29], v[38:39], v[36:37]
	s_nop 1
	v_div_fmas_f64 v[28:29], v[28:29], v[32:33], v[38:39]
	v_div_fixup_f64 v[28:29], v[28:29], v[30:31], 1.0
	v_fma_f64 v[30:31], v[24:25], v[34:35], v[26:27]
	v_fma_f64 v[24:25], v[26:27], v[34:35], -v[24:25]
	v_mul_f64 v[32:33], v[30:31], v[28:29]
	v_mul_f64 v[34:35], v[24:25], v[28:29]
.LBB128_173:                            ;   in Loop: Header=BB128_114 Depth=1
	s_or_b64 exec, exec, s[2:3]
.LBB128_174:                            ;   in Loop: Header=BB128_114 Depth=1
	v_xor_b32_e32 v24, 0x80000000, v21
	v_cmp_gt_f64_e32 vcc, 0, v[20:21]
	v_cndmask_b32_e32 v27, v21, v24, vcc
	v_xor_b32_e32 v24, 0x80000000, v23
	v_cmp_gt_f64_e32 vcc, 0, v[22:23]
	v_mov_b32_e32 v26, v20
	v_cndmask_b32_e32 v25, v23, v24, vcc
	v_mov_b32_e32 v24, v22
	s_and_b64 vcc, exec, s[0:1]
	v_cmp_ge_f64_e64 s[0:1], v[26:27], v[24:25]
	s_cbranch_vccnz .LBB128_184
; %bb.175:                              ;   in Loop: Header=BB128_114 Depth=1
                                        ; implicit-def: $vgpr30_vgpr31
                                        ; implicit-def: $vgpr36_vgpr37
	s_and_saveexec_b64 s[2:3], s[0:1]
	s_xor_b64 s[4:5], exec, s[2:3]
	s_cbranch_execz .LBB128_181
; %bb.176:                              ;   in Loop: Header=BB128_114 Depth=1
	v_cmp_neq_f64_e32 vcc, 0, v[20:21]
	v_cmp_neq_f64_e64 s[2:3], 0, v[22:23]
	s_or_b64 s[2:3], vcc, s[2:3]
                                        ; implicit-def: $vgpr30_vgpr31
                                        ; implicit-def: $vgpr36_vgpr37
	s_and_saveexec_b64 s[12:13], s[2:3]
	s_xor_b64 s[2:3], exec, s[12:13]
	s_cbranch_execz .LBB128_178
; %bb.177:                              ;   in Loop: Header=BB128_114 Depth=1
	v_div_scale_f64 v[28:29], s[12:13], v[20:21], v[20:21], v[22:23]
	v_rcp_f64_e32 v[30:31], v[28:29]
	v_div_scale_f64 v[36:37], vcc, v[22:23], v[20:21], v[22:23]
	v_fma_f64 v[38:39], -v[28:29], v[30:31], 1.0
	v_fmac_f64_e32 v[30:31], v[30:31], v[38:39]
	v_fma_f64 v[38:39], -v[28:29], v[30:31], 1.0
	v_fmac_f64_e32 v[30:31], v[30:31], v[38:39]
	v_mul_f64 v[38:39], v[36:37], v[30:31]
	v_fma_f64 v[28:29], -v[28:29], v[38:39], v[36:37]
	v_div_fmas_f64 v[28:29], v[28:29], v[30:31], v[38:39]
	v_div_fixup_f64 v[28:29], v[28:29], v[20:21], v[22:23]
	v_fma_f64 v[30:31], v[22:23], v[28:29], v[20:21]
	v_div_scale_f64 v[36:37], s[12:13], v[30:31], v[30:31], 1.0
	v_rcp_f64_e32 v[38:39], v[36:37]
	v_fma_f64 v[44:45], -v[36:37], v[38:39], 1.0
	v_fmac_f64_e32 v[38:39], v[38:39], v[44:45]
	v_fma_f64 v[44:45], -v[36:37], v[38:39], 1.0
	v_fmac_f64_e32 v[38:39], v[38:39], v[44:45]
	v_div_scale_f64 v[44:45], vcc, 1.0, v[30:31], 1.0
	v_mul_f64 v[46:47], v[44:45], v[38:39]
	v_fma_f64 v[36:37], -v[36:37], v[46:47], v[44:45]
	s_nop 1
	v_div_fmas_f64 v[36:37], v[36:37], v[38:39], v[46:47]
	v_div_fixup_f64 v[30:31], v[36:37], v[30:31], 1.0
	v_fma_f64 v[36:37], v[18:19], v[28:29], v[16:17]
	v_fma_f64 v[28:29], -v[16:17], v[28:29], v[18:19]
	v_mul_f64 v[36:37], v[36:37], v[30:31]
	v_mul_f64 v[30:31], v[28:29], v[30:31]
.LBB128_178:                            ;   in Loop: Header=BB128_114 Depth=1
	s_andn2_saveexec_b64 s[2:3], s[2:3]
	s_cbranch_execz .LBB128_180
; %bb.179:                              ;   in Loop: Header=BB128_114 Depth=1
	v_div_scale_f64 v[28:29], s[12:13], v[26:27], v[26:27], v[16:17]
	v_rcp_f64_e32 v[30:31], v[28:29]
	v_div_scale_f64 v[44:45], s[12:13], v[24:25], v[24:25], v[18:19]
	v_div_scale_f64 v[36:37], vcc, v[16:17], v[26:27], v[16:17]
	v_fma_f64 v[38:39], -v[28:29], v[30:31], 1.0
	v_fmac_f64_e32 v[30:31], v[30:31], v[38:39]
	v_fma_f64 v[38:39], -v[28:29], v[30:31], 1.0
	v_fmac_f64_e32 v[30:31], v[30:31], v[38:39]
	v_rcp_f64_e32 v[46:47], v[44:45]
	v_mul_f64 v[38:39], v[36:37], v[30:31]
	v_fma_f64 v[28:29], -v[28:29], v[38:39], v[36:37]
	v_div_fmas_f64 v[28:29], v[28:29], v[30:31], v[38:39]
	v_div_fixup_f64 v[36:37], v[28:29], v[26:27], v[16:17]
	v_fma_f64 v[28:29], -v[44:45], v[46:47], 1.0
	v_fmac_f64_e32 v[46:47], v[46:47], v[28:29]
	v_fma_f64 v[28:29], -v[44:45], v[46:47], 1.0
	v_fmac_f64_e32 v[46:47], v[46:47], v[28:29]
	v_div_scale_f64 v[28:29], vcc, v[18:19], v[24:25], v[18:19]
	v_mul_f64 v[30:31], v[28:29], v[46:47]
	v_fma_f64 v[28:29], -v[44:45], v[30:31], v[28:29]
	s_nop 1
	v_div_fmas_f64 v[28:29], v[28:29], v[46:47], v[30:31]
	v_div_fixup_f64 v[30:31], v[28:29], v[24:25], v[18:19]
.LBB128_180:                            ;   in Loop: Header=BB128_114 Depth=1
	s_or_b64 exec, exec, s[2:3]
.LBB128_181:                            ;   in Loop: Header=BB128_114 Depth=1
	s_andn2_saveexec_b64 s[2:3], s[4:5]
	s_cbranch_execz .LBB128_183
; %bb.182:                              ;   in Loop: Header=BB128_114 Depth=1
	v_div_scale_f64 v[28:29], s[4:5], v[22:23], v[22:23], v[20:21]
	v_rcp_f64_e32 v[30:31], v[28:29]
	v_div_scale_f64 v[36:37], vcc, v[20:21], v[22:23], v[20:21]
	v_fma_f64 v[38:39], -v[28:29], v[30:31], 1.0
	v_fmac_f64_e32 v[30:31], v[30:31], v[38:39]
	v_fma_f64 v[38:39], -v[28:29], v[30:31], 1.0
	v_fmac_f64_e32 v[30:31], v[30:31], v[38:39]
	v_mul_f64 v[38:39], v[36:37], v[30:31]
	v_fma_f64 v[28:29], -v[28:29], v[38:39], v[36:37]
	v_div_fmas_f64 v[28:29], v[28:29], v[30:31], v[38:39]
	v_div_fixup_f64 v[28:29], v[28:29], v[22:23], v[20:21]
	v_fma_f64 v[30:31], v[20:21], v[28:29], v[22:23]
	v_div_scale_f64 v[36:37], s[4:5], v[30:31], v[30:31], 1.0
	v_rcp_f64_e32 v[38:39], v[36:37]
	v_fma_f64 v[44:45], -v[36:37], v[38:39], 1.0
	v_fmac_f64_e32 v[38:39], v[38:39], v[44:45]
	v_fma_f64 v[44:45], -v[36:37], v[38:39], 1.0
	v_fmac_f64_e32 v[38:39], v[38:39], v[44:45]
	v_div_scale_f64 v[44:45], vcc, 1.0, v[30:31], 1.0
	v_mul_f64 v[46:47], v[44:45], v[38:39]
	v_fma_f64 v[36:37], -v[36:37], v[46:47], v[44:45]
	s_nop 1
	v_div_fmas_f64 v[36:37], v[36:37], v[38:39], v[46:47]
	v_div_fixup_f64 v[30:31], v[36:37], v[30:31], 1.0
	v_fma_f64 v[36:37], v[16:17], v[28:29], v[18:19]
	v_fma_f64 v[28:29], v[18:19], v[28:29], -v[16:17]
	v_mul_f64 v[36:37], v[36:37], v[30:31]
	v_mul_f64 v[30:31], v[28:29], v[30:31]
.LBB128_183:                            ;   in Loop: Header=BB128_114 Depth=1
	s_or_b64 exec, exec, s[2:3]
	v_mul_f64 v[28:29], s[18:19], v[30:31]
	v_mul_f64 v[30:31], s[16:17], v[30:31]
	v_fma_f64 v[28:29], s[16:17], v[36:37], -v[28:29]
	v_fmac_f64_e32 v[30:31], s[18:19], v[36:37]
	s_branch .LBB128_113
.LBB128_184:                            ;   in Loop: Header=BB128_114 Depth=1
                                        ; implicit-def: $vgpr30_vgpr31
                                        ; implicit-def: $vgpr28_vgpr29
	s_cbranch_execz .LBB128_113
; %bb.185:                              ;   in Loop: Header=BB128_114 Depth=1
                                        ; implicit-def: $vgpr30_vgpr31
                                        ; implicit-def: $vgpr28_vgpr29
	s_and_saveexec_b64 s[2:3], s[0:1]
	s_xor_b64 s[2:3], exec, s[2:3]
	s_cbranch_execz .LBB128_191
; %bb.186:                              ;   in Loop: Header=BB128_114 Depth=1
	v_cmp_neq_f64_e32 vcc, 0, v[20:21]
	v_cmp_neq_f64_e64 s[0:1], 0, v[22:23]
	s_or_b64 s[0:1], vcc, s[0:1]
                                        ; implicit-def: $vgpr30_vgpr31
                                        ; implicit-def: $vgpr28_vgpr29
	s_and_saveexec_b64 s[4:5], s[0:1]
	s_xor_b64 s[0:1], exec, s[4:5]
	s_cbranch_execz .LBB128_188
; %bb.187:                              ;   in Loop: Header=BB128_114 Depth=1
	v_div_scale_f64 v[24:25], s[4:5], v[20:21], v[20:21], v[22:23]
	v_rcp_f64_e32 v[26:27], v[24:25]
	v_div_scale_f64 v[28:29], vcc, v[22:23], v[20:21], v[22:23]
	v_fma_f64 v[30:31], -v[24:25], v[26:27], 1.0
	v_fmac_f64_e32 v[26:27], v[26:27], v[30:31]
	v_fma_f64 v[30:31], -v[24:25], v[26:27], 1.0
	v_fmac_f64_e32 v[26:27], v[26:27], v[30:31]
	v_mul_f64 v[30:31], v[28:29], v[26:27]
	v_fma_f64 v[24:25], -v[24:25], v[30:31], v[28:29]
	v_div_fmas_f64 v[24:25], v[24:25], v[26:27], v[30:31]
	v_div_fixup_f64 v[24:25], v[24:25], v[20:21], v[22:23]
	v_fmac_f64_e32 v[20:21], v[22:23], v[24:25]
	v_div_scale_f64 v[22:23], s[4:5], v[20:21], v[20:21], 1.0
	v_rcp_f64_e32 v[26:27], v[22:23]
	v_fma_f64 v[28:29], -v[22:23], v[26:27], 1.0
	v_fmac_f64_e32 v[26:27], v[26:27], v[28:29]
	v_fma_f64 v[28:29], -v[22:23], v[26:27], 1.0
	v_fmac_f64_e32 v[26:27], v[26:27], v[28:29]
	v_div_scale_f64 v[28:29], vcc, 1.0, v[20:21], 1.0
	v_mul_f64 v[30:31], v[28:29], v[26:27]
	v_fma_f64 v[22:23], -v[22:23], v[30:31], v[28:29]
	s_nop 1
	v_div_fmas_f64 v[22:23], v[22:23], v[26:27], v[30:31]
	v_div_fixup_f64 v[20:21], v[22:23], v[20:21], 1.0
	v_fma_f64 v[22:23], v[18:19], v[24:25], v[16:17]
	v_fma_f64 v[16:17], -v[16:17], v[24:25], v[18:19]
	v_mul_f64 v[28:29], v[22:23], v[20:21]
	v_mul_f64 v[30:31], v[16:17], v[20:21]
                                        ; implicit-def: $vgpr26_vgpr27
                                        ; implicit-def: $vgpr16_vgpr17
                                        ; implicit-def: $vgpr24_vgpr25
.LBB128_188:                            ;   in Loop: Header=BB128_114 Depth=1
	s_andn2_saveexec_b64 s[0:1], s[0:1]
	s_cbranch_execz .LBB128_190
; %bb.189:                              ;   in Loop: Header=BB128_114 Depth=1
	v_div_scale_f64 v[20:21], s[4:5], v[26:27], v[26:27], v[16:17]
	v_rcp_f64_e32 v[22:23], v[20:21]
	v_div_scale_f64 v[36:37], s[4:5], v[24:25], v[24:25], v[18:19]
	v_div_scale_f64 v[28:29], vcc, v[16:17], v[26:27], v[16:17]
	v_fma_f64 v[30:31], -v[20:21], v[22:23], 1.0
	v_fmac_f64_e32 v[22:23], v[22:23], v[30:31]
	v_fma_f64 v[30:31], -v[20:21], v[22:23], 1.0
	v_fmac_f64_e32 v[22:23], v[22:23], v[30:31]
	v_rcp_f64_e32 v[38:39], v[36:37]
	v_mul_f64 v[30:31], v[28:29], v[22:23]
	v_fma_f64 v[20:21], -v[20:21], v[30:31], v[28:29]
	v_div_fmas_f64 v[20:21], v[20:21], v[22:23], v[30:31]
	v_div_fixup_f64 v[28:29], v[20:21], v[26:27], v[16:17]
	v_fma_f64 v[16:17], -v[36:37], v[38:39], 1.0
	v_fmac_f64_e32 v[38:39], v[38:39], v[16:17]
	v_fma_f64 v[16:17], -v[36:37], v[38:39], 1.0
	v_fmac_f64_e32 v[38:39], v[38:39], v[16:17]
	v_div_scale_f64 v[16:17], vcc, v[18:19], v[24:25], v[18:19]
	v_mul_f64 v[20:21], v[16:17], v[38:39]
	v_fma_f64 v[16:17], -v[36:37], v[20:21], v[16:17]
	s_nop 1
	v_div_fmas_f64 v[16:17], v[16:17], v[38:39], v[20:21]
	v_div_fixup_f64 v[30:31], v[16:17], v[24:25], v[18:19]
.LBB128_190:                            ;   in Loop: Header=BB128_114 Depth=1
	s_or_b64 exec, exec, s[0:1]
                                        ; implicit-def: $vgpr22_vgpr23
                                        ; implicit-def: $vgpr16_vgpr17
.LBB128_191:                            ;   in Loop: Header=BB128_114 Depth=1
	s_andn2_saveexec_b64 s[0:1], s[2:3]
	s_cbranch_execz .LBB128_112
; %bb.192:                              ;   in Loop: Header=BB128_114 Depth=1
	v_div_scale_f64 v[24:25], s[2:3], v[22:23], v[22:23], v[20:21]
	v_rcp_f64_e32 v[26:27], v[24:25]
	v_div_scale_f64 v[28:29], vcc, v[20:21], v[22:23], v[20:21]
	v_fma_f64 v[30:31], -v[24:25], v[26:27], 1.0
	v_fmac_f64_e32 v[26:27], v[26:27], v[30:31]
	v_fma_f64 v[30:31], -v[24:25], v[26:27], 1.0
	v_fmac_f64_e32 v[26:27], v[26:27], v[30:31]
	v_mul_f64 v[30:31], v[28:29], v[26:27]
	v_fma_f64 v[24:25], -v[24:25], v[30:31], v[28:29]
	v_div_fmas_f64 v[24:25], v[24:25], v[26:27], v[30:31]
	v_div_fixup_f64 v[24:25], v[24:25], v[22:23], v[20:21]
	v_fmac_f64_e32 v[22:23], v[20:21], v[24:25]
	v_div_scale_f64 v[20:21], s[2:3], v[22:23], v[22:23], 1.0
	v_rcp_f64_e32 v[26:27], v[20:21]
	v_fma_f64 v[28:29], -v[20:21], v[26:27], 1.0
	v_fmac_f64_e32 v[26:27], v[26:27], v[28:29]
	v_fma_f64 v[28:29], -v[20:21], v[26:27], 1.0
	v_fmac_f64_e32 v[26:27], v[26:27], v[28:29]
	v_div_scale_f64 v[28:29], vcc, 1.0, v[22:23], 1.0
	v_mul_f64 v[30:31], v[28:29], v[26:27]
	v_fma_f64 v[20:21], -v[20:21], v[30:31], v[28:29]
	s_nop 1
	v_div_fmas_f64 v[20:21], v[20:21], v[26:27], v[30:31]
	v_div_fixup_f64 v[20:21], v[20:21], v[22:23], 1.0
	v_fma_f64 v[22:23], v[16:17], v[24:25], v[18:19]
	v_fma_f64 v[16:17], v[18:19], v[24:25], -v[16:17]
	v_mul_f64 v[28:29], v[22:23], v[20:21]
	v_mul_f64 v[30:31], v[16:17], v[20:21]
	s_branch .LBB128_112
.LBB128_193:
	s_endpgm
	.section	.rodata,"a",@progbits
	.p2align	6, 0x0
	.amdhsa_kernel _ZN2at6native12_GLOBAL__N_125multi_tensor_apply_kernelINS1_28TensorListScalarListMetadataIN3c107complexIdEELi3EEENS1_28PointwiseOpScalarListFunctorIS6_Li3ELi3ELi0EEEJSt7dividesIS6_EEEEvT_T0_DpT1_
		.amdhsa_group_segment_fixed_size 0
		.amdhsa_private_segment_fixed_size 0
		.amdhsa_kernarg_size 4168
		.amdhsa_user_sgpr_count 6
		.amdhsa_user_sgpr_private_segment_buffer 1
		.amdhsa_user_sgpr_dispatch_ptr 0
		.amdhsa_user_sgpr_queue_ptr 0
		.amdhsa_user_sgpr_kernarg_segment_ptr 1
		.amdhsa_user_sgpr_dispatch_id 0
		.amdhsa_user_sgpr_flat_scratch_init 0
		.amdhsa_user_sgpr_kernarg_preload_length 0
		.amdhsa_user_sgpr_kernarg_preload_offset 0
		.amdhsa_user_sgpr_private_segment_size 0
		.amdhsa_uses_dynamic_stack 0
		.amdhsa_system_sgpr_private_segment_wavefront_offset 0
		.amdhsa_system_sgpr_workgroup_id_x 1
		.amdhsa_system_sgpr_workgroup_id_y 0
		.amdhsa_system_sgpr_workgroup_id_z 0
		.amdhsa_system_sgpr_workgroup_info 0
		.amdhsa_system_vgpr_workitem_id 0
		.amdhsa_next_free_vgpr 92
		.amdhsa_next_free_sgpr 52
		.amdhsa_accum_offset 92
		.amdhsa_reserve_vcc 1
		.amdhsa_reserve_flat_scratch 0
		.amdhsa_float_round_mode_32 0
		.amdhsa_float_round_mode_16_64 0
		.amdhsa_float_denorm_mode_32 3
		.amdhsa_float_denorm_mode_16_64 3
		.amdhsa_dx10_clamp 1
		.amdhsa_ieee_mode 1
		.amdhsa_fp16_overflow 0
		.amdhsa_tg_split 0
		.amdhsa_exception_fp_ieee_invalid_op 0
		.amdhsa_exception_fp_denorm_src 0
		.amdhsa_exception_fp_ieee_div_zero 0
		.amdhsa_exception_fp_ieee_overflow 0
		.amdhsa_exception_fp_ieee_underflow 0
		.amdhsa_exception_fp_ieee_inexact 0
		.amdhsa_exception_int_div_zero 0
	.end_amdhsa_kernel
	.section	.text._ZN2at6native12_GLOBAL__N_125multi_tensor_apply_kernelINS1_28TensorListScalarListMetadataIN3c107complexIdEELi3EEENS1_28PointwiseOpScalarListFunctorIS6_Li3ELi3ELi0EEEJSt7dividesIS6_EEEEvT_T0_DpT1_,"axG",@progbits,_ZN2at6native12_GLOBAL__N_125multi_tensor_apply_kernelINS1_28TensorListScalarListMetadataIN3c107complexIdEELi3EEENS1_28PointwiseOpScalarListFunctorIS6_Li3ELi3ELi0EEEJSt7dividesIS6_EEEEvT_T0_DpT1_,comdat
.Lfunc_end128:
	.size	_ZN2at6native12_GLOBAL__N_125multi_tensor_apply_kernelINS1_28TensorListScalarListMetadataIN3c107complexIdEELi3EEENS1_28PointwiseOpScalarListFunctorIS6_Li3ELi3ELi0EEEJSt7dividesIS6_EEEEvT_T0_DpT1_, .Lfunc_end128-_ZN2at6native12_GLOBAL__N_125multi_tensor_apply_kernelINS1_28TensorListScalarListMetadataIN3c107complexIdEELi3EEENS1_28PointwiseOpScalarListFunctorIS6_Li3ELi3ELi0EEEJSt7dividesIS6_EEEEvT_T0_DpT1_
                                        ; -- End function
	.section	.AMDGPU.csdata,"",@progbits
; Kernel info:
; codeLenInByte = 12464
; NumSgprs: 56
; NumVgprs: 92
; NumAgprs: 0
; TotalNumVgprs: 92
; ScratchSize: 0
; MemoryBound: 1
; FloatMode: 240
; IeeeMode: 1
; LDSByteSize: 0 bytes/workgroup (compile time only)
; SGPRBlocks: 6
; VGPRBlocks: 11
; NumSGPRsForWavesPerEU: 56
; NumVGPRsForWavesPerEU: 92
; AccumOffset: 92
; Occupancy: 5
; WaveLimiterHint : 0
; COMPUTE_PGM_RSRC2:SCRATCH_EN: 0
; COMPUTE_PGM_RSRC2:USER_SGPR: 6
; COMPUTE_PGM_RSRC2:TRAP_HANDLER: 0
; COMPUTE_PGM_RSRC2:TGID_X_EN: 1
; COMPUTE_PGM_RSRC2:TGID_Y_EN: 0
; COMPUTE_PGM_RSRC2:TGID_Z_EN: 0
; COMPUTE_PGM_RSRC2:TIDIG_COMP_CNT: 0
; COMPUTE_PGM_RSRC3_GFX90A:ACCUM_OFFSET: 22
; COMPUTE_PGM_RSRC3_GFX90A:TG_SPLIT: 0
	.section	.text._ZN2at6native12_GLOBAL__N_125multi_tensor_apply_kernelINS1_28TensorListScalarListMetadataIN3c107complexIfEELi3EEENS1_28PointwiseOpScalarListFunctorIS6_Li3ELi3ELi0EEEJSt7dividesIS6_EEEEvT_T0_DpT1_,"axG",@progbits,_ZN2at6native12_GLOBAL__N_125multi_tensor_apply_kernelINS1_28TensorListScalarListMetadataIN3c107complexIfEELi3EEENS1_28PointwiseOpScalarListFunctorIS6_Li3ELi3ELi0EEEJSt7dividesIS6_EEEEvT_T0_DpT1_,comdat
	.globl	_ZN2at6native12_GLOBAL__N_125multi_tensor_apply_kernelINS1_28TensorListScalarListMetadataIN3c107complexIfEELi3EEENS1_28PointwiseOpScalarListFunctorIS6_Li3ELi3ELi0EEEJSt7dividesIS6_EEEEvT_T0_DpT1_ ; -- Begin function _ZN2at6native12_GLOBAL__N_125multi_tensor_apply_kernelINS1_28TensorListScalarListMetadataIN3c107complexIfEELi3EEENS1_28PointwiseOpScalarListFunctorIS6_Li3ELi3ELi0EEEJSt7dividesIS6_EEEEvT_T0_DpT1_
	.p2align	8
	.type	_ZN2at6native12_GLOBAL__N_125multi_tensor_apply_kernelINS1_28TensorListScalarListMetadataIN3c107complexIfEELi3EEENS1_28PointwiseOpScalarListFunctorIS6_Li3ELi3ELi0EEEJSt7dividesIS6_EEEEvT_T0_DpT1_,@function
_ZN2at6native12_GLOBAL__N_125multi_tensor_apply_kernelINS1_28TensorListScalarListMetadataIN3c107complexIfEELi3EEENS1_28PointwiseOpScalarListFunctorIS6_Li3ELi3ELi0EEEJSt7dividesIS6_EEEEvT_T0_DpT1_: ; @_ZN2at6native12_GLOBAL__N_125multi_tensor_apply_kernelINS1_28TensorListScalarListMetadataIN3c107complexIfEELi3EEENS1_28PointwiseOpScalarListFunctorIS6_Li3ELi3ELi0EEEJSt7dividesIS6_EEEEvT_T0_DpT1_
; %bb.0:
	v_mov_b32_e32 v1, s6
	global_load_ubyte v1, v1, s[4:5] offset:1920
	s_add_u32 s0, s4, s6
	s_mul_hi_u32 s1, s6, 3
	s_mul_i32 s6, s6, 3
	s_addc_u32 s2, s5, 0
	s_add_u32 s0, s0, s6
	s_addc_u32 s1, s2, s1
	s_load_dword s10, s[0:1], 0x8c0
	s_mov_b32 s9, 0
	s_mov_b32 s13, s9
	s_waitcnt lgkmcnt(0)
	s_ashr_i32 s11, s10, 31
	s_lshl_b64 s[20:21], s[10:11], 19
	s_waitcnt vmcnt(0)
	v_readfirstlane_b32 s0, v1
	s_lshl_b32 s8, s0, 3
	s_load_dwordx2 s[16:17], s[4:5], s8 offset:0x600
	s_load_dwordx2 s[6:7], s[4:5], s8 offset:0x0
	;; [unrolled: 1-line block ×5, first 2 shown]
	s_waitcnt lgkmcnt(0)
	s_add_u32 s33, s6, s20
	s_addc_u32 s34, s7, s21
	s_add_u32 s35, s2, s20
	s_addc_u32 s36, s3, s21
	;; [unrolled: 2-line block ×3, first 2 shown]
	s_or_b32 s12, s37, s35
	s_and_b32 s8, s33, 31
	s_and_b32 s12, s12, 31
	s_cmp_eq_u32 s12, 0
	s_cselect_b64 s[22:23], -1, 0
	s_lshl_b64 s[10:11], s[10:11], 16
	s_sub_u32 s18, s14, s10
	s_subb_u32 s19, s15, s11
	s_and_b32 s12, s14, 3
	s_or_b64 s[8:9], s[8:9], s[12:13]
	s_cmp_eq_u64 s[8:9], 0
	s_cselect_b64 s[8:9], -1, 0
	s_and_b64 s[10:11], s[22:23], s[8:9]
	s_mov_b64 s[8:9], -1
	s_and_b64 vcc, exec, s[10:11]
	s_cbranch_vccnz .LBB129_109
; %bb.1:
	v_cmp_lt_i64_e64 s[8:9], s[18:19], 1
	s_and_b64 vcc, exec, s[8:9]
	s_cbranch_vccnz .LBB129_108
; %bb.2:
	s_load_dword s8, s[4:5], 0xdd4
	v_mov_b32_e32 v2, 0x10000
	v_mov_b32_e32 v3, 0
	v_cmp_lt_u64_e32 vcc, s[18:19], v[2:3]
	v_lshlrev_b32_e32 v14, 3, v0
	s_waitcnt lgkmcnt(0)
	s_and_b32 s12, s8, 0xffff
	s_and_b64 s[8:9], vcc, exec
	v_mov_b32_e32 v19, s7
	v_add_co_u32_e32 v2, vcc, s6, v14
	v_addc_co_u32_e32 v1, vcc, 0, v19, vcc
	s_cselect_b32 s23, s19, 0
	s_cselect_b32 s22, s18, 0x10000
	s_lshl_b32 s13, s12, 1
	s_and_b32 s8, s17, 0x7fffffff
	v_mov_b32_e32 v21, s3
	v_add_co_u32_e32 v4, vcc, s2, v14
	s_cmp_lg_u32 s8, 0
	v_addc_co_u32_e32 v3, vcc, 0, v21, vcc
	v_mov_b32_e32 v15, 0
	s_cselect_b64 s[8:9], -1, 0
	v_cmp_neq_f32_e64 s[10:11], s16, 1.0
	v_mov_b32_e32 v23, s1
	v_add_co_u32_e32 v6, vcc, s0, v14
	s_or_b64 s[24:25], s[10:11], s[8:9]
	v_addc_co_u32_e32 v5, vcc, 0, v23, vcc
	v_mad_u64_u32 v[12:13], s[8:9], s12, 24, v[14:15]
	v_add_co_u32_e32 v8, vcc, s6, v12
	v_addc_co_u32_e32 v7, vcc, v19, v13, vcc
	v_add_co_u32_e32 v10, vcc, s2, v12
	v_addc_co_u32_e32 v9, vcc, v21, v13, vcc
	v_add_co_u32_e32 v12, vcc, s0, v12
	s_mul_i32 s14, s12, 3
	v_addc_co_u32_e32 v11, vcc, v23, v13, vcc
	v_add_co_u32_e32 v25, vcc, s14, v0
	s_lshl_b32 s1, s12, 4
	v_addc_co_u32_e64 v53, s[8:9], 0, 0, vcc
	v_add_co_u32_e32 v17, vcc, s1, v14
	v_addc_co_u32_e64 v20, s[8:9], 0, 0, vcc
	v_add_co_u32_e32 v14, vcc, s6, v17
	v_addc_co_u32_e32 v13, vcc, v19, v20, vcc
	v_add_co_u32_e32 v16, vcc, s2, v17
	v_addc_co_u32_e32 v15, vcc, v21, v20, vcc
	;; [unrolled: 2-line block ×3, first 2 shown]
	v_add_co_u32_e32 v54, vcc, s13, v0
	v_addc_co_u32_e64 v55, s[8:9], 0, 0, vcc
	v_add_co_u32_e32 v56, vcc, s12, v0
	v_lshlrev_b32_e32 v24, 3, v56
	v_addc_co_u32_e64 v57, s[8:9], 0, 0, vcc
	v_add_co_u32_e32 v20, vcc, s6, v24
	v_addc_co_u32_e32 v19, vcc, 0, v19, vcc
	v_add_co_u32_e32 v22, vcc, s2, v24
	v_addc_co_u32_e32 v21, vcc, 0, v21, vcc
	v_add_co_u32_e32 v24, vcc, s0, v24
	s_mov_b32 s39, 0
	s_lshl_b32 s40, s12, 2
	s_mov_b32 s26, s17
	s_mov_b32 s27, s16
	s_lshl_b32 s41, s12, 5
	v_addc_co_u32_e32 v23, vcc, 0, v23, vcc
	s_mov_b64 s[28:29], 0
	s_branch .LBB129_4
.LBB129_3:                              ;   in Loop: Header=BB129_4 Depth=1
	s_or_b64 exec, exec, s[0:1]
	s_add_u32 s28, s28, s40
	s_addc_u32 s29, s29, 0
	v_pk_mov_b32 v[26:27], s[18:19], s[18:19] op_sel:[0,1]
	v_cmp_ge_i64_e32 vcc, s[28:29], v[26:27]
	v_mov_b32_e32 v26, 0xffff
	v_mov_b32_e32 v27, 0
	v_cmp_gt_u64_e64 s[0:1], s[28:29], v[26:27]
	s_or_b64 s[0:1], vcc, s[0:1]
	v_mov_b32_e32 v26, s39
	v_add_co_u32_e32 v2, vcc, s41, v2
	v_addc_co_u32_e32 v1, vcc, v1, v26, vcc
	v_add_co_u32_e32 v4, vcc, s41, v4
	v_addc_co_u32_e32 v3, vcc, v3, v26, vcc
	;; [unrolled: 2-line block ×12, first 2 shown]
	s_and_b64 vcc, exec, s[0:1]
	s_cbranch_vccnz .LBB129_108
.LBB129_4:                              ; =>This Inner Loop Header: Depth=1
	v_mov_b32_e32 v27, s29
	v_add_co_u32_e32 v26, vcc, s28, v0
	v_addc_co_u32_e32 v27, vcc, 0, v27, vcc
	v_cmp_gt_u64_e64 s[0:1], s[22:23], v[26:27]
	v_mov_b32_e32 v27, 0
	v_mov_b32_e32 v26, 0
	;; [unrolled: 1-line block ×4, first 2 shown]
	s_and_saveexec_b64 s[2:3], s[0:1]
	s_cbranch_execz .LBB129_6
; %bb.5:                                ;   in Loop: Header=BB129_4 Depth=1
	v_mov_b32_e32 v30, s21
	v_add_co_u32_e32 v26, vcc, s20, v4
	v_addc_co_u32_e32 v27, vcc, v3, v30, vcc
	global_load_dwordx2 v[28:29], v[26:27], off
	v_add_co_u32_e32 v26, vcc, s20, v2
	v_addc_co_u32_e32 v27, vcc, v1, v30, vcc
	global_load_dwordx2 v[26:27], v[26:27], off
	s_waitcnt vmcnt(1)
	v_mov_b32_e32 v44, v29
	v_mov_b32_e32 v45, v28
.LBB129_6:                              ;   in Loop: Header=BB129_4 Depth=1
	s_or_b64 exec, exec, s[2:3]
	v_mov_b32_e32 v29, 0
	v_mov_b32_e32 v51, 0
	;; [unrolled: 1-line block ×3, first 2 shown]
	s_and_saveexec_b64 s[2:3], s[0:1]
	s_cbranch_execz .LBB129_8
; %bb.7:                                ;   in Loop: Header=BB129_4 Depth=1
	v_mov_b32_e32 v28, s21
	v_add_co_u32_e32 v30, vcc, s20, v6
	v_addc_co_u32_e32 v31, vcc, v5, v28, vcc
	global_load_dwordx2 v[50:51], v[30:31], off
.LBB129_8:                              ;   in Loop: Header=BB129_4 Depth=1
	s_or_b64 exec, exec, s[2:3]
	v_mov_b32_e32 v28, s29
	v_add_co_u32_e32 v30, vcc, s28, v56
	v_addc_co_u32_e32 v31, vcc, v57, v28, vcc
	v_cmp_gt_u64_e64 s[2:3], s[22:23], v[30:31]
	v_mov_b32_e32 v28, 0
	v_mov_b32_e32 v46, 0
	v_mov_b32_e32 v47, 0
	s_and_saveexec_b64 s[6:7], s[2:3]
	s_cbranch_execz .LBB129_10
; %bb.9:                                ;   in Loop: Header=BB129_4 Depth=1
	v_mov_b32_e32 v32, s21
	v_add_co_u32_e32 v28, vcc, s20, v22
	v_addc_co_u32_e32 v29, vcc, v21, v32, vcc
	global_load_dwordx2 v[30:31], v[28:29], off
	v_add_co_u32_e32 v28, vcc, s20, v20
	v_addc_co_u32_e32 v29, vcc, v19, v32, vcc
	global_load_dwordx2 v[28:29], v[28:29], off
	s_waitcnt vmcnt(1)
	v_mov_b32_e32 v46, v31
	v_mov_b32_e32 v47, v30
.LBB129_10:                             ;   in Loop: Header=BB129_4 Depth=1
	s_or_b64 exec, exec, s[6:7]
	v_mov_b32_e32 v31, 0
	v_mov_b32_e32 v49, 0
	;; [unrolled: 1-line block ×3, first 2 shown]
	s_and_saveexec_b64 s[6:7], s[2:3]
	s_cbranch_execz .LBB129_12
; %bb.11:                               ;   in Loop: Header=BB129_4 Depth=1
	v_mov_b32_e32 v30, s21
	v_add_co_u32_e32 v32, vcc, s20, v24
	v_addc_co_u32_e32 v33, vcc, v23, v30, vcc
	global_load_dwordx2 v[48:49], v[32:33], off
.LBB129_12:                             ;   in Loop: Header=BB129_4 Depth=1
	s_or_b64 exec, exec, s[6:7]
	v_mov_b32_e32 v30, s29
	v_add_co_u32_e32 v32, vcc, s28, v54
	v_addc_co_u32_e32 v33, vcc, v55, v30, vcc
	v_cmp_gt_u64_e64 s[6:7], s[22:23], v[32:33]
	v_mov_b32_e32 v30, 0
	v_mov_b32_e32 v40, 0
	;; [unrolled: 1-line block ×3, first 2 shown]
	s_and_saveexec_b64 s[8:9], s[6:7]
	s_cbranch_execz .LBB129_14
; %bb.13:                               ;   in Loop: Header=BB129_4 Depth=1
	v_mov_b32_e32 v34, s21
	v_add_co_u32_e32 v30, vcc, s20, v16
	v_addc_co_u32_e32 v31, vcc, v15, v34, vcc
	global_load_dwordx2 v[32:33], v[30:31], off
	v_add_co_u32_e32 v30, vcc, s20, v14
	v_addc_co_u32_e32 v31, vcc, v13, v34, vcc
	global_load_dwordx2 v[30:31], v[30:31], off
	s_waitcnt vmcnt(1)
	v_mov_b32_e32 v40, v33
	v_mov_b32_e32 v41, v32
.LBB129_14:                             ;   in Loop: Header=BB129_4 Depth=1
	s_or_b64 exec, exec, s[8:9]
	v_mov_b32_e32 v33, 0
	v_mov_b32_e32 v43, 0
	;; [unrolled: 1-line block ×3, first 2 shown]
	s_and_saveexec_b64 s[8:9], s[6:7]
	s_cbranch_execz .LBB129_16
; %bb.15:                               ;   in Loop: Header=BB129_4 Depth=1
	v_mov_b32_e32 v32, s21
	v_add_co_u32_e32 v34, vcc, s20, v18
	v_addc_co_u32_e32 v35, vcc, v17, v32, vcc
	global_load_dwordx2 v[42:43], v[34:35], off
.LBB129_16:                             ;   in Loop: Header=BB129_4 Depth=1
	s_or_b64 exec, exec, s[8:9]
	v_mov_b32_e32 v32, s29
	v_add_co_u32_e32 v34, vcc, s28, v25
	v_addc_co_u32_e32 v35, vcc, v53, v32, vcc
	v_cmp_gt_u64_e64 s[8:9], s[22:23], v[34:35]
	v_mov_b32_e32 v32, 0
	v_mov_b32_e32 v34, 0
	v_mov_b32_e32 v35, 0
	s_and_saveexec_b64 s[10:11], s[8:9]
	s_cbranch_execz .LBB129_18
; %bb.17:                               ;   in Loop: Header=BB129_4 Depth=1
	v_mov_b32_e32 v34, s21
	v_add_co_u32_e32 v32, vcc, s20, v10
	v_addc_co_u32_e32 v33, vcc, v9, v34, vcc
	global_load_dwordx2 v[36:37], v[32:33], off
	v_add_co_u32_e32 v32, vcc, s20, v8
	v_addc_co_u32_e32 v33, vcc, v7, v34, vcc
	global_load_dwordx2 v[32:33], v[32:33], off
	s_waitcnt vmcnt(1)
	v_mov_b32_e32 v34, v37
	v_mov_b32_e32 v35, v36
.LBB129_18:                             ;   in Loop: Header=BB129_4 Depth=1
	s_or_b64 exec, exec, s[10:11]
	v_mov_b32_e32 v37, 0
	v_mov_b32_e32 v36, 0
	s_and_saveexec_b64 s[10:11], s[8:9]
	s_cbranch_execz .LBB129_20
; %bb.19:                               ;   in Loop: Header=BB129_4 Depth=1
	v_mov_b32_e32 v37, s21
	v_add_co_u32_e32 v36, vcc, s20, v12
	v_addc_co_u32_e32 v37, vcc, v11, v37, vcc
	global_load_dwordx2 v[36:37], v[36:37], off
.LBB129_20:                             ;   in Loop: Header=BB129_4 Depth=1
	s_or_b64 exec, exec, s[10:11]
	s_waitcnt vmcnt(0)
	v_cmp_gt_f32_e32 vcc, 0, v50
	v_cndmask_b32_e64 v58, v50, -v50, vcc
	v_cmp_gt_f32_e32 vcc, 0, v51
	v_cndmask_b32_e64 v59, v51, -v51, vcc
	v_cmp_ge_f32_e64 s[10:11], v58, v59
	s_and_b64 vcc, exec, s[24:25]
	s_cbranch_vccz .LBB129_30
; %bb.21:                               ;   in Loop: Header=BB129_4 Depth=1
                                        ; implicit-def: $vgpr52
                                        ; implicit-def: $vgpr38
	s_and_saveexec_b64 s[12:13], s[10:11]
	s_xor_b64 s[14:15], exec, s[12:13]
	s_cbranch_execz .LBB129_27
; %bb.22:                               ;   in Loop: Header=BB129_4 Depth=1
	v_cmp_neq_f32_e32 vcc, 0, v50
	v_cmp_neq_f32_e64 s[12:13], 0, v51
	s_or_b64 s[12:13], s[12:13], vcc
                                        ; implicit-def: $vgpr52
                                        ; implicit-def: $vgpr38
	s_and_saveexec_b64 s[30:31], s[12:13]
	s_xor_b64 s[12:13], exec, s[30:31]
	s_cbranch_execz .LBB129_24
; %bb.23:                               ;   in Loop: Header=BB129_4 Depth=1
	v_div_scale_f32 v38, s[30:31], v50, v50, v51
	v_rcp_f32_e32 v39, v38
	v_div_scale_f32 v52, vcc, v51, v50, v51
	v_fma_f32 v60, -v38, v39, 1.0
	v_fmac_f32_e32 v39, v60, v39
	v_mul_f32_e32 v60, v52, v39
	v_fma_f32 v61, -v38, v60, v52
	v_fmac_f32_e32 v60, v61, v39
	v_fma_f32 v38, -v38, v60, v52
	v_div_fmas_f32 v38, v38, v39, v60
	v_div_fixup_f32 v39, v38, v50, v51
	v_fma_f32 v38, v51, v39, v50
	v_div_scale_f32 v52, s[30:31], v38, v38, 1.0
	v_rcp_f32_e32 v60, v52
	v_fma_f32 v61, -v52, v60, 1.0
	v_fmac_f32_e32 v60, v61, v60
	v_div_scale_f32 v61, vcc, 1.0, v38, 1.0
	v_mul_f32_e32 v62, v61, v60
	v_fma_f32 v63, -v52, v62, v61
	v_fmac_f32_e32 v62, v63, v60
	v_fma_f32 v52, -v52, v62, v61
	v_div_fmas_f32 v52, v52, v60, v62
	v_div_fixup_f32 v52, v52, v38, 1.0
	v_fma_f32 v38, v44, v39, v45
	v_fma_f32 v39, -v45, v39, v44
	v_mul_f32_e32 v38, v38, v52
	v_mul_f32_e32 v52, v39, v52
.LBB129_24:                             ;   in Loop: Header=BB129_4 Depth=1
	s_andn2_saveexec_b64 s[12:13], s[12:13]
	s_cbranch_execz .LBB129_26
; %bb.25:                               ;   in Loop: Header=BB129_4 Depth=1
	v_div_scale_f32 v38, s[30:31], v58, v58, v45
	v_rcp_f32_e32 v39, v38
	v_div_scale_f32 v52, vcc, v45, v58, v45
	v_fma_f32 v60, -v38, v39, 1.0
	v_fmac_f32_e32 v39, v60, v39
	v_mul_f32_e32 v60, v52, v39
	v_fma_f32 v61, -v38, v60, v52
	v_fmac_f32_e32 v60, v61, v39
	v_fma_f32 v38, -v38, v60, v52
	v_div_scale_f32 v52, s[30:31], v59, v59, v44
	v_rcp_f32_e32 v61, v52
	v_div_fmas_f32 v38, v38, v39, v60
	v_div_fixup_f32 v38, v38, v58, v45
	v_fma_f32 v39, -v52, v61, 1.0
	v_fmac_f32_e32 v61, v39, v61
	v_div_scale_f32 v39, vcc, v44, v59, v44
	v_mul_f32_e32 v60, v39, v61
	v_fma_f32 v62, -v52, v60, v39
	v_fmac_f32_e32 v60, v62, v61
	v_fma_f32 v39, -v52, v60, v39
	v_div_fmas_f32 v39, v39, v61, v60
	v_div_fixup_f32 v52, v39, v59, v44
.LBB129_26:                             ;   in Loop: Header=BB129_4 Depth=1
	s_or_b64 exec, exec, s[12:13]
.LBB129_27:                             ;   in Loop: Header=BB129_4 Depth=1
	s_andn2_saveexec_b64 s[12:13], s[14:15]
	s_cbranch_execz .LBB129_29
; %bb.28:                               ;   in Loop: Header=BB129_4 Depth=1
	v_div_scale_f32 v38, s[14:15], v51, v51, v50
	v_rcp_f32_e32 v39, v38
	v_div_scale_f32 v52, vcc, v50, v51, v50
	v_fma_f32 v60, -v38, v39, 1.0
	v_fmac_f32_e32 v39, v60, v39
	v_mul_f32_e32 v60, v52, v39
	v_fma_f32 v61, -v38, v60, v52
	v_fmac_f32_e32 v60, v61, v39
	v_fma_f32 v38, -v38, v60, v52
	v_div_fmas_f32 v38, v38, v39, v60
	v_div_fixup_f32 v39, v38, v51, v50
	v_fma_f32 v38, v50, v39, v51
	v_div_scale_f32 v52, s[14:15], v38, v38, 1.0
	v_rcp_f32_e32 v60, v52
	v_fma_f32 v61, -v52, v60, 1.0
	v_fmac_f32_e32 v60, v61, v60
	v_div_scale_f32 v61, vcc, 1.0, v38, 1.0
	v_mul_f32_e32 v62, v61, v60
	v_fma_f32 v63, -v52, v62, v61
	v_fmac_f32_e32 v62, v63, v60
	v_fma_f32 v52, -v52, v62, v61
	v_div_fmas_f32 v52, v52, v60, v62
	v_div_fixup_f32 v52, v52, v38, 1.0
	v_fma_f32 v38, v45, v39, v44
	v_fma_f32 v39, v44, v39, -v45
	v_mul_f32_e32 v38, v38, v52
	v_mul_f32_e32 v52, v39, v52
.LBB129_29:                             ;   in Loop: Header=BB129_4 Depth=1
	s_or_b64 exec, exec, s[12:13]
	v_pk_mul_f32 v[62:63], v[38:39], s[16:17] op_sel_hi:[0,1]
	v_pk_mul_f32 v[60:61], v[52:53], s[16:17] op_sel_hi:[0,1]
	v_pk_fma_f32 v[38:39], v[52:53], s[16:17], v[62:63] op_sel:[0,0,1] op_sel_hi:[0,1,0] neg_lo:[1,0,0] neg_hi:[1,0,0]
	v_add_f32_e32 v38, v63, v60
	s_branch .LBB129_40
.LBB129_30:                             ;   in Loop: Header=BB129_4 Depth=1
                                        ; implicit-def: $vgpr39
	s_cbranch_execz .LBB129_40
; %bb.31:                               ;   in Loop: Header=BB129_4 Depth=1
                                        ; implicit-def: $vgpr39
	s_and_saveexec_b64 s[12:13], s[10:11]
	s_xor_b64 s[12:13], exec, s[12:13]
	s_cbranch_execz .LBB129_37
; %bb.32:                               ;   in Loop: Header=BB129_4 Depth=1
	v_cmp_neq_f32_e32 vcc, 0, v50
	v_cmp_neq_f32_e64 s[10:11], 0, v51
	s_or_b64 s[10:11], s[10:11], vcc
                                        ; implicit-def: $vgpr39
	s_and_saveexec_b64 s[14:15], s[10:11]
	s_xor_b64 s[10:11], exec, s[14:15]
	s_cbranch_execz .LBB129_34
; %bb.33:                               ;   in Loop: Header=BB129_4 Depth=1
	v_div_scale_f32 v38, s[14:15], v50, v50, v51
	v_rcp_f32_e32 v39, v38
	v_div_scale_f32 v52, vcc, v51, v50, v51
	v_fma_f32 v58, -v38, v39, 1.0
	v_fmac_f32_e32 v39, v58, v39
	v_mul_f32_e32 v58, v52, v39
	v_fma_f32 v59, -v38, v58, v52
	v_fmac_f32_e32 v58, v59, v39
	v_fma_f32 v38, -v38, v58, v52
	v_div_fmas_f32 v38, v38, v39, v58
	v_div_fixup_f32 v38, v38, v50, v51
	v_fmac_f32_e32 v50, v51, v38
	v_div_scale_f32 v39, s[14:15], v50, v50, 1.0
	v_rcp_f32_e32 v51, v39
	v_fma_f32 v52, -v39, v51, 1.0
	v_fmac_f32_e32 v51, v52, v51
	v_div_scale_f32 v52, vcc, 1.0, v50, 1.0
	v_mul_f32_e32 v58, v52, v51
	v_fma_f32 v59, -v39, v58, v52
	v_fmac_f32_e32 v58, v59, v51
	v_fma_f32 v39, -v39, v58, v52
	v_div_fmas_f32 v39, v39, v51, v58
	v_div_fixup_f32 v50, v39, v50, 1.0
	v_pk_mul_f32 v[38:39], v[44:45], v[38:39] op_sel_hi:[1,0]
	v_pk_add_f32 v[58:59], v[44:45], v[38:39] op_sel:[0,1] op_sel_hi:[1,0] neg_lo:[0,1] neg_hi:[0,1]
	v_pk_add_f32 v[38:39], v[44:45], v[38:39] op_sel:[0,1] op_sel_hi:[1,0]
	v_mov_b32_e32 v59, v39
	v_pk_mul_f32 v[38:39], v[58:59], v[50:51] op_sel_hi:[1,0]
                                        ; implicit-def: $vgpr59
                                        ; implicit-def: $vgpr44_vgpr45
                                        ; implicit-def: $vgpr58
.LBB129_34:                             ;   in Loop: Header=BB129_4 Depth=1
	s_andn2_saveexec_b64 s[10:11], s[10:11]
	s_cbranch_execz .LBB129_36
; %bb.35:                               ;   in Loop: Header=BB129_4 Depth=1
	v_div_scale_f32 v38, s[14:15], v59, v59, v44
	v_rcp_f32_e32 v39, v38
	v_div_scale_f32 v50, vcc, v44, v59, v44
	v_fma_f32 v51, -v38, v39, 1.0
	v_fmac_f32_e32 v39, v51, v39
	v_mul_f32_e32 v51, v50, v39
	v_fma_f32 v52, -v38, v51, v50
	v_fmac_f32_e32 v51, v52, v39
	v_fma_f32 v38, -v38, v51, v50
	v_div_scale_f32 v50, s[14:15], v58, v58, v45
	v_rcp_f32_e32 v52, v50
	v_div_fmas_f32 v38, v38, v39, v51
	v_div_fixup_f32 v38, v38, v59, v44
	v_fma_f32 v39, -v50, v52, 1.0
	v_fmac_f32_e32 v52, v39, v52
	v_div_scale_f32 v39, vcc, v45, v58, v45
	v_mul_f32_e32 v44, v39, v52
	v_fma_f32 v51, -v50, v44, v39
	v_fmac_f32_e32 v44, v51, v52
	v_fma_f32 v39, -v50, v44, v39
	v_div_fmas_f32 v39, v39, v52, v44
	v_div_fixup_f32 v39, v39, v58, v45
.LBB129_36:                             ;   in Loop: Header=BB129_4 Depth=1
	s_or_b64 exec, exec, s[10:11]
                                        ; implicit-def: $vgpr51
                                        ; implicit-def: $vgpr44_vgpr45
.LBB129_37:                             ;   in Loop: Header=BB129_4 Depth=1
	s_andn2_saveexec_b64 s[10:11], s[12:13]
	s_cbranch_execz .LBB129_39
; %bb.38:                               ;   in Loop: Header=BB129_4 Depth=1
	v_div_scale_f32 v38, s[12:13], v51, v51, v50
	v_rcp_f32_e32 v39, v38
	v_div_scale_f32 v52, vcc, v50, v51, v50
	v_fma_f32 v58, -v38, v39, 1.0
	v_fmac_f32_e32 v39, v58, v39
	v_mul_f32_e32 v58, v52, v39
	v_fma_f32 v59, -v38, v58, v52
	v_fmac_f32_e32 v58, v59, v39
	v_fma_f32 v38, -v38, v58, v52
	v_div_fmas_f32 v38, v38, v39, v58
	v_div_fixup_f32 v38, v38, v51, v50
	v_fmac_f32_e32 v51, v50, v38
	v_div_scale_f32 v39, s[12:13], v51, v51, 1.0
	v_rcp_f32_e32 v50, v39
	v_fma_f32 v52, -v39, v50, 1.0
	v_fmac_f32_e32 v50, v52, v50
	v_div_scale_f32 v52, vcc, 1.0, v51, 1.0
	v_mul_f32_e32 v58, v52, v50
	v_fma_f32 v59, -v39, v58, v52
	v_fmac_f32_e32 v58, v59, v50
	v_fma_f32 v39, -v39, v58, v52
	v_div_fmas_f32 v39, v39, v50, v58
	v_div_fixup_f32 v50, v39, v51, 1.0
	v_pk_fma_f32 v[58:59], v[44:45], v[38:39], v[44:45] op_sel:[0,0,1] op_sel_hi:[1,1,0] neg_lo:[0,0,1] neg_hi:[0,0,1]
	v_pk_fma_f32 v[38:39], v[44:45], v[38:39], v[44:45] op_sel:[0,0,1] op_sel_hi:[1,0,0]
	v_mov_b32_e32 v59, v39
	v_pk_mul_f32 v[38:39], v[58:59], v[50:51] op_sel_hi:[1,0]
.LBB129_39:                             ;   in Loop: Header=BB129_4 Depth=1
	s_or_b64 exec, exec, s[10:11]
.LBB129_40:                             ;   in Loop: Header=BB129_4 Depth=1
	v_cmp_gt_f32_e32 vcc, 0, v48
	v_cndmask_b32_e64 v51, v48, -v48, vcc
	v_cmp_gt_f32_e32 vcc, 0, v49
	v_cndmask_b32_e64 v52, v49, -v49, vcc
	v_cndmask_b32_e64 v44, 0, 1, s[24:25]
	v_cmp_ne_u32_e64 s[10:11], 1, v44
	s_andn2_b64 vcc, exec, s[24:25]
	v_cmp_ge_f32_e64 s[12:13], v51, v52
	s_cbranch_vccnz .LBB129_50
; %bb.41:                               ;   in Loop: Header=BB129_4 Depth=1
                                        ; implicit-def: $vgpr50
                                        ; implicit-def: $vgpr44
	s_and_saveexec_b64 s[14:15], s[12:13]
	s_xor_b64 s[30:31], exec, s[14:15]
	s_cbranch_execz .LBB129_47
; %bb.42:                               ;   in Loop: Header=BB129_4 Depth=1
	v_cmp_neq_f32_e32 vcc, 0, v48
	v_cmp_neq_f32_e64 s[14:15], 0, v49
	s_or_b64 s[14:15], s[14:15], vcc
                                        ; implicit-def: $vgpr50
                                        ; implicit-def: $vgpr44
	s_and_saveexec_b64 s[42:43], s[14:15]
	s_xor_b64 s[14:15], exec, s[42:43]
	s_cbranch_execz .LBB129_44
; %bb.43:                               ;   in Loop: Header=BB129_4 Depth=1
	v_div_scale_f32 v44, s[42:43], v48, v48, v49
	v_rcp_f32_e32 v45, v44
	v_div_scale_f32 v50, vcc, v49, v48, v49
	v_fma_f32 v58, -v44, v45, 1.0
	v_fmac_f32_e32 v45, v58, v45
	v_mul_f32_e32 v58, v50, v45
	v_fma_f32 v59, -v44, v58, v50
	v_fmac_f32_e32 v58, v59, v45
	v_fma_f32 v44, -v44, v58, v50
	v_div_fmas_f32 v44, v44, v45, v58
	v_div_fixup_f32 v45, v44, v48, v49
	v_fma_f32 v44, v49, v45, v48
	v_div_scale_f32 v50, s[42:43], v44, v44, 1.0
	v_rcp_f32_e32 v58, v50
	v_fma_f32 v59, -v50, v58, 1.0
	v_fmac_f32_e32 v58, v59, v58
	v_div_scale_f32 v59, vcc, 1.0, v44, 1.0
	v_mul_f32_e32 v60, v59, v58
	v_fma_f32 v61, -v50, v60, v59
	v_fmac_f32_e32 v60, v61, v58
	v_fma_f32 v50, -v50, v60, v59
	v_div_fmas_f32 v50, v50, v58, v60
	v_div_fixup_f32 v50, v50, v44, 1.0
	v_fma_f32 v44, v46, v45, v47
	v_fma_f32 v45, -v47, v45, v46
	v_mul_f32_e32 v44, v44, v50
	v_mul_f32_e32 v50, v45, v50
.LBB129_44:                             ;   in Loop: Header=BB129_4 Depth=1
	s_andn2_saveexec_b64 s[14:15], s[14:15]
	s_cbranch_execz .LBB129_46
; %bb.45:                               ;   in Loop: Header=BB129_4 Depth=1
	v_div_scale_f32 v44, s[42:43], v51, v51, v47
	v_rcp_f32_e32 v45, v44
	v_div_scale_f32 v50, vcc, v47, v51, v47
	v_fma_f32 v58, -v44, v45, 1.0
	v_fmac_f32_e32 v45, v58, v45
	v_mul_f32_e32 v58, v50, v45
	v_fma_f32 v59, -v44, v58, v50
	v_fmac_f32_e32 v58, v59, v45
	v_fma_f32 v44, -v44, v58, v50
	v_div_scale_f32 v50, s[42:43], v52, v52, v46
	v_rcp_f32_e32 v59, v50
	v_div_fmas_f32 v44, v44, v45, v58
	v_div_fixup_f32 v44, v44, v51, v47
	v_fma_f32 v45, -v50, v59, 1.0
	v_fmac_f32_e32 v59, v45, v59
	v_div_scale_f32 v45, vcc, v46, v52, v46
	v_mul_f32_e32 v58, v45, v59
	v_fma_f32 v60, -v50, v58, v45
	v_fmac_f32_e32 v58, v60, v59
	v_fma_f32 v45, -v50, v58, v45
	v_div_fmas_f32 v45, v45, v59, v58
	v_div_fixup_f32 v50, v45, v52, v46
.LBB129_46:                             ;   in Loop: Header=BB129_4 Depth=1
	s_or_b64 exec, exec, s[14:15]
.LBB129_47:                             ;   in Loop: Header=BB129_4 Depth=1
	s_andn2_saveexec_b64 s[14:15], s[30:31]
	s_cbranch_execz .LBB129_49
; %bb.48:                               ;   in Loop: Header=BB129_4 Depth=1
	v_div_scale_f32 v44, s[30:31], v49, v49, v48
	v_rcp_f32_e32 v45, v44
	v_div_scale_f32 v50, vcc, v48, v49, v48
	v_fma_f32 v58, -v44, v45, 1.0
	v_fmac_f32_e32 v45, v58, v45
	v_mul_f32_e32 v58, v50, v45
	v_fma_f32 v59, -v44, v58, v50
	v_fmac_f32_e32 v58, v59, v45
	v_fma_f32 v44, -v44, v58, v50
	v_div_fmas_f32 v44, v44, v45, v58
	v_div_fixup_f32 v45, v44, v49, v48
	v_fma_f32 v44, v48, v45, v49
	v_div_scale_f32 v50, s[30:31], v44, v44, 1.0
	v_rcp_f32_e32 v58, v50
	v_fma_f32 v59, -v50, v58, 1.0
	v_fmac_f32_e32 v58, v59, v58
	v_div_scale_f32 v59, vcc, 1.0, v44, 1.0
	v_mul_f32_e32 v60, v59, v58
	v_fma_f32 v61, -v50, v60, v59
	v_fmac_f32_e32 v60, v61, v58
	v_fma_f32 v50, -v50, v60, v59
	v_div_fmas_f32 v50, v50, v58, v60
	v_div_fixup_f32 v50, v50, v44, 1.0
	v_fma_f32 v44, v47, v45, v46
	v_fma_f32 v45, v46, v45, -v47
	v_mul_f32_e32 v44, v44, v50
	v_mul_f32_e32 v50, v45, v50
.LBB129_49:                             ;   in Loop: Header=BB129_4 Depth=1
	s_or_b64 exec, exec, s[14:15]
	v_pk_mul_f32 v[60:61], v[44:45], s[16:17] op_sel_hi:[0,1]
	v_pk_mul_f32 v[58:59], v[50:51], s[16:17] op_sel_hi:[0,1]
	v_pk_fma_f32 v[44:45], v[50:51], s[16:17], v[60:61] op_sel:[0,0,1] op_sel_hi:[0,1,0] neg_lo:[1,0,0] neg_hi:[1,0,0]
	v_add_f32_e32 v44, v61, v58
	s_branch .LBB129_60
.LBB129_50:                             ;   in Loop: Header=BB129_4 Depth=1
                                        ; implicit-def: $vgpr45
	s_cbranch_execz .LBB129_60
; %bb.51:                               ;   in Loop: Header=BB129_4 Depth=1
                                        ; implicit-def: $vgpr45
	s_and_saveexec_b64 s[14:15], s[12:13]
	s_xor_b64 s[14:15], exec, s[14:15]
	s_cbranch_execz .LBB129_57
; %bb.52:                               ;   in Loop: Header=BB129_4 Depth=1
	v_cmp_neq_f32_e32 vcc, 0, v48
	v_cmp_neq_f32_e64 s[12:13], 0, v49
	s_or_b64 s[12:13], s[12:13], vcc
                                        ; implicit-def: $vgpr45
	s_and_saveexec_b64 s[30:31], s[12:13]
	s_xor_b64 s[12:13], exec, s[30:31]
	s_cbranch_execz .LBB129_54
; %bb.53:                               ;   in Loop: Header=BB129_4 Depth=1
	v_div_scale_f32 v44, s[30:31], v48, v48, v49
	v_rcp_f32_e32 v45, v44
	v_div_scale_f32 v50, vcc, v49, v48, v49
	v_fma_f32 v51, -v44, v45, 1.0
	v_fmac_f32_e32 v45, v51, v45
	v_mul_f32_e32 v51, v50, v45
	v_fma_f32 v52, -v44, v51, v50
	v_fmac_f32_e32 v51, v52, v45
	v_fma_f32 v44, -v44, v51, v50
	v_div_fmas_f32 v44, v44, v45, v51
	v_div_fixup_f32 v44, v44, v48, v49
	v_fmac_f32_e32 v48, v49, v44
	v_div_scale_f32 v45, s[30:31], v48, v48, 1.0
	v_rcp_f32_e32 v49, v45
	v_fma_f32 v50, -v45, v49, 1.0
	v_fmac_f32_e32 v49, v50, v49
	v_div_scale_f32 v50, vcc, 1.0, v48, 1.0
	v_mul_f32_e32 v51, v50, v49
	v_fma_f32 v52, -v45, v51, v50
	v_fmac_f32_e32 v51, v52, v49
	v_fma_f32 v45, -v45, v51, v50
	v_div_fmas_f32 v45, v45, v49, v51
	v_div_fixup_f32 v48, v45, v48, 1.0
	v_pk_mul_f32 v[44:45], v[46:47], v[44:45] op_sel_hi:[1,0]
	v_pk_add_f32 v[50:51], v[46:47], v[44:45] op_sel:[0,1] op_sel_hi:[1,0] neg_lo:[0,1] neg_hi:[0,1]
	v_pk_add_f32 v[44:45], v[46:47], v[44:45] op_sel:[0,1] op_sel_hi:[1,0]
	v_mov_b32_e32 v51, v45
	v_pk_mul_f32 v[44:45], v[50:51], v[48:49] op_sel_hi:[1,0]
                                        ; implicit-def: $vgpr52
                                        ; implicit-def: $vgpr46_vgpr47
                                        ; implicit-def: $vgpr51
.LBB129_54:                             ;   in Loop: Header=BB129_4 Depth=1
	s_andn2_saveexec_b64 s[12:13], s[12:13]
	s_cbranch_execz .LBB129_56
; %bb.55:                               ;   in Loop: Header=BB129_4 Depth=1
	v_div_scale_f32 v44, s[30:31], v52, v52, v46
	v_rcp_f32_e32 v45, v44
	v_div_scale_f32 v48, vcc, v46, v52, v46
	v_fma_f32 v49, -v44, v45, 1.0
	v_fmac_f32_e32 v45, v49, v45
	v_mul_f32_e32 v49, v48, v45
	v_fma_f32 v50, -v44, v49, v48
	v_fmac_f32_e32 v49, v50, v45
	v_fma_f32 v44, -v44, v49, v48
	v_div_scale_f32 v48, s[30:31], v51, v51, v47
	v_rcp_f32_e32 v50, v48
	v_div_fmas_f32 v44, v44, v45, v49
	v_div_fixup_f32 v44, v44, v52, v46
	v_fma_f32 v45, -v48, v50, 1.0
	v_fmac_f32_e32 v50, v45, v50
	v_div_scale_f32 v45, vcc, v47, v51, v47
	v_mul_f32_e32 v46, v45, v50
	v_fma_f32 v49, -v48, v46, v45
	v_fmac_f32_e32 v46, v49, v50
	v_fma_f32 v45, -v48, v46, v45
	v_div_fmas_f32 v45, v45, v50, v46
	v_div_fixup_f32 v45, v45, v51, v47
.LBB129_56:                             ;   in Loop: Header=BB129_4 Depth=1
	s_or_b64 exec, exec, s[12:13]
                                        ; implicit-def: $vgpr49
                                        ; implicit-def: $vgpr46_vgpr47
.LBB129_57:                             ;   in Loop: Header=BB129_4 Depth=1
	s_andn2_saveexec_b64 s[12:13], s[14:15]
	s_cbranch_execz .LBB129_59
; %bb.58:                               ;   in Loop: Header=BB129_4 Depth=1
	v_div_scale_f32 v44, s[14:15], v49, v49, v48
	v_rcp_f32_e32 v45, v44
	v_div_scale_f32 v50, vcc, v48, v49, v48
	v_fma_f32 v51, -v44, v45, 1.0
	v_fmac_f32_e32 v45, v51, v45
	v_mul_f32_e32 v51, v50, v45
	v_fma_f32 v52, -v44, v51, v50
	v_fmac_f32_e32 v51, v52, v45
	v_fma_f32 v44, -v44, v51, v50
	v_div_fmas_f32 v44, v44, v45, v51
	v_div_fixup_f32 v44, v44, v49, v48
	v_fmac_f32_e32 v49, v48, v44
	v_div_scale_f32 v45, s[14:15], v49, v49, 1.0
	v_rcp_f32_e32 v48, v45
	v_fma_f32 v50, -v45, v48, 1.0
	v_fmac_f32_e32 v48, v50, v48
	v_div_scale_f32 v50, vcc, 1.0, v49, 1.0
	v_mul_f32_e32 v51, v50, v48
	v_fma_f32 v52, -v45, v51, v50
	v_fmac_f32_e32 v51, v52, v48
	v_fma_f32 v45, -v45, v51, v50
	v_div_fmas_f32 v45, v45, v48, v51
	v_div_fixup_f32 v48, v45, v49, 1.0
	v_pk_fma_f32 v[50:51], v[46:47], v[44:45], v[46:47] op_sel:[0,0,1] op_sel_hi:[1,1,0] neg_lo:[0,0,1] neg_hi:[0,0,1]
	v_pk_fma_f32 v[44:45], v[46:47], v[44:45], v[46:47] op_sel:[0,0,1] op_sel_hi:[1,0,0]
	v_mov_b32_e32 v51, v45
	v_pk_mul_f32 v[44:45], v[50:51], v[48:49] op_sel_hi:[1,0]
.LBB129_59:                             ;   in Loop: Header=BB129_4 Depth=1
	s_or_b64 exec, exec, s[12:13]
.LBB129_60:                             ;   in Loop: Header=BB129_4 Depth=1
	v_cmp_gt_f32_e32 vcc, 0, v42
	v_cndmask_b32_e64 v49, v42, -v42, vcc
	v_cmp_gt_f32_e32 vcc, 0, v43
	v_cndmask_b32_e64 v50, v43, -v43, vcc
	s_and_b64 vcc, exec, s[10:11]
	v_cmp_ge_f32_e64 s[12:13], v49, v50
	s_cbranch_vccnz .LBB129_70
; %bb.61:                               ;   in Loop: Header=BB129_4 Depth=1
                                        ; implicit-def: $vgpr48
                                        ; implicit-def: $vgpr46
	s_and_saveexec_b64 s[14:15], s[12:13]
	s_xor_b64 s[30:31], exec, s[14:15]
	s_cbranch_execz .LBB129_67
; %bb.62:                               ;   in Loop: Header=BB129_4 Depth=1
	v_cmp_neq_f32_e32 vcc, 0, v42
	v_cmp_neq_f32_e64 s[14:15], 0, v43
	s_or_b64 s[14:15], s[14:15], vcc
                                        ; implicit-def: $vgpr48
                                        ; implicit-def: $vgpr46
	s_and_saveexec_b64 s[42:43], s[14:15]
	s_xor_b64 s[14:15], exec, s[42:43]
	s_cbranch_execz .LBB129_64
; %bb.63:                               ;   in Loop: Header=BB129_4 Depth=1
	v_div_scale_f32 v46, s[42:43], v42, v42, v43
	v_rcp_f32_e32 v47, v46
	v_div_scale_f32 v48, vcc, v43, v42, v43
	v_fma_f32 v51, -v46, v47, 1.0
	v_fmac_f32_e32 v47, v51, v47
	v_mul_f32_e32 v51, v48, v47
	v_fma_f32 v52, -v46, v51, v48
	v_fmac_f32_e32 v51, v52, v47
	v_fma_f32 v46, -v46, v51, v48
	v_div_fmas_f32 v46, v46, v47, v51
	v_div_fixup_f32 v47, v46, v42, v43
	v_fma_f32 v46, v43, v47, v42
	v_div_scale_f32 v48, s[42:43], v46, v46, 1.0
	v_rcp_f32_e32 v51, v48
	v_fma_f32 v52, -v48, v51, 1.0
	v_fmac_f32_e32 v51, v52, v51
	v_div_scale_f32 v52, vcc, 1.0, v46, 1.0
	v_mul_f32_e32 v58, v52, v51
	v_fma_f32 v59, -v48, v58, v52
	v_fmac_f32_e32 v58, v59, v51
	v_fma_f32 v48, -v48, v58, v52
	v_div_fmas_f32 v48, v48, v51, v58
	v_div_fixup_f32 v48, v48, v46, 1.0
	v_fma_f32 v46, v40, v47, v41
	v_fma_f32 v47, -v41, v47, v40
	v_mul_f32_e32 v46, v46, v48
	v_mul_f32_e32 v48, v47, v48
.LBB129_64:                             ;   in Loop: Header=BB129_4 Depth=1
	s_andn2_saveexec_b64 s[14:15], s[14:15]
	s_cbranch_execz .LBB129_66
; %bb.65:                               ;   in Loop: Header=BB129_4 Depth=1
	v_div_scale_f32 v46, s[42:43], v49, v49, v41
	v_rcp_f32_e32 v47, v46
	v_div_scale_f32 v48, vcc, v41, v49, v41
	v_fma_f32 v51, -v46, v47, 1.0
	v_fmac_f32_e32 v47, v51, v47
	v_mul_f32_e32 v51, v48, v47
	v_fma_f32 v52, -v46, v51, v48
	v_fmac_f32_e32 v51, v52, v47
	v_fma_f32 v46, -v46, v51, v48
	v_div_scale_f32 v48, s[42:43], v50, v50, v40
	v_rcp_f32_e32 v52, v48
	v_div_fmas_f32 v46, v46, v47, v51
	v_div_fixup_f32 v46, v46, v49, v41
	v_fma_f32 v47, -v48, v52, 1.0
	v_fmac_f32_e32 v52, v47, v52
	v_div_scale_f32 v47, vcc, v40, v50, v40
	v_mul_f32_e32 v51, v47, v52
	v_fma_f32 v58, -v48, v51, v47
	v_fmac_f32_e32 v51, v58, v52
	v_fma_f32 v47, -v48, v51, v47
	v_div_fmas_f32 v47, v47, v52, v51
	v_div_fixup_f32 v48, v47, v50, v40
.LBB129_66:                             ;   in Loop: Header=BB129_4 Depth=1
	s_or_b64 exec, exec, s[14:15]
.LBB129_67:                             ;   in Loop: Header=BB129_4 Depth=1
	s_andn2_saveexec_b64 s[14:15], s[30:31]
	s_cbranch_execz .LBB129_69
; %bb.68:                               ;   in Loop: Header=BB129_4 Depth=1
	v_div_scale_f32 v46, s[30:31], v43, v43, v42
	v_rcp_f32_e32 v47, v46
	v_div_scale_f32 v48, vcc, v42, v43, v42
	v_fma_f32 v51, -v46, v47, 1.0
	v_fmac_f32_e32 v47, v51, v47
	v_mul_f32_e32 v51, v48, v47
	v_fma_f32 v52, -v46, v51, v48
	v_fmac_f32_e32 v51, v52, v47
	v_fma_f32 v46, -v46, v51, v48
	v_div_fmas_f32 v46, v46, v47, v51
	v_div_fixup_f32 v47, v46, v43, v42
	v_fma_f32 v46, v42, v47, v43
	v_div_scale_f32 v48, s[30:31], v46, v46, 1.0
	v_rcp_f32_e32 v51, v48
	v_fma_f32 v52, -v48, v51, 1.0
	v_fmac_f32_e32 v51, v52, v51
	v_div_scale_f32 v52, vcc, 1.0, v46, 1.0
	v_mul_f32_e32 v58, v52, v51
	v_fma_f32 v59, -v48, v58, v52
	v_fmac_f32_e32 v58, v59, v51
	v_fma_f32 v48, -v48, v58, v52
	v_div_fmas_f32 v48, v48, v51, v58
	v_div_fixup_f32 v48, v48, v46, 1.0
	v_fma_f32 v46, v41, v47, v40
	v_fma_f32 v47, v40, v47, -v41
	v_mul_f32_e32 v46, v46, v48
	v_mul_f32_e32 v48, v47, v48
.LBB129_69:                             ;   in Loop: Header=BB129_4 Depth=1
	s_or_b64 exec, exec, s[14:15]
	v_pk_mul_f32 v[60:61], v[46:47], s[16:17] op_sel_hi:[0,1]
	v_pk_mul_f32 v[58:59], v[48:49], s[16:17] op_sel_hi:[0,1]
	v_pk_fma_f32 v[46:47], v[48:49], s[16:17], v[60:61] op_sel:[0,0,1] op_sel_hi:[0,1,0] neg_lo:[1,0,0] neg_hi:[1,0,0]
	v_add_f32_e32 v46, v61, v58
	s_branch .LBB129_80
.LBB129_70:                             ;   in Loop: Header=BB129_4 Depth=1
                                        ; implicit-def: $vgpr47
	s_cbranch_execz .LBB129_80
; %bb.71:                               ;   in Loop: Header=BB129_4 Depth=1
                                        ; implicit-def: $vgpr47
	s_and_saveexec_b64 s[14:15], s[12:13]
	s_xor_b64 s[14:15], exec, s[14:15]
	s_cbranch_execz .LBB129_77
; %bb.72:                               ;   in Loop: Header=BB129_4 Depth=1
	v_cmp_neq_f32_e32 vcc, 0, v42
	v_cmp_neq_f32_e64 s[12:13], 0, v43
	s_or_b64 s[12:13], s[12:13], vcc
                                        ; implicit-def: $vgpr47
	s_and_saveexec_b64 s[30:31], s[12:13]
	s_xor_b64 s[12:13], exec, s[30:31]
	s_cbranch_execz .LBB129_74
; %bb.73:                               ;   in Loop: Header=BB129_4 Depth=1
	v_div_scale_f32 v46, s[30:31], v42, v42, v43
	v_rcp_f32_e32 v47, v46
	v_div_scale_f32 v48, vcc, v43, v42, v43
	v_fma_f32 v49, -v46, v47, 1.0
	v_fmac_f32_e32 v47, v49, v47
	v_mul_f32_e32 v49, v48, v47
	v_fma_f32 v50, -v46, v49, v48
	v_fmac_f32_e32 v49, v50, v47
	v_fma_f32 v46, -v46, v49, v48
	v_div_fmas_f32 v46, v46, v47, v49
	v_div_fixup_f32 v46, v46, v42, v43
	v_fmac_f32_e32 v42, v43, v46
	v_div_scale_f32 v43, s[30:31], v42, v42, 1.0
	v_rcp_f32_e32 v47, v43
	v_fma_f32 v48, -v43, v47, 1.0
	v_fmac_f32_e32 v47, v48, v47
	v_div_scale_f32 v48, vcc, 1.0, v42, 1.0
	v_mul_f32_e32 v49, v48, v47
	v_fma_f32 v50, -v43, v49, v48
	v_fmac_f32_e32 v49, v50, v47
	v_fma_f32 v43, -v43, v49, v48
	v_div_fmas_f32 v43, v43, v47, v49
	v_pk_mul_f32 v[46:47], v[40:41], v[46:47] op_sel_hi:[1,0]
	v_pk_add_f32 v[48:49], v[40:41], v[46:47] op_sel:[0,1] op_sel_hi:[1,0] neg_lo:[0,1] neg_hi:[0,1]
	v_pk_add_f32 v[40:41], v[40:41], v[46:47] op_sel:[0,1] op_sel_hi:[1,0]
	v_div_fixup_f32 v42, v43, v42, 1.0
	v_mov_b32_e32 v49, v41
	v_pk_mul_f32 v[46:47], v[48:49], v[42:43] op_sel_hi:[1,0]
                                        ; implicit-def: $vgpr50
                                        ; implicit-def: $vgpr40_vgpr41
                                        ; implicit-def: $vgpr49
.LBB129_74:                             ;   in Loop: Header=BB129_4 Depth=1
	s_andn2_saveexec_b64 s[12:13], s[12:13]
	s_cbranch_execz .LBB129_76
; %bb.75:                               ;   in Loop: Header=BB129_4 Depth=1
	v_div_scale_f32 v42, s[30:31], v50, v50, v40
	v_rcp_f32_e32 v43, v42
	v_div_scale_f32 v46, vcc, v40, v50, v40
	v_fma_f32 v47, -v42, v43, 1.0
	v_fmac_f32_e32 v43, v47, v43
	v_mul_f32_e32 v47, v46, v43
	v_fma_f32 v48, -v42, v47, v46
	v_fmac_f32_e32 v47, v48, v43
	v_div_scale_f32 v48, s[30:31], v49, v49, v41
	v_rcp_f32_e32 v51, v48
	v_fma_f32 v42, -v42, v47, v46
	v_div_fmas_f32 v42, v42, v43, v47
	v_div_fixup_f32 v46, v42, v50, v40
	v_fma_f32 v40, -v48, v51, 1.0
	v_fmac_f32_e32 v51, v40, v51
	v_div_scale_f32 v40, vcc, v41, v49, v41
	v_mul_f32_e32 v42, v40, v51
	v_fma_f32 v43, -v48, v42, v40
	v_fmac_f32_e32 v42, v43, v51
	v_fma_f32 v40, -v48, v42, v40
	v_div_fmas_f32 v40, v40, v51, v42
	v_div_fixup_f32 v47, v40, v49, v41
.LBB129_76:                             ;   in Loop: Header=BB129_4 Depth=1
	s_or_b64 exec, exec, s[12:13]
                                        ; implicit-def: $vgpr43
                                        ; implicit-def: $vgpr40_vgpr41
.LBB129_77:                             ;   in Loop: Header=BB129_4 Depth=1
	s_andn2_saveexec_b64 s[12:13], s[14:15]
	s_cbranch_execz .LBB129_79
; %bb.78:                               ;   in Loop: Header=BB129_4 Depth=1
	v_div_scale_f32 v46, s[14:15], v43, v43, v42
	v_rcp_f32_e32 v47, v46
	v_div_scale_f32 v48, vcc, v42, v43, v42
	v_fma_f32 v49, -v46, v47, 1.0
	v_fmac_f32_e32 v47, v49, v47
	v_mul_f32_e32 v49, v48, v47
	v_fma_f32 v50, -v46, v49, v48
	v_fmac_f32_e32 v49, v50, v47
	v_fma_f32 v46, -v46, v49, v48
	v_div_fmas_f32 v46, v46, v47, v49
	v_div_fixup_f32 v46, v46, v43, v42
	v_fmac_f32_e32 v43, v42, v46
	v_div_scale_f32 v42, s[14:15], v43, v43, 1.0
	v_rcp_f32_e32 v47, v42
	v_fma_f32 v48, -v42, v47, 1.0
	v_fmac_f32_e32 v47, v48, v47
	v_div_scale_f32 v48, vcc, 1.0, v43, 1.0
	v_mul_f32_e32 v49, v48, v47
	v_fma_f32 v50, -v42, v49, v48
	v_fmac_f32_e32 v49, v50, v47
	v_fma_f32 v42, -v42, v49, v48
	v_div_fmas_f32 v42, v42, v47, v49
	v_pk_fma_f32 v[48:49], v[40:41], v[46:47], v[40:41] op_sel:[0,0,1] op_sel_hi:[1,1,0] neg_lo:[0,0,1] neg_hi:[0,0,1]
	v_pk_fma_f32 v[40:41], v[40:41], v[46:47], v[40:41] op_sel:[0,0,1] op_sel_hi:[1,0,0]
	v_div_fixup_f32 v42, v42, v43, 1.0
	v_mov_b32_e32 v49, v41
	v_pk_mul_f32 v[46:47], v[48:49], v[42:43] op_sel_hi:[1,0]
.LBB129_79:                             ;   in Loop: Header=BB129_4 Depth=1
	s_or_b64 exec, exec, s[12:13]
.LBB129_80:                             ;   in Loop: Header=BB129_4 Depth=1
	v_cmp_gt_f32_e32 vcc, 0, v36
	v_cndmask_b32_e64 v41, v36, -v36, vcc
	v_cmp_gt_f32_e32 vcc, 0, v37
	v_cndmask_b32_e64 v48, v37, -v37, vcc
	s_and_b64 vcc, exec, s[10:11]
	v_cmp_ge_f32_e64 s[10:11], v41, v48
	s_cbranch_vccnz .LBB129_90
; %bb.81:                               ;   in Loop: Header=BB129_4 Depth=1
                                        ; implicit-def: $vgpr42
                                        ; implicit-def: $vgpr40
	s_and_saveexec_b64 s[12:13], s[10:11]
	s_xor_b64 s[14:15], exec, s[12:13]
	s_cbranch_execz .LBB129_87
; %bb.82:                               ;   in Loop: Header=BB129_4 Depth=1
	v_cmp_neq_f32_e32 vcc, 0, v36
	v_cmp_neq_f32_e64 s[12:13], 0, v37
	s_or_b64 s[12:13], s[12:13], vcc
                                        ; implicit-def: $vgpr42
                                        ; implicit-def: $vgpr40
	s_and_saveexec_b64 s[30:31], s[12:13]
	s_xor_b64 s[12:13], exec, s[30:31]
	s_cbranch_execz .LBB129_84
; %bb.83:                               ;   in Loop: Header=BB129_4 Depth=1
	v_div_scale_f32 v40, s[30:31], v36, v36, v37
	v_rcp_f32_e32 v42, v40
	v_div_scale_f32 v43, vcc, v37, v36, v37
	v_fma_f32 v49, -v40, v42, 1.0
	v_fmac_f32_e32 v42, v49, v42
	v_mul_f32_e32 v49, v43, v42
	v_fma_f32 v50, -v40, v49, v43
	v_fmac_f32_e32 v49, v50, v42
	v_fma_f32 v40, -v40, v49, v43
	v_div_fmas_f32 v40, v40, v42, v49
	v_div_fixup_f32 v42, v40, v36, v37
	v_fma_f32 v40, v37, v42, v36
	v_div_scale_f32 v43, s[30:31], v40, v40, 1.0
	v_rcp_f32_e32 v49, v43
	v_fma_f32 v50, -v43, v49, 1.0
	v_fmac_f32_e32 v49, v50, v49
	v_div_scale_f32 v50, vcc, 1.0, v40, 1.0
	v_mul_f32_e32 v51, v50, v49
	v_fma_f32 v52, -v43, v51, v50
	v_fmac_f32_e32 v51, v52, v49
	v_fma_f32 v43, -v43, v51, v50
	v_div_fmas_f32 v43, v43, v49, v51
	v_div_fixup_f32 v43, v43, v40, 1.0
	v_fma_f32 v40, v34, v42, v35
	v_fma_f32 v42, -v35, v42, v34
	v_mul_f32_e32 v40, v40, v43
	v_mul_f32_e32 v42, v42, v43
.LBB129_84:                             ;   in Loop: Header=BB129_4 Depth=1
	s_andn2_saveexec_b64 s[12:13], s[12:13]
	s_cbranch_execz .LBB129_86
; %bb.85:                               ;   in Loop: Header=BB129_4 Depth=1
	v_div_scale_f32 v40, s[30:31], v41, v41, v35
	v_rcp_f32_e32 v42, v40
	v_div_scale_f32 v43, vcc, v35, v41, v35
	v_fma_f32 v49, -v40, v42, 1.0
	v_fmac_f32_e32 v42, v49, v42
	v_mul_f32_e32 v49, v43, v42
	v_fma_f32 v50, -v40, v49, v43
	v_fmac_f32_e32 v49, v50, v42
	v_fma_f32 v40, -v40, v49, v43
	v_div_scale_f32 v43, s[30:31], v48, v48, v34
	v_rcp_f32_e32 v50, v43
	v_div_fmas_f32 v40, v40, v42, v49
	v_div_fixup_f32 v40, v40, v41, v35
	v_fma_f32 v42, -v43, v50, 1.0
	v_fmac_f32_e32 v50, v42, v50
	v_div_scale_f32 v42, vcc, v34, v48, v34
	v_mul_f32_e32 v49, v42, v50
	v_fma_f32 v51, -v43, v49, v42
	v_fmac_f32_e32 v49, v51, v50
	v_fma_f32 v42, -v43, v49, v42
	v_div_fmas_f32 v42, v42, v50, v49
	v_div_fixup_f32 v42, v42, v48, v34
.LBB129_86:                             ;   in Loop: Header=BB129_4 Depth=1
	s_or_b64 exec, exec, s[12:13]
.LBB129_87:                             ;   in Loop: Header=BB129_4 Depth=1
	s_andn2_saveexec_b64 s[12:13], s[14:15]
	s_cbranch_execz .LBB129_89
; %bb.88:                               ;   in Loop: Header=BB129_4 Depth=1
	v_div_scale_f32 v40, s[14:15], v37, v37, v36
	v_rcp_f32_e32 v42, v40
	v_div_scale_f32 v43, vcc, v36, v37, v36
	v_fma_f32 v49, -v40, v42, 1.0
	v_fmac_f32_e32 v42, v49, v42
	v_mul_f32_e32 v49, v43, v42
	v_fma_f32 v50, -v40, v49, v43
	v_fmac_f32_e32 v49, v50, v42
	v_fma_f32 v40, -v40, v49, v43
	v_div_fmas_f32 v40, v40, v42, v49
	v_div_fixup_f32 v42, v40, v37, v36
	v_fma_f32 v40, v36, v42, v37
	v_div_scale_f32 v43, s[14:15], v40, v40, 1.0
	v_rcp_f32_e32 v49, v43
	v_fma_f32 v50, -v43, v49, 1.0
	v_fmac_f32_e32 v49, v50, v49
	v_div_scale_f32 v50, vcc, 1.0, v40, 1.0
	v_mul_f32_e32 v51, v50, v49
	v_fma_f32 v52, -v43, v51, v50
	v_fmac_f32_e32 v51, v52, v49
	v_fma_f32 v43, -v43, v51, v50
	v_div_fmas_f32 v43, v43, v49, v51
	v_div_fixup_f32 v43, v43, v40, 1.0
	v_fma_f32 v40, v35, v42, v34
	v_fma_f32 v42, v34, v42, -v35
	v_mul_f32_e32 v40, v40, v43
	v_mul_f32_e32 v42, v42, v43
.LBB129_89:                             ;   in Loop: Header=BB129_4 Depth=1
	s_or_b64 exec, exec, s[12:13]
	v_pk_mul_f32 v[50:51], v[40:41], s[16:17] op_sel_hi:[0,1]
	v_pk_mul_f32 v[58:59], v[42:43], s[26:27] op_sel_hi:[0,1]
	v_pk_fma_f32 v[42:43], v[40:41], s[16:17], v[58:59] op_sel_hi:[0,1,1] neg_lo:[0,0,1] neg_hi:[0,0,1]
	v_add_f32_e32 v40, v51, v59
	s_branch .LBB129_100
.LBB129_90:                             ;   in Loop: Header=BB129_4 Depth=1
                                        ; implicit-def: $vgpr42
                                        ; implicit-def: $vgpr40
	s_cbranch_execz .LBB129_100
; %bb.91:                               ;   in Loop: Header=BB129_4 Depth=1
                                        ; implicit-def: $vgpr42
                                        ; implicit-def: $vgpr40
	s_and_saveexec_b64 s[12:13], s[10:11]
	s_xor_b64 s[12:13], exec, s[12:13]
	s_cbranch_execz .LBB129_97
; %bb.92:                               ;   in Loop: Header=BB129_4 Depth=1
	v_cmp_neq_f32_e32 vcc, 0, v36
	v_cmp_neq_f32_e64 s[10:11], 0, v37
	s_or_b64 s[10:11], s[10:11], vcc
                                        ; implicit-def: $vgpr42
                                        ; implicit-def: $vgpr40
	s_and_saveexec_b64 s[14:15], s[10:11]
	s_xor_b64 s[10:11], exec, s[14:15]
	s_cbranch_execz .LBB129_94
; %bb.93:                               ;   in Loop: Header=BB129_4 Depth=1
	v_div_scale_f32 v40, s[14:15], v36, v36, v37
	v_rcp_f32_e32 v41, v40
	v_div_scale_f32 v42, vcc, v37, v36, v37
	v_fma_f32 v43, -v40, v41, 1.0
	v_fmac_f32_e32 v41, v43, v41
	v_mul_f32_e32 v43, v42, v41
	v_fma_f32 v48, -v40, v43, v42
	v_fmac_f32_e32 v43, v48, v41
	v_fma_f32 v40, -v40, v43, v42
	v_div_fmas_f32 v40, v40, v41, v43
	v_div_fixup_f32 v40, v40, v36, v37
	v_fmac_f32_e32 v36, v37, v40
	v_div_scale_f32 v37, s[14:15], v36, v36, 1.0
	v_rcp_f32_e32 v41, v37
	v_fma_f32 v42, -v37, v41, 1.0
	v_fmac_f32_e32 v41, v42, v41
	v_div_scale_f32 v42, vcc, 1.0, v36, 1.0
	v_mul_f32_e32 v43, v42, v41
	v_fma_f32 v48, -v37, v43, v42
	v_fmac_f32_e32 v43, v48, v41
	v_fma_f32 v37, -v37, v43, v42
	v_div_fmas_f32 v37, v37, v41, v43
	v_pk_mul_f32 v[40:41], v[34:35], v[40:41] op_sel_hi:[1,0]
	v_pk_add_f32 v[42:43], v[34:35], v[40:41] op_sel:[0,1] op_sel_hi:[1,0] neg_lo:[0,1] neg_hi:[0,1]
	v_pk_add_f32 v[34:35], v[34:35], v[40:41] op_sel:[0,1] op_sel_hi:[1,0]
	v_div_fixup_f32 v36, v37, v36, 1.0
	v_mov_b32_e32 v43, v35
	v_pk_mul_f32 v[40:41], v[42:43], v[36:37] op_sel_hi:[1,0]
	v_mov_b32_e32 v42, v41
                                        ; implicit-def: $vgpr48
                                        ; implicit-def: $vgpr34_vgpr35
                                        ; implicit-def: $vgpr41
.LBB129_94:                             ;   in Loop: Header=BB129_4 Depth=1
	s_andn2_saveexec_b64 s[10:11], s[10:11]
	s_cbranch_execz .LBB129_96
; %bb.95:                               ;   in Loop: Header=BB129_4 Depth=1
	v_div_scale_f32 v36, s[14:15], v48, v48, v34
	v_rcp_f32_e32 v37, v36
	v_div_scale_f32 v40, vcc, v34, v48, v34
	v_fma_f32 v42, -v36, v37, 1.0
	v_fmac_f32_e32 v37, v42, v37
	v_mul_f32_e32 v42, v40, v37
	v_fma_f32 v43, -v36, v42, v40
	v_fmac_f32_e32 v42, v43, v37
	v_div_scale_f32 v43, s[14:15], v41, v41, v35
	v_rcp_f32_e32 v49, v43
	v_fma_f32 v36, -v36, v42, v40
	v_div_fmas_f32 v36, v36, v37, v42
	v_div_fixup_f32 v40, v36, v48, v34
	v_fma_f32 v34, -v43, v49, 1.0
	v_fmac_f32_e32 v49, v34, v49
	v_div_scale_f32 v34, vcc, v35, v41, v35
	v_mul_f32_e32 v36, v34, v49
	v_fma_f32 v37, -v43, v36, v34
	v_fmac_f32_e32 v36, v37, v49
	v_fma_f32 v34, -v43, v36, v34
	v_div_fmas_f32 v34, v34, v49, v36
	v_div_fixup_f32 v42, v34, v41, v35
.LBB129_96:                             ;   in Loop: Header=BB129_4 Depth=1
	s_or_b64 exec, exec, s[10:11]
                                        ; implicit-def: $vgpr37
                                        ; implicit-def: $vgpr34_vgpr35
.LBB129_97:                             ;   in Loop: Header=BB129_4 Depth=1
	s_andn2_saveexec_b64 s[10:11], s[12:13]
	s_cbranch_execz .LBB129_99
; %bb.98:                               ;   in Loop: Header=BB129_4 Depth=1
	v_div_scale_f32 v40, s[12:13], v37, v37, v36
	v_rcp_f32_e32 v41, v40
	v_div_scale_f32 v42, vcc, v36, v37, v36
	v_fma_f32 v43, -v40, v41, 1.0
	v_fmac_f32_e32 v41, v43, v41
	v_mul_f32_e32 v43, v42, v41
	v_fma_f32 v48, -v40, v43, v42
	v_fmac_f32_e32 v43, v48, v41
	v_fma_f32 v40, -v40, v43, v42
	v_div_fmas_f32 v40, v40, v41, v43
	v_div_fixup_f32 v40, v40, v37, v36
	v_fmac_f32_e32 v37, v36, v40
	v_div_scale_f32 v36, s[12:13], v37, v37, 1.0
	v_rcp_f32_e32 v41, v36
	v_fma_f32 v42, -v36, v41, 1.0
	v_fmac_f32_e32 v41, v42, v41
	v_div_scale_f32 v42, vcc, 1.0, v37, 1.0
	v_mul_f32_e32 v43, v42, v41
	v_fma_f32 v48, -v36, v43, v42
	v_fmac_f32_e32 v43, v48, v41
	v_fma_f32 v36, -v36, v43, v42
	v_div_fmas_f32 v36, v36, v41, v43
	v_pk_fma_f32 v[42:43], v[34:35], v[40:41], v[34:35] op_sel:[0,0,1] op_sel_hi:[1,1,0] neg_lo:[0,0,1] neg_hi:[0,0,1]
	v_pk_fma_f32 v[34:35], v[34:35], v[40:41], v[34:35] op_sel:[0,0,1] op_sel_hi:[1,0,0]
	v_div_fixup_f32 v36, v36, v37, 1.0
	v_mov_b32_e32 v43, v35
	v_pk_mul_f32 v[40:41], v[42:43], v[36:37] op_sel_hi:[1,0]
	v_mov_b32_e32 v42, v41
.LBB129_99:                             ;   in Loop: Header=BB129_4 Depth=1
	s_or_b64 exec, exec, s[10:11]
.LBB129_100:                            ;   in Loop: Header=BB129_4 Depth=1
	s_and_saveexec_b64 s[10:11], s[0:1]
	s_xor_b64 s[0:1], exec, s[10:11]
	s_cbranch_execnz .LBB129_104
; %bb.101:                              ;   in Loop: Header=BB129_4 Depth=1
	s_or_b64 exec, exec, s[0:1]
	s_and_saveexec_b64 s[0:1], s[2:3]
	s_cbranch_execnz .LBB129_105
.LBB129_102:                            ;   in Loop: Header=BB129_4 Depth=1
	s_or_b64 exec, exec, s[0:1]
	s_and_saveexec_b64 s[0:1], s[6:7]
	s_cbranch_execnz .LBB129_106
.LBB129_103:                            ;   in Loop: Header=BB129_4 Depth=1
	s_or_b64 exec, exec, s[0:1]
	s_and_saveexec_b64 s[0:1], s[8:9]
	s_cbranch_execz .LBB129_3
	s_branch .LBB129_107
.LBB129_104:                            ;   in Loop: Header=BB129_4 Depth=1
	v_mov_b32_e32 v35, s21
	v_add_co_u32_e32 v34, vcc, s20, v2
	v_add_f32_e32 v26, v26, v39
	v_add_f32_e32 v27, v27, v38
	v_addc_co_u32_e32 v35, vcc, v1, v35, vcc
	global_store_dwordx2 v[34:35], v[26:27], off
	s_or_b64 exec, exec, s[0:1]
	s_and_saveexec_b64 s[0:1], s[2:3]
	s_cbranch_execz .LBB129_102
.LBB129_105:                            ;   in Loop: Header=BB129_4 Depth=1
	v_add_f32_e32 v26, v28, v45
	v_add_f32_e32 v27, v29, v44
	v_mov_b32_e32 v29, s21
	v_add_co_u32_e32 v28, vcc, s20, v20
	v_addc_co_u32_e32 v29, vcc, v19, v29, vcc
	global_store_dwordx2 v[28:29], v[26:27], off
	s_or_b64 exec, exec, s[0:1]
	s_and_saveexec_b64 s[0:1], s[6:7]
	s_cbranch_execz .LBB129_103
.LBB129_106:                            ;   in Loop: Header=BB129_4 Depth=1
	v_mov_b32_e32 v29, s21
	v_add_co_u32_e32 v28, vcc, s20, v14
	v_add_f32_e32 v26, v30, v47
	v_add_f32_e32 v27, v31, v46
	v_addc_co_u32_e32 v29, vcc, v13, v29, vcc
	global_store_dwordx2 v[28:29], v[26:27], off
	s_or_b64 exec, exec, s[0:1]
	s_and_saveexec_b64 s[0:1], s[8:9]
	s_cbranch_execz .LBB129_3
.LBB129_107:                            ;   in Loop: Header=BB129_4 Depth=1
	v_mov_b32_e32 v29, s21
	v_add_co_u32_e32 v28, vcc, s20, v8
	v_add_f32_e32 v26, v32, v42
	v_add_f32_e32 v27, v33, v40
	v_addc_co_u32_e32 v29, vcc, v7, v29, vcc
	global_store_dwordx2 v[28:29], v[26:27], off
	s_branch .LBB129_3
.LBB129_108:
	s_mov_b64 s[8:9], 0
.LBB129_109:
	s_andn2_b64 vcc, exec, s[8:9]
	s_cbranch_vccnz .LBB129_193
; %bb.110:
	v_mov_b32_e32 v25, 0
	v_lshlrev_b32_e32 v24, 2, v0
	s_mov_b32 s14, 0
	v_cmp_gt_i64_e32 vcc, s[18:19], v[24:25]
	s_and_saveexec_b64 s[0:1], vcc
	s_cbranch_execz .LBB129_193
; %bb.111:
	s_load_dword s4, s[4:5], 0xdd4
	s_and_b32 s2, s17, 0x7fffffff
	s_cmp_lg_u32 s2, 0
	v_cmp_neq_f32_e64 s[0:1], s16, 1.0
	s_cselect_b64 s[2:3], -1, 0
	s_or_b64 s[6:7], s[0:1], s[2:3]
	s_waitcnt lgkmcnt(0)
	s_and_b32 s0, s4, 0xffff
	v_add_lshl_u32 v24, v0, s0, 2
	s_lshl_b32 s15, s0, 2
	v_lshlrev_b32_e32 v26, 5, v0
	s_lshl_b32 s20, s0, 5
	s_mov_b64 s[8:9], 0
	s_mov_b64 s[10:11], 0xffff
	s_branch .LBB129_114
.LBB129_112:                            ;   in Loop: Header=BB129_114 Depth=1
	s_or_b64 exec, exec, s[0:1]
.LBB129_113:                            ;   in Loop: Header=BB129_114 Depth=1
	v_cmp_le_i64_e32 vcc, s[18:19], v[24:25]
	v_cmp_lt_u64_e64 s[0:1], s[10:11], v[24:25]
	s_or_b64 s[0:1], vcc, s[0:1]
	s_add_u32 s33, s33, s20
	s_addc_u32 s34, s34, 0
	s_add_u32 s37, s37, s20
	s_addc_u32 s38, s38, 0
	s_add_u32 s35, s35, s20
	v_add_f32_e32 v0, v0, v16
	v_add_f32_e32 v6, v6, v31
	;; [unrolled: 1-line block ×5, first 2 shown]
	s_addc_u32 s36, s36, 0
	v_add_f32_e32 v1, v1, v17
	v_add_f32_e32 v2, v2, v8
	;; [unrolled: 1-line block ×3, first 2 shown]
	global_store_dwordx4 v[28:29], v[4:7], off
	global_store_dwordx4 v[28:29], v[0:3], off offset:16
	s_and_b64 s[0:1], exec, s[0:1]
	v_mov_b32_e32 v0, s14
	v_add_co_u32_e32 v24, vcc, s15, v24
	s_or_b64 s[8:9], s[0:1], s[8:9]
	v_addc_co_u32_e32 v25, vcc, v25, v0, vcc
	s_andn2_b64 exec, exec, s[8:9]
	s_cbranch_execz .LBB129_193
.LBB129_114:                            ; =>This Inner Loop Header: Depth=1
	v_mov_b32_e32 v0, s34
	v_add_co_u32_e32 v28, vcc, s33, v26
	v_addc_co_u32_e32 v29, vcc, 0, v0, vcc
	v_mov_b32_e32 v9, s38
	v_add_co_u32_e32 v8, vcc, s37, v26
	v_addc_co_u32_e32 v9, vcc, 0, v9, vcc
	global_load_dwordx4 v[0:3], v[28:29], off offset:16
	global_load_dwordx4 v[4:7], v[28:29], off
	global_load_dwordx4 v[12:15], v[8:9], off offset:16
	global_load_dwordx4 v[20:23], v[8:9], off
	v_mov_b32_e32 v8, s36
	v_add_co_u32_e32 v30, vcc, s35, v26
	v_addc_co_u32_e32 v31, vcc, 0, v8, vcc
	global_load_dwordx4 v[8:11], v[30:31], off offset:16
	global_load_dwordx4 v[16:19], v[30:31], off
	s_and_b64 vcc, exec, s[6:7]
	s_waitcnt vmcnt(2)
	v_cmp_gt_f32_e64 s[0:1], 0, v20
	v_cndmask_b32_e64 v32, v20, -v20, s[0:1]
	v_cmp_gt_f32_e64 s[0:1], 0, v21
	v_cndmask_b32_e64 v31, v21, -v21, s[0:1]
	v_cmp_ge_f32_e64 s[0:1], v32, v31
	s_cbranch_vccz .LBB129_124
; %bb.115:                              ;   in Loop: Header=BB129_114 Depth=1
                                        ; implicit-def: $vgpr30
                                        ; implicit-def: $vgpr33
	s_and_saveexec_b64 s[2:3], s[0:1]
	s_xor_b64 s[4:5], exec, s[2:3]
	s_cbranch_execz .LBB129_121
; %bb.116:                              ;   in Loop: Header=BB129_114 Depth=1
	v_cmp_neq_f32_e32 vcc, 0, v20
	v_cmp_neq_f32_e64 s[2:3], 0, v21
	s_or_b64 s[2:3], vcc, s[2:3]
                                        ; implicit-def: $vgpr30
                                        ; implicit-def: $vgpr33
	s_and_saveexec_b64 s[12:13], s[2:3]
	s_xor_b64 s[2:3], exec, s[12:13]
	s_cbranch_execz .LBB129_118
; %bb.117:                              ;   in Loop: Header=BB129_114 Depth=1
	v_div_scale_f32 v27, s[12:13], v20, v20, v21
	v_rcp_f32_e32 v30, v27
	v_div_scale_f32 v33, vcc, v21, v20, v21
	v_fma_f32 v34, -v27, v30, 1.0
	v_fmac_f32_e32 v30, v34, v30
	v_mul_f32_e32 v34, v33, v30
	v_fma_f32 v35, -v27, v34, v33
	v_fmac_f32_e32 v34, v35, v30
	v_fma_f32 v27, -v27, v34, v33
	v_div_fmas_f32 v27, v27, v30, v34
	v_div_fixup_f32 v27, v27, v20, v21
	v_fma_f32 v30, v21, v27, v20
	v_div_scale_f32 v33, s[12:13], v30, v30, 1.0
	v_rcp_f32_e32 v34, v33
	v_fma_f32 v35, -v33, v34, 1.0
	v_fmac_f32_e32 v34, v35, v34
	v_div_scale_f32 v35, vcc, 1.0, v30, 1.0
	v_mul_f32_e32 v36, v35, v34
	v_fma_f32 v37, -v33, v36, v35
	v_fmac_f32_e32 v36, v37, v34
	v_fma_f32 v33, -v33, v36, v35
	v_div_fmas_f32 v33, v33, v34, v36
	v_div_fixup_f32 v30, v33, v30, 1.0
	s_waitcnt vmcnt(0)
	v_fma_f32 v33, v17, v27, v16
	v_fma_f32 v27, -v16, v27, v17
	v_mul_f32_e32 v33, v33, v30
	v_mul_f32_e32 v30, v27, v30
.LBB129_118:                            ;   in Loop: Header=BB129_114 Depth=1
	s_andn2_saveexec_b64 s[2:3], s[2:3]
	s_cbranch_execz .LBB129_120
; %bb.119:                              ;   in Loop: Header=BB129_114 Depth=1
	s_waitcnt vmcnt(0)
	v_div_scale_f32 v27, s[12:13], v32, v32, v16
	v_rcp_f32_e32 v30, v27
	v_div_scale_f32 v33, vcc, v16, v32, v16
	v_fma_f32 v34, -v27, v30, 1.0
	v_fmac_f32_e32 v30, v34, v30
	v_mul_f32_e32 v34, v33, v30
	v_fma_f32 v35, -v27, v34, v33
	v_fmac_f32_e32 v34, v35, v30
	v_div_scale_f32 v35, s[12:13], v31, v31, v17
	v_rcp_f32_e32 v36, v35
	v_fma_f32 v27, -v27, v34, v33
	v_div_fmas_f32 v27, v27, v30, v34
	v_div_fixup_f32 v33, v27, v32, v16
	v_fma_f32 v27, -v35, v36, 1.0
	v_fmac_f32_e32 v36, v27, v36
	v_div_scale_f32 v27, vcc, v17, v31, v17
	v_mul_f32_e32 v30, v27, v36
	v_fma_f32 v34, -v35, v30, v27
	v_fmac_f32_e32 v30, v34, v36
	v_fma_f32 v27, -v35, v30, v27
	v_div_fmas_f32 v27, v27, v36, v30
	v_div_fixup_f32 v30, v27, v31, v17
.LBB129_120:                            ;   in Loop: Header=BB129_114 Depth=1
	s_or_b64 exec, exec, s[2:3]
.LBB129_121:                            ;   in Loop: Header=BB129_114 Depth=1
	s_andn2_saveexec_b64 s[2:3], s[4:5]
	s_cbranch_execz .LBB129_123
; %bb.122:                              ;   in Loop: Header=BB129_114 Depth=1
	v_div_scale_f32 v27, s[4:5], v21, v21, v20
	v_rcp_f32_e32 v30, v27
	v_div_scale_f32 v33, vcc, v20, v21, v20
	v_fma_f32 v34, -v27, v30, 1.0
	v_fmac_f32_e32 v30, v34, v30
	v_mul_f32_e32 v34, v33, v30
	v_fma_f32 v35, -v27, v34, v33
	v_fmac_f32_e32 v34, v35, v30
	v_fma_f32 v27, -v27, v34, v33
	v_div_fmas_f32 v27, v27, v30, v34
	v_div_fixup_f32 v27, v27, v21, v20
	v_fma_f32 v30, v20, v27, v21
	v_div_scale_f32 v33, s[4:5], v30, v30, 1.0
	v_rcp_f32_e32 v34, v33
	v_fma_f32 v35, -v33, v34, 1.0
	v_fmac_f32_e32 v34, v35, v34
	v_div_scale_f32 v35, vcc, 1.0, v30, 1.0
	v_mul_f32_e32 v36, v35, v34
	v_fma_f32 v37, -v33, v36, v35
	v_fmac_f32_e32 v36, v37, v34
	v_fma_f32 v33, -v33, v36, v35
	v_div_fmas_f32 v33, v33, v34, v36
	v_div_fixup_f32 v30, v33, v30, 1.0
	s_waitcnt vmcnt(0)
	v_fma_f32 v33, v16, v27, v17
	v_fma_f32 v27, v17, v27, -v16
	v_mul_f32_e32 v33, v33, v30
	v_mul_f32_e32 v30, v27, v30
.LBB129_123:                            ;   in Loop: Header=BB129_114 Depth=1
	s_or_b64 exec, exec, s[2:3]
	v_mul_f32_e32 v27, s17, v30
	v_mul_f32_e32 v30, s16, v30
	v_fma_f32 v27, v33, s16, -v27
	v_fmac_f32_e32 v30, s17, v33
	s_branch .LBB129_134
.LBB129_124:                            ;   in Loop: Header=BB129_114 Depth=1
                                        ; implicit-def: $vgpr30
                                        ; implicit-def: $vgpr27
	s_cbranch_execz .LBB129_134
; %bb.125:                              ;   in Loop: Header=BB129_114 Depth=1
                                        ; implicit-def: $vgpr30
                                        ; implicit-def: $vgpr27
	s_and_saveexec_b64 s[2:3], s[0:1]
	s_xor_b64 s[2:3], exec, s[2:3]
	s_cbranch_execz .LBB129_131
; %bb.126:                              ;   in Loop: Header=BB129_114 Depth=1
	v_cmp_neq_f32_e32 vcc, 0, v20
	v_cmp_neq_f32_e64 s[0:1], 0, v21
	s_or_b64 s[0:1], vcc, s[0:1]
                                        ; implicit-def: $vgpr30
                                        ; implicit-def: $vgpr27
	s_and_saveexec_b64 s[4:5], s[0:1]
	s_xor_b64 s[0:1], exec, s[4:5]
	s_cbranch_execz .LBB129_128
; %bb.127:                              ;   in Loop: Header=BB129_114 Depth=1
	v_div_scale_f32 v27, s[4:5], v20, v20, v21
	v_rcp_f32_e32 v30, v27
	v_div_scale_f32 v31, vcc, v21, v20, v21
	v_fma_f32 v32, -v27, v30, 1.0
	v_fmac_f32_e32 v30, v32, v30
	v_mul_f32_e32 v32, v31, v30
	v_fma_f32 v33, -v27, v32, v31
	v_fmac_f32_e32 v32, v33, v30
	v_fma_f32 v27, -v27, v32, v31
	v_div_fmas_f32 v27, v27, v30, v32
	v_div_fixup_f32 v30, v27, v20, v21
	v_fma_f32 v27, v21, v30, v20
	v_div_scale_f32 v31, s[4:5], v27, v27, 1.0
	v_rcp_f32_e32 v32, v31
	v_fma_f32 v33, -v31, v32, 1.0
	v_fmac_f32_e32 v32, v33, v32
	v_div_scale_f32 v33, vcc, 1.0, v27, 1.0
	v_mul_f32_e32 v34, v33, v32
	v_fma_f32 v35, -v31, v34, v33
	v_fmac_f32_e32 v34, v35, v32
	v_fma_f32 v31, -v31, v34, v33
	v_div_fmas_f32 v31, v31, v32, v34
	v_div_fixup_f32 v31, v31, v27, 1.0
	s_waitcnt vmcnt(0)
	v_fma_f32 v27, v17, v30, v16
	v_fma_f32 v30, -v16, v30, v17
	v_mul_f32_e32 v27, v27, v31
	v_mul_f32_e32 v30, v30, v31
                                        ; implicit-def: $vgpr32
                                        ; implicit-def: $vgpr31
.LBB129_128:                            ;   in Loop: Header=BB129_114 Depth=1
	s_andn2_saveexec_b64 s[0:1], s[0:1]
	s_cbranch_execz .LBB129_130
; %bb.129:                              ;   in Loop: Header=BB129_114 Depth=1
	s_waitcnt vmcnt(0)
	v_div_scale_f32 v27, s[4:5], v32, v32, v16
	v_rcp_f32_e32 v30, v27
	v_div_scale_f32 v33, vcc, v16, v32, v16
	v_fma_f32 v34, -v27, v30, 1.0
	v_fmac_f32_e32 v30, v34, v30
	v_mul_f32_e32 v34, v33, v30
	v_fma_f32 v35, -v27, v34, v33
	v_fmac_f32_e32 v34, v35, v30
	v_fma_f32 v27, -v27, v34, v33
	v_div_scale_f32 v33, s[4:5], v31, v31, v17
	v_rcp_f32_e32 v35, v33
	v_div_fmas_f32 v27, v27, v30, v34
	v_div_fixup_f32 v27, v27, v32, v16
	v_fma_f32 v30, -v33, v35, 1.0
	v_fmac_f32_e32 v35, v30, v35
	v_div_scale_f32 v30, vcc, v17, v31, v17
	v_mul_f32_e32 v32, v30, v35
	v_fma_f32 v34, -v33, v32, v30
	v_fmac_f32_e32 v32, v34, v35
	v_fma_f32 v30, -v33, v32, v30
	v_div_fmas_f32 v30, v30, v35, v32
	v_div_fixup_f32 v30, v30, v31, v17
.LBB129_130:                            ;   in Loop: Header=BB129_114 Depth=1
	s_or_b64 exec, exec, s[0:1]
.LBB129_131:                            ;   in Loop: Header=BB129_114 Depth=1
	s_andn2_saveexec_b64 s[0:1], s[2:3]
	s_cbranch_execz .LBB129_133
; %bb.132:                              ;   in Loop: Header=BB129_114 Depth=1
	v_div_scale_f32 v27, s[2:3], v21, v21, v20
	v_rcp_f32_e32 v30, v27
	v_div_scale_f32 v31, vcc, v20, v21, v20
	v_fma_f32 v32, -v27, v30, 1.0
	v_fmac_f32_e32 v30, v32, v30
	v_mul_f32_e32 v32, v31, v30
	v_fma_f32 v33, -v27, v32, v31
	v_fmac_f32_e32 v32, v33, v30
	v_fma_f32 v27, -v27, v32, v31
	v_div_fmas_f32 v27, v27, v30, v32
	v_div_fixup_f32 v30, v27, v21, v20
	v_fma_f32 v20, v20, v30, v21
	v_div_scale_f32 v21, s[2:3], v20, v20, 1.0
	v_rcp_f32_e32 v27, v21
	v_fma_f32 v31, -v21, v27, 1.0
	v_fmac_f32_e32 v27, v31, v27
	v_div_scale_f32 v31, vcc, 1.0, v20, 1.0
	v_mul_f32_e32 v32, v31, v27
	v_fma_f32 v33, -v21, v32, v31
	v_fmac_f32_e32 v32, v33, v27
	v_fma_f32 v21, -v21, v32, v31
	v_div_fmas_f32 v21, v21, v27, v32
	v_div_fixup_f32 v20, v21, v20, 1.0
	s_waitcnt vmcnt(0)
	v_fma_f32 v21, v16, v30, v17
	v_fma_f32 v16, v17, v30, -v16
	v_mul_f32_e32 v27, v21, v20
	v_mul_f32_e32 v30, v16, v20
.LBB129_133:                            ;   in Loop: Header=BB129_114 Depth=1
	s_or_b64 exec, exec, s[0:1]
.LBB129_134:                            ;   in Loop: Header=BB129_114 Depth=1
	v_cmp_gt_f32_e32 vcc, 0, v22
	v_cndmask_b32_e64 v20, v22, -v22, vcc
	v_cmp_gt_f32_e32 vcc, 0, v23
	s_waitcnt vmcnt(0)
	v_cndmask_b32_e64 v16, v23, -v23, vcc
	v_cndmask_b32_e64 v17, 0, 1, s[6:7]
	v_cmp_ne_u32_e64 s[0:1], 1, v17
	s_andn2_b64 vcc, exec, s[6:7]
	v_cmp_ge_f32_e64 s[2:3], v20, v16
	s_cbranch_vccnz .LBB129_144
; %bb.135:                              ;   in Loop: Header=BB129_114 Depth=1
                                        ; implicit-def: $vgpr21
                                        ; implicit-def: $vgpr17
	s_and_saveexec_b64 s[4:5], s[2:3]
	s_xor_b64 s[12:13], exec, s[4:5]
	s_cbranch_execz .LBB129_141
; %bb.136:                              ;   in Loop: Header=BB129_114 Depth=1
	v_cmp_neq_f32_e32 vcc, 0, v22
	v_cmp_neq_f32_e64 s[4:5], 0, v23
	s_or_b64 s[4:5], vcc, s[4:5]
                                        ; implicit-def: $vgpr21
                                        ; implicit-def: $vgpr17
	s_and_saveexec_b64 s[22:23], s[4:5]
	s_xor_b64 s[4:5], exec, s[22:23]
	s_cbranch_execz .LBB129_138
; %bb.137:                              ;   in Loop: Header=BB129_114 Depth=1
	v_div_scale_f32 v17, s[22:23], v22, v22, v23
	v_rcp_f32_e32 v21, v17
	v_div_scale_f32 v31, vcc, v23, v22, v23
	v_fma_f32 v32, -v17, v21, 1.0
	v_fmac_f32_e32 v21, v32, v21
	v_mul_f32_e32 v32, v31, v21
	v_fma_f32 v33, -v17, v32, v31
	v_fmac_f32_e32 v32, v33, v21
	v_fma_f32 v17, -v17, v32, v31
	v_div_fmas_f32 v17, v17, v21, v32
	v_div_fixup_f32 v21, v17, v22, v23
	v_fma_f32 v17, v23, v21, v22
	v_div_scale_f32 v31, s[22:23], v17, v17, 1.0
	v_rcp_f32_e32 v32, v31
	v_fma_f32 v33, -v31, v32, 1.0
	v_fmac_f32_e32 v32, v33, v32
	v_div_scale_f32 v33, vcc, 1.0, v17, 1.0
	v_mul_f32_e32 v34, v33, v32
	v_fma_f32 v35, -v31, v34, v33
	v_fmac_f32_e32 v34, v35, v32
	v_fma_f32 v31, -v31, v34, v33
	v_div_fmas_f32 v31, v31, v32, v34
	v_div_fixup_f32 v31, v31, v17, 1.0
	v_fma_f32 v17, v19, v21, v18
	v_fma_f32 v21, -v18, v21, v19
	v_mul_f32_e32 v17, v17, v31
	v_mul_f32_e32 v21, v21, v31
.LBB129_138:                            ;   in Loop: Header=BB129_114 Depth=1
	s_andn2_saveexec_b64 s[4:5], s[4:5]
	s_cbranch_execz .LBB129_140
; %bb.139:                              ;   in Loop: Header=BB129_114 Depth=1
	v_div_scale_f32 v17, s[22:23], v20, v20, v18
	v_rcp_f32_e32 v21, v17
	v_div_scale_f32 v31, vcc, v18, v20, v18
	v_fma_f32 v32, -v17, v21, 1.0
	v_fmac_f32_e32 v21, v32, v21
	v_mul_f32_e32 v32, v31, v21
	v_fma_f32 v33, -v17, v32, v31
	v_fmac_f32_e32 v32, v33, v21
	v_fma_f32 v17, -v17, v32, v31
	v_div_scale_f32 v31, s[22:23], v16, v16, v19
	v_rcp_f32_e32 v33, v31
	v_div_fmas_f32 v17, v17, v21, v32
	v_div_fixup_f32 v17, v17, v20, v18
	v_fma_f32 v21, -v31, v33, 1.0
	v_fmac_f32_e32 v33, v21, v33
	v_div_scale_f32 v21, vcc, v19, v16, v19
	v_mul_f32_e32 v32, v21, v33
	v_fma_f32 v34, -v31, v32, v21
	v_fmac_f32_e32 v32, v34, v33
	v_fma_f32 v21, -v31, v32, v21
	v_div_fmas_f32 v21, v21, v33, v32
	v_div_fixup_f32 v21, v21, v16, v19
.LBB129_140:                            ;   in Loop: Header=BB129_114 Depth=1
	s_or_b64 exec, exec, s[4:5]
.LBB129_141:                            ;   in Loop: Header=BB129_114 Depth=1
	s_andn2_saveexec_b64 s[4:5], s[12:13]
	s_cbranch_execz .LBB129_143
; %bb.142:                              ;   in Loop: Header=BB129_114 Depth=1
	v_div_scale_f32 v17, s[12:13], v23, v23, v22
	v_rcp_f32_e32 v21, v17
	v_div_scale_f32 v31, vcc, v22, v23, v22
	v_fma_f32 v32, -v17, v21, 1.0
	v_fmac_f32_e32 v21, v32, v21
	v_mul_f32_e32 v32, v31, v21
	v_fma_f32 v33, -v17, v32, v31
	v_fmac_f32_e32 v32, v33, v21
	v_fma_f32 v17, -v17, v32, v31
	v_div_fmas_f32 v17, v17, v21, v32
	v_div_fixup_f32 v21, v17, v23, v22
	v_fma_f32 v17, v22, v21, v23
	v_div_scale_f32 v31, s[12:13], v17, v17, 1.0
	v_rcp_f32_e32 v32, v31
	v_fma_f32 v33, -v31, v32, 1.0
	v_fmac_f32_e32 v32, v33, v32
	v_div_scale_f32 v33, vcc, 1.0, v17, 1.0
	v_mul_f32_e32 v34, v33, v32
	v_fma_f32 v35, -v31, v34, v33
	v_fmac_f32_e32 v34, v35, v32
	v_fma_f32 v31, -v31, v34, v33
	v_div_fmas_f32 v31, v31, v32, v34
	v_div_fixup_f32 v31, v31, v17, 1.0
	v_fma_f32 v17, v18, v21, v19
	v_fma_f32 v21, v19, v21, -v18
	v_mul_f32_e32 v17, v17, v31
	v_mul_f32_e32 v21, v21, v31
.LBB129_143:                            ;   in Loop: Header=BB129_114 Depth=1
	s_or_b64 exec, exec, s[4:5]
	v_mul_f32_e32 v31, s17, v21
	v_mul_f32_e32 v32, s16, v21
	v_fma_f32 v31, v17, s16, -v31
	v_fmac_f32_e32 v32, s17, v17
	s_branch .LBB129_154
.LBB129_144:                            ;   in Loop: Header=BB129_114 Depth=1
                                        ; implicit-def: $vgpr32
                                        ; implicit-def: $vgpr31
	s_cbranch_execz .LBB129_154
; %bb.145:                              ;   in Loop: Header=BB129_114 Depth=1
                                        ; implicit-def: $vgpr32
                                        ; implicit-def: $vgpr31
	s_and_saveexec_b64 s[4:5], s[2:3]
	s_xor_b64 s[4:5], exec, s[4:5]
	s_cbranch_execz .LBB129_151
; %bb.146:                              ;   in Loop: Header=BB129_114 Depth=1
	v_cmp_neq_f32_e32 vcc, 0, v22
	v_cmp_neq_f32_e64 s[2:3], 0, v23
	s_or_b64 s[2:3], vcc, s[2:3]
                                        ; implicit-def: $vgpr32
                                        ; implicit-def: $vgpr31
	s_and_saveexec_b64 s[12:13], s[2:3]
	s_xor_b64 s[2:3], exec, s[12:13]
	s_cbranch_execz .LBB129_148
; %bb.147:                              ;   in Loop: Header=BB129_114 Depth=1
	v_div_scale_f32 v16, s[12:13], v22, v22, v23
	v_rcp_f32_e32 v17, v16
	v_div_scale_f32 v20, vcc, v23, v22, v23
	v_fma_f32 v21, -v16, v17, 1.0
	v_fmac_f32_e32 v17, v21, v17
	v_mul_f32_e32 v21, v20, v17
	v_fma_f32 v31, -v16, v21, v20
	v_fmac_f32_e32 v21, v31, v17
	v_fma_f32 v16, -v16, v21, v20
	v_div_fmas_f32 v16, v16, v17, v21
	v_div_fixup_f32 v16, v16, v22, v23
	v_fmac_f32_e32 v22, v23, v16
	v_div_scale_f32 v17, s[12:13], v22, v22, 1.0
	v_rcp_f32_e32 v20, v17
	v_fma_f32 v21, -v17, v20, 1.0
	v_fmac_f32_e32 v20, v21, v20
	v_div_scale_f32 v21, vcc, 1.0, v22, 1.0
	v_mul_f32_e32 v23, v21, v20
	v_fma_f32 v31, -v17, v23, v21
	v_fmac_f32_e32 v23, v31, v20
	v_fma_f32 v17, -v17, v23, v21
	v_div_fmas_f32 v17, v17, v20, v23
	v_div_fixup_f32 v17, v17, v22, 1.0
	v_fma_f32 v20, v19, v16, v18
	v_fma_f32 v16, -v18, v16, v19
	v_mul_f32_e32 v31, v20, v17
	v_mul_f32_e32 v32, v16, v17
                                        ; implicit-def: $vgpr16_vgpr17_vgpr18_vgpr19
                                        ; implicit-def: $vgpr20
                                        ; implicit-def: $vgpr16
.LBB129_148:                            ;   in Loop: Header=BB129_114 Depth=1
	s_andn2_saveexec_b64 s[2:3], s[2:3]
	s_cbranch_execz .LBB129_150
; %bb.149:                              ;   in Loop: Header=BB129_114 Depth=1
	v_div_scale_f32 v17, s[12:13], v20, v20, v18
	v_rcp_f32_e32 v21, v17
	v_div_scale_f32 v22, vcc, v18, v20, v18
	v_fma_f32 v23, -v17, v21, 1.0
	v_fmac_f32_e32 v21, v23, v21
	v_mul_f32_e32 v23, v22, v21
	v_fma_f32 v31, -v17, v23, v22
	v_fmac_f32_e32 v23, v31, v21
	v_fma_f32 v17, -v17, v23, v22
	v_div_scale_f32 v22, s[12:13], v16, v16, v19
	v_rcp_f32_e32 v32, v22
	v_div_fmas_f32 v17, v17, v21, v23
	v_div_fixup_f32 v31, v17, v20, v18
	v_fma_f32 v17, -v22, v32, 1.0
	v_fmac_f32_e32 v32, v17, v32
	v_div_scale_f32 v17, vcc, v19, v16, v19
	v_mul_f32_e32 v18, v17, v32
	v_fma_f32 v20, -v22, v18, v17
	v_fmac_f32_e32 v18, v20, v32
	v_fma_f32 v17, -v22, v18, v17
	v_div_fmas_f32 v17, v17, v32, v18
	v_div_fixup_f32 v32, v17, v16, v19
.LBB129_150:                            ;   in Loop: Header=BB129_114 Depth=1
	s_or_b64 exec, exec, s[2:3]
                                        ; implicit-def: $vgpr20_vgpr21_vgpr22_vgpr23
                                        ; implicit-def: $vgpr16_vgpr17_vgpr18_vgpr19
.LBB129_151:                            ;   in Loop: Header=BB129_114 Depth=1
	s_andn2_saveexec_b64 s[2:3], s[4:5]
	s_cbranch_execz .LBB129_153
; %bb.152:                              ;   in Loop: Header=BB129_114 Depth=1
	v_div_scale_f32 v16, s[4:5], v23, v23, v22
	v_rcp_f32_e32 v17, v16
	v_div_scale_f32 v20, vcc, v22, v23, v22
	v_fma_f32 v21, -v16, v17, 1.0
	v_fmac_f32_e32 v17, v21, v17
	v_mul_f32_e32 v21, v20, v17
	v_fma_f32 v31, -v16, v21, v20
	v_fmac_f32_e32 v21, v31, v17
	v_fma_f32 v16, -v16, v21, v20
	v_div_fmas_f32 v16, v16, v17, v21
	v_div_fixup_f32 v16, v16, v23, v22
	v_fmac_f32_e32 v23, v22, v16
	v_div_scale_f32 v17, s[4:5], v23, v23, 1.0
	v_rcp_f32_e32 v20, v17
	v_fma_f32 v21, -v17, v20, 1.0
	v_fmac_f32_e32 v20, v21, v20
	v_div_scale_f32 v21, vcc, 1.0, v23, 1.0
	v_mul_f32_e32 v22, v21, v20
	v_fma_f32 v31, -v17, v22, v21
	v_fmac_f32_e32 v22, v31, v20
	v_fma_f32 v17, -v17, v22, v21
	v_div_fmas_f32 v17, v17, v20, v22
	v_div_fixup_f32 v17, v17, v23, 1.0
	v_fma_f32 v20, v18, v16, v19
	v_fma_f32 v16, v19, v16, -v18
	v_mul_f32_e32 v31, v20, v17
	v_mul_f32_e32 v32, v16, v17
.LBB129_153:                            ;   in Loop: Header=BB129_114 Depth=1
	s_or_b64 exec, exec, s[2:3]
.LBB129_154:                            ;   in Loop: Header=BB129_114 Depth=1
	v_cmp_gt_f32_e32 vcc, 0, v12
	v_cndmask_b32_e64 v19, v12, -v12, vcc
	v_cmp_gt_f32_e32 vcc, 0, v13
	v_cndmask_b32_e64 v18, v13, -v13, vcc
	s_and_b64 vcc, exec, s[0:1]
	v_cmp_ge_f32_e64 s[2:3], v19, v18
	s_cbranch_vccnz .LBB129_164
; %bb.155:                              ;   in Loop: Header=BB129_114 Depth=1
                                        ; implicit-def: $vgpr17
                                        ; implicit-def: $vgpr20
	s_and_saveexec_b64 s[4:5], s[2:3]
	s_xor_b64 s[12:13], exec, s[4:5]
	s_cbranch_execz .LBB129_161
; %bb.156:                              ;   in Loop: Header=BB129_114 Depth=1
	v_cmp_neq_f32_e32 vcc, 0, v12
	v_cmp_neq_f32_e64 s[4:5], 0, v13
	s_or_b64 s[4:5], vcc, s[4:5]
                                        ; implicit-def: $vgpr17
                                        ; implicit-def: $vgpr20
	s_and_saveexec_b64 s[22:23], s[4:5]
	s_xor_b64 s[4:5], exec, s[22:23]
	s_cbranch_execz .LBB129_158
; %bb.157:                              ;   in Loop: Header=BB129_114 Depth=1
	v_div_scale_f32 v16, s[22:23], v12, v12, v13
	v_rcp_f32_e32 v17, v16
	v_div_scale_f32 v20, vcc, v13, v12, v13
	v_fma_f32 v21, -v16, v17, 1.0
	v_fmac_f32_e32 v17, v21, v17
	v_mul_f32_e32 v21, v20, v17
	v_fma_f32 v22, -v16, v21, v20
	v_fmac_f32_e32 v21, v22, v17
	v_fma_f32 v16, -v16, v21, v20
	v_div_fmas_f32 v16, v16, v17, v21
	v_div_fixup_f32 v16, v16, v12, v13
	v_fma_f32 v17, v13, v16, v12
	v_div_scale_f32 v20, s[22:23], v17, v17, 1.0
	v_rcp_f32_e32 v21, v20
	v_fma_f32 v22, -v20, v21, 1.0
	v_fmac_f32_e32 v21, v22, v21
	v_div_scale_f32 v22, vcc, 1.0, v17, 1.0
	v_mul_f32_e32 v23, v22, v21
	v_fma_f32 v33, -v20, v23, v22
	v_fmac_f32_e32 v23, v33, v21
	v_fma_f32 v20, -v20, v23, v22
	v_div_fmas_f32 v20, v20, v21, v23
	v_div_fixup_f32 v17, v20, v17, 1.0
	v_fma_f32 v20, v9, v16, v8
	v_fma_f32 v16, -v8, v16, v9
	v_mul_f32_e32 v20, v20, v17
	v_mul_f32_e32 v17, v16, v17
.LBB129_158:                            ;   in Loop: Header=BB129_114 Depth=1
	s_andn2_saveexec_b64 s[4:5], s[4:5]
	s_cbranch_execz .LBB129_160
; %bb.159:                              ;   in Loop: Header=BB129_114 Depth=1
	v_div_scale_f32 v16, s[22:23], v19, v19, v8
	v_rcp_f32_e32 v17, v16
	v_div_scale_f32 v20, vcc, v8, v19, v8
	v_fma_f32 v21, -v16, v17, 1.0
	v_fmac_f32_e32 v17, v21, v17
	v_mul_f32_e32 v21, v20, v17
	v_fma_f32 v22, -v16, v21, v20
	v_fmac_f32_e32 v21, v22, v17
	v_div_scale_f32 v22, s[22:23], v18, v18, v9
	v_rcp_f32_e32 v23, v22
	v_fma_f32 v16, -v16, v21, v20
	v_div_fmas_f32 v16, v16, v17, v21
	v_div_fixup_f32 v20, v16, v19, v8
	v_fma_f32 v16, -v22, v23, 1.0
	v_fmac_f32_e32 v23, v16, v23
	v_div_scale_f32 v16, vcc, v9, v18, v9
	v_mul_f32_e32 v17, v16, v23
	v_fma_f32 v21, -v22, v17, v16
	v_fmac_f32_e32 v17, v21, v23
	v_fma_f32 v16, -v22, v17, v16
	v_div_fmas_f32 v16, v16, v23, v17
	v_div_fixup_f32 v17, v16, v18, v9
.LBB129_160:                            ;   in Loop: Header=BB129_114 Depth=1
	s_or_b64 exec, exec, s[4:5]
.LBB129_161:                            ;   in Loop: Header=BB129_114 Depth=1
	s_andn2_saveexec_b64 s[4:5], s[12:13]
	s_cbranch_execz .LBB129_163
; %bb.162:                              ;   in Loop: Header=BB129_114 Depth=1
	v_div_scale_f32 v16, s[12:13], v13, v13, v12
	v_rcp_f32_e32 v17, v16
	v_div_scale_f32 v20, vcc, v12, v13, v12
	v_fma_f32 v21, -v16, v17, 1.0
	v_fmac_f32_e32 v17, v21, v17
	v_mul_f32_e32 v21, v20, v17
	v_fma_f32 v22, -v16, v21, v20
	v_fmac_f32_e32 v21, v22, v17
	v_fma_f32 v16, -v16, v21, v20
	v_div_fmas_f32 v16, v16, v17, v21
	v_div_fixup_f32 v16, v16, v13, v12
	v_fma_f32 v17, v12, v16, v13
	v_div_scale_f32 v20, s[12:13], v17, v17, 1.0
	v_rcp_f32_e32 v21, v20
	v_fma_f32 v22, -v20, v21, 1.0
	v_fmac_f32_e32 v21, v22, v21
	v_div_scale_f32 v22, vcc, 1.0, v17, 1.0
	v_mul_f32_e32 v23, v22, v21
	v_fma_f32 v33, -v20, v23, v22
	v_fmac_f32_e32 v23, v33, v21
	v_fma_f32 v20, -v20, v23, v22
	v_div_fmas_f32 v20, v20, v21, v23
	v_div_fixup_f32 v17, v20, v17, 1.0
	v_fma_f32 v20, v8, v16, v9
	v_fma_f32 v16, v9, v16, -v8
	v_mul_f32_e32 v20, v20, v17
	v_mul_f32_e32 v17, v16, v17
.LBB129_163:                            ;   in Loop: Header=BB129_114 Depth=1
	s_or_b64 exec, exec, s[4:5]
	v_mul_f32_e32 v16, s17, v17
	v_mul_f32_e32 v17, s16, v17
	v_fma_f32 v16, v20, s16, -v16
	v_fmac_f32_e32 v17, s17, v20
	s_branch .LBB129_174
.LBB129_164:                            ;   in Loop: Header=BB129_114 Depth=1
                                        ; implicit-def: $vgpr17
                                        ; implicit-def: $vgpr16
	s_cbranch_execz .LBB129_174
; %bb.165:                              ;   in Loop: Header=BB129_114 Depth=1
                                        ; implicit-def: $vgpr17
                                        ; implicit-def: $vgpr16
	s_and_saveexec_b64 s[4:5], s[2:3]
	s_xor_b64 s[4:5], exec, s[4:5]
	s_cbranch_execz .LBB129_171
; %bb.166:                              ;   in Loop: Header=BB129_114 Depth=1
	v_cmp_neq_f32_e32 vcc, 0, v12
	v_cmp_neq_f32_e64 s[2:3], 0, v13
	s_or_b64 s[2:3], vcc, s[2:3]
                                        ; implicit-def: $vgpr17
                                        ; implicit-def: $vgpr16
	s_and_saveexec_b64 s[12:13], s[2:3]
	s_xor_b64 s[2:3], exec, s[12:13]
	s_cbranch_execz .LBB129_168
; %bb.167:                              ;   in Loop: Header=BB129_114 Depth=1
	v_div_scale_f32 v16, s[12:13], v12, v12, v13
	v_rcp_f32_e32 v17, v16
	v_div_scale_f32 v18, vcc, v13, v12, v13
	v_fma_f32 v19, -v16, v17, 1.0
	v_fmac_f32_e32 v17, v19, v17
	v_mul_f32_e32 v19, v18, v17
	v_fma_f32 v20, -v16, v19, v18
	v_fmac_f32_e32 v19, v20, v17
	v_fma_f32 v16, -v16, v19, v18
	v_div_fmas_f32 v16, v16, v17, v19
	v_div_fixup_f32 v17, v16, v12, v13
	v_fma_f32 v16, v13, v17, v12
	v_div_scale_f32 v18, s[12:13], v16, v16, 1.0
	v_rcp_f32_e32 v19, v18
	v_fma_f32 v20, -v18, v19, 1.0
	v_fmac_f32_e32 v19, v20, v19
	v_div_scale_f32 v20, vcc, 1.0, v16, 1.0
	v_mul_f32_e32 v21, v20, v19
	v_fma_f32 v22, -v18, v21, v20
	v_fmac_f32_e32 v21, v22, v19
	v_fma_f32 v18, -v18, v21, v20
	v_div_fmas_f32 v18, v18, v19, v21
	v_div_fixup_f32 v18, v18, v16, 1.0
	v_fma_f32 v16, v9, v17, v8
	v_fma_f32 v17, -v8, v17, v9
	v_mul_f32_e32 v16, v16, v18
	v_mul_f32_e32 v17, v17, v18
                                        ; implicit-def: $vgpr19
                                        ; implicit-def: $vgpr18
.LBB129_168:                            ;   in Loop: Header=BB129_114 Depth=1
	s_andn2_saveexec_b64 s[2:3], s[2:3]
	s_cbranch_execz .LBB129_170
; %bb.169:                              ;   in Loop: Header=BB129_114 Depth=1
	v_div_scale_f32 v16, s[12:13], v19, v19, v8
	v_rcp_f32_e32 v17, v16
	v_div_scale_f32 v20, vcc, v8, v19, v8
	v_fma_f32 v21, -v16, v17, 1.0
	v_fmac_f32_e32 v17, v21, v17
	v_mul_f32_e32 v21, v20, v17
	v_fma_f32 v22, -v16, v21, v20
	v_fmac_f32_e32 v21, v22, v17
	v_fma_f32 v16, -v16, v21, v20
	v_div_scale_f32 v20, s[12:13], v18, v18, v9
	v_rcp_f32_e32 v22, v20
	v_div_fmas_f32 v16, v16, v17, v21
	v_div_fixup_f32 v16, v16, v19, v8
	v_fma_f32 v17, -v20, v22, 1.0
	v_fmac_f32_e32 v22, v17, v22
	v_div_scale_f32 v17, vcc, v9, v18, v9
	v_mul_f32_e32 v19, v17, v22
	v_fma_f32 v21, -v20, v19, v17
	v_fmac_f32_e32 v19, v21, v22
	v_fma_f32 v17, -v20, v19, v17
	v_div_fmas_f32 v17, v17, v22, v19
	v_div_fixup_f32 v17, v17, v18, v9
.LBB129_170:                            ;   in Loop: Header=BB129_114 Depth=1
	s_or_b64 exec, exec, s[2:3]
.LBB129_171:                            ;   in Loop: Header=BB129_114 Depth=1
	s_andn2_saveexec_b64 s[2:3], s[4:5]
	s_cbranch_execz .LBB129_173
; %bb.172:                              ;   in Loop: Header=BB129_114 Depth=1
	v_div_scale_f32 v16, s[4:5], v13, v13, v12
	v_rcp_f32_e32 v17, v16
	v_div_scale_f32 v18, vcc, v12, v13, v12
	v_fma_f32 v19, -v16, v17, 1.0
	v_fmac_f32_e32 v17, v19, v17
	v_mul_f32_e32 v19, v18, v17
	v_fma_f32 v20, -v16, v19, v18
	v_fmac_f32_e32 v19, v20, v17
	v_fma_f32 v16, -v16, v19, v18
	v_div_fmas_f32 v16, v16, v17, v19
	v_div_fixup_f32 v17, v16, v13, v12
	v_fma_f32 v12, v12, v17, v13
	v_div_scale_f32 v13, s[4:5], v12, v12, 1.0
	v_rcp_f32_e32 v16, v13
	v_fma_f32 v18, -v13, v16, 1.0
	v_fmac_f32_e32 v16, v18, v16
	v_div_scale_f32 v18, vcc, 1.0, v12, 1.0
	v_mul_f32_e32 v19, v18, v16
	v_fma_f32 v20, -v13, v19, v18
	v_fmac_f32_e32 v19, v20, v16
	v_fma_f32 v13, -v13, v19, v18
	v_div_fmas_f32 v13, v13, v16, v19
	v_div_fixup_f32 v12, v13, v12, 1.0
	v_fma_f32 v13, v8, v17, v9
	v_fma_f32 v8, v9, v17, -v8
	v_mul_f32_e32 v16, v13, v12
	v_mul_f32_e32 v17, v8, v12
.LBB129_173:                            ;   in Loop: Header=BB129_114 Depth=1
	s_or_b64 exec, exec, s[2:3]
.LBB129_174:                            ;   in Loop: Header=BB129_114 Depth=1
	v_cmp_gt_f32_e32 vcc, 0, v15
	v_cndmask_b32_e64 v13, v15, -v15, vcc
	v_cmp_gt_f32_e32 vcc, 0, v14
	v_cndmask_b32_e64 v18, v14, -v14, vcc
	s_and_b64 vcc, exec, s[0:1]
	v_cmp_ge_f32_e64 s[0:1], v18, v13
	s_cbranch_vccnz .LBB129_184
; %bb.175:                              ;   in Loop: Header=BB129_114 Depth=1
                                        ; implicit-def: $vgpr12
                                        ; implicit-def: $vgpr8
	s_and_saveexec_b64 s[2:3], s[0:1]
	s_xor_b64 s[4:5], exec, s[2:3]
	s_cbranch_execz .LBB129_181
; %bb.176:                              ;   in Loop: Header=BB129_114 Depth=1
	v_cmp_neq_f32_e32 vcc, 0, v14
	v_cmp_neq_f32_e64 s[2:3], 0, v15
	s_or_b64 s[2:3], vcc, s[2:3]
                                        ; implicit-def: $vgpr12
                                        ; implicit-def: $vgpr8
	s_and_saveexec_b64 s[12:13], s[2:3]
	s_xor_b64 s[2:3], exec, s[12:13]
	s_cbranch_execz .LBB129_178
; %bb.177:                              ;   in Loop: Header=BB129_114 Depth=1
	v_div_scale_f32 v8, s[12:13], v14, v14, v15
	v_rcp_f32_e32 v9, v8
	v_div_scale_f32 v12, vcc, v15, v14, v15
	v_fma_f32 v19, -v8, v9, 1.0
	v_fmac_f32_e32 v9, v19, v9
	v_mul_f32_e32 v19, v12, v9
	v_fma_f32 v20, -v8, v19, v12
	v_fmac_f32_e32 v19, v20, v9
	v_fma_f32 v8, -v8, v19, v12
	v_div_fmas_f32 v8, v8, v9, v19
	v_div_fixup_f32 v9, v8, v14, v15
	v_fma_f32 v8, v15, v9, v14
	v_div_scale_f32 v12, s[12:13], v8, v8, 1.0
	v_rcp_f32_e32 v19, v12
	v_fma_f32 v20, -v12, v19, 1.0
	v_fmac_f32_e32 v19, v20, v19
	v_div_scale_f32 v20, vcc, 1.0, v8, 1.0
	v_mul_f32_e32 v21, v20, v19
	v_fma_f32 v22, -v12, v21, v20
	v_fmac_f32_e32 v21, v22, v19
	v_fma_f32 v12, -v12, v21, v20
	v_div_fmas_f32 v12, v12, v19, v21
	v_div_fixup_f32 v12, v12, v8, 1.0
	v_fma_f32 v8, v11, v9, v10
	v_fma_f32 v9, -v10, v9, v11
	v_mul_f32_e32 v8, v8, v12
	v_mul_f32_e32 v12, v9, v12
.LBB129_178:                            ;   in Loop: Header=BB129_114 Depth=1
	s_andn2_saveexec_b64 s[2:3], s[2:3]
	s_cbranch_execz .LBB129_180
; %bb.179:                              ;   in Loop: Header=BB129_114 Depth=1
	v_div_scale_f32 v8, s[12:13], v18, v18, v10
	v_rcp_f32_e32 v9, v8
	v_div_scale_f32 v12, vcc, v10, v18, v10
	v_fma_f32 v19, -v8, v9, 1.0
	v_fmac_f32_e32 v9, v19, v9
	v_mul_f32_e32 v19, v12, v9
	v_fma_f32 v20, -v8, v19, v12
	v_fmac_f32_e32 v19, v20, v9
	v_fma_f32 v8, -v8, v19, v12
	v_div_scale_f32 v12, s[12:13], v13, v13, v11
	v_rcp_f32_e32 v20, v12
	v_div_fmas_f32 v8, v8, v9, v19
	v_div_fixup_f32 v8, v8, v18, v10
	v_fma_f32 v9, -v12, v20, 1.0
	v_fmac_f32_e32 v20, v9, v20
	v_div_scale_f32 v9, vcc, v11, v13, v11
	v_mul_f32_e32 v19, v9, v20
	v_fma_f32 v21, -v12, v19, v9
	v_fmac_f32_e32 v19, v21, v20
	v_fma_f32 v9, -v12, v19, v9
	v_div_fmas_f32 v9, v9, v20, v19
	v_div_fixup_f32 v12, v9, v13, v11
.LBB129_180:                            ;   in Loop: Header=BB129_114 Depth=1
	s_or_b64 exec, exec, s[2:3]
.LBB129_181:                            ;   in Loop: Header=BB129_114 Depth=1
	s_andn2_saveexec_b64 s[2:3], s[4:5]
	s_cbranch_execz .LBB129_183
; %bb.182:                              ;   in Loop: Header=BB129_114 Depth=1
	v_div_scale_f32 v8, s[4:5], v15, v15, v14
	v_rcp_f32_e32 v9, v8
	v_div_scale_f32 v12, vcc, v14, v15, v14
	v_fma_f32 v19, -v8, v9, 1.0
	v_fmac_f32_e32 v9, v19, v9
	v_mul_f32_e32 v19, v12, v9
	v_fma_f32 v20, -v8, v19, v12
	v_fmac_f32_e32 v19, v20, v9
	v_fma_f32 v8, -v8, v19, v12
	v_div_fmas_f32 v8, v8, v9, v19
	v_div_fixup_f32 v9, v8, v15, v14
	v_fma_f32 v8, v14, v9, v15
	v_div_scale_f32 v12, s[4:5], v8, v8, 1.0
	v_rcp_f32_e32 v19, v12
	v_fma_f32 v20, -v12, v19, 1.0
	v_fmac_f32_e32 v19, v20, v19
	v_div_scale_f32 v20, vcc, 1.0, v8, 1.0
	v_mul_f32_e32 v21, v20, v19
	v_fma_f32 v22, -v12, v21, v20
	v_fmac_f32_e32 v21, v22, v19
	v_fma_f32 v12, -v12, v21, v20
	v_div_fmas_f32 v12, v12, v19, v21
	v_div_fixup_f32 v12, v12, v8, 1.0
	v_fma_f32 v8, v10, v9, v11
	v_fma_f32 v9, v11, v9, -v10
	v_mul_f32_e32 v8, v8, v12
	v_mul_f32_e32 v12, v9, v12
.LBB129_183:                            ;   in Loop: Header=BB129_114 Depth=1
	s_or_b64 exec, exec, s[2:3]
	v_pk_mul_f32 v[22:23], v[12:13], s[16:17] op_sel_hi:[0,1]
	v_pk_mul_f32 v[20:21], v[8:9], s[16:17] op_sel_hi:[0,1]
	v_pk_fma_f32 v[8:9], v[8:9], s[16:17], v[22:23] op_sel:[0,0,1] op_sel_hi:[0,1,0]
	v_sub_f32_e32 v8, v20, v23
	s_branch .LBB129_113
.LBB129_184:                            ;   in Loop: Header=BB129_114 Depth=1
                                        ; implicit-def: $vgpr9
	s_cbranch_execz .LBB129_113
; %bb.185:                              ;   in Loop: Header=BB129_114 Depth=1
                                        ; implicit-def: $vgpr9
	s_and_saveexec_b64 s[2:3], s[0:1]
	s_xor_b64 s[2:3], exec, s[2:3]
	s_cbranch_execz .LBB129_191
; %bb.186:                              ;   in Loop: Header=BB129_114 Depth=1
	v_cmp_neq_f32_e32 vcc, 0, v14
	v_cmp_neq_f32_e64 s[0:1], 0, v15
	s_or_b64 s[0:1], vcc, s[0:1]
                                        ; implicit-def: $vgpr9
	s_and_saveexec_b64 s[4:5], s[0:1]
	s_xor_b64 s[0:1], exec, s[4:5]
	s_cbranch_execz .LBB129_188
; %bb.187:                              ;   in Loop: Header=BB129_114 Depth=1
	v_div_scale_f32 v8, s[4:5], v14, v14, v15
	v_rcp_f32_e32 v9, v8
	v_div_scale_f32 v12, vcc, v15, v14, v15
	v_fma_f32 v13, -v8, v9, 1.0
	v_fmac_f32_e32 v9, v13, v9
	v_mul_f32_e32 v13, v12, v9
	v_fma_f32 v18, -v8, v13, v12
	v_fmac_f32_e32 v13, v18, v9
	v_fma_f32 v8, -v8, v13, v12
	v_div_fmas_f32 v8, v8, v9, v13
	v_div_fixup_f32 v8, v8, v14, v15
	v_fmac_f32_e32 v14, v15, v8
	v_div_scale_f32 v9, s[4:5], v14, v14, 1.0
	v_rcp_f32_e32 v12, v9
	v_fma_f32 v13, -v9, v12, 1.0
	v_fmac_f32_e32 v12, v13, v12
	v_div_scale_f32 v13, vcc, 1.0, v14, 1.0
	v_mul_f32_e32 v15, v13, v12
	v_fma_f32 v18, -v9, v15, v13
	v_fmac_f32_e32 v15, v18, v12
	v_fma_f32 v9, -v9, v15, v13
	v_div_fmas_f32 v9, v9, v12, v15
	v_div_fixup_f32 v12, v9, v14, 1.0
	v_pk_mul_f32 v[8:9], v[10:11], v[8:9] op_sel_hi:[1,0]
	v_pk_add_f32 v[14:15], v[10:11], v[8:9] op_sel:[0,1] op_sel_hi:[1,0] neg_lo:[0,1] neg_hi:[0,1]
	v_pk_add_f32 v[8:9], v[10:11], v[8:9] op_sel:[0,1] op_sel_hi:[1,0]
	v_mov_b32_e32 v9, v15
	v_pk_mul_f32 v[8:9], v[8:9], v[12:13] op_sel_hi:[1,0]
                                        ; implicit-def: $vgpr18
                                        ; implicit-def: $vgpr10_vgpr11
                                        ; implicit-def: $vgpr13
.LBB129_188:                            ;   in Loop: Header=BB129_114 Depth=1
	s_andn2_saveexec_b64 s[0:1], s[0:1]
	s_cbranch_execz .LBB129_190
; %bb.189:                              ;   in Loop: Header=BB129_114 Depth=1
	v_div_scale_f32 v8, s[4:5], v18, v18, v10
	v_rcp_f32_e32 v9, v8
	v_div_scale_f32 v12, vcc, v10, v18, v10
	v_fma_f32 v14, -v8, v9, 1.0
	v_fmac_f32_e32 v9, v14, v9
	v_mul_f32_e32 v14, v12, v9
	v_fma_f32 v15, -v8, v14, v12
	v_fmac_f32_e32 v14, v15, v9
	v_fma_f32 v8, -v8, v14, v12
	v_div_scale_f32 v12, s[4:5], v13, v13, v11
	v_rcp_f32_e32 v15, v12
	v_div_fmas_f32 v8, v8, v9, v14
	v_div_fixup_f32 v8, v8, v18, v10
	v_fma_f32 v9, -v12, v15, 1.0
	v_fmac_f32_e32 v15, v9, v15
	v_div_scale_f32 v9, vcc, v11, v13, v11
	v_mul_f32_e32 v10, v9, v15
	v_fma_f32 v14, -v12, v10, v9
	v_fmac_f32_e32 v10, v14, v15
	v_fma_f32 v9, -v12, v10, v9
	v_div_fmas_f32 v9, v9, v15, v10
	v_div_fixup_f32 v9, v9, v13, v11
.LBB129_190:                            ;   in Loop: Header=BB129_114 Depth=1
	s_or_b64 exec, exec, s[0:1]
                                        ; implicit-def: $vgpr12_vgpr13_vgpr14_vgpr15
                                        ; implicit-def: $vgpr10_vgpr11
.LBB129_191:                            ;   in Loop: Header=BB129_114 Depth=1
	s_andn2_saveexec_b64 s[0:1], s[2:3]
	s_cbranch_execz .LBB129_112
; %bb.192:                              ;   in Loop: Header=BB129_114 Depth=1
	v_div_scale_f32 v8, s[2:3], v15, v15, v14
	v_rcp_f32_e32 v9, v8
	v_div_scale_f32 v12, vcc, v14, v15, v14
	v_fma_f32 v13, -v8, v9, 1.0
	v_fmac_f32_e32 v9, v13, v9
	v_mul_f32_e32 v13, v12, v9
	v_fma_f32 v18, -v8, v13, v12
	v_fmac_f32_e32 v13, v18, v9
	v_fma_f32 v8, -v8, v13, v12
	v_div_fmas_f32 v8, v8, v9, v13
	v_div_fixup_f32 v8, v8, v15, v14
	v_fmac_f32_e32 v15, v14, v8
	v_div_scale_f32 v9, s[2:3], v15, v15, 1.0
	v_rcp_f32_e32 v12, v9
	v_fma_f32 v13, -v9, v12, 1.0
	v_fmac_f32_e32 v12, v13, v12
	v_div_scale_f32 v13, vcc, 1.0, v15, 1.0
	v_mul_f32_e32 v14, v13, v12
	v_fma_f32 v18, -v9, v14, v13
	v_fmac_f32_e32 v14, v18, v12
	v_fma_f32 v9, -v9, v14, v13
	v_div_fmas_f32 v9, v9, v12, v14
	v_div_fixup_f32 v12, v9, v15, 1.0
	v_pk_fma_f32 v[14:15], v[10:11], v[8:9], v[10:11] op_sel:[0,0,1] op_sel_hi:[1,0,0] neg_lo:[0,0,1] neg_hi:[0,0,1]
	v_pk_fma_f32 v[8:9], v[10:11], v[8:9], v[10:11] op_sel:[0,0,1] op_sel_hi:[1,0,0]
	v_mov_b32_e32 v9, v15
	v_pk_mul_f32 v[8:9], v[8:9], v[12:13] op_sel_hi:[1,0]
	s_branch .LBB129_112
.LBB129_193:
	s_endpgm
	.section	.rodata,"a",@progbits
	.p2align	6, 0x0
	.amdhsa_kernel _ZN2at6native12_GLOBAL__N_125multi_tensor_apply_kernelINS1_28TensorListScalarListMetadataIN3c107complexIfEELi3EEENS1_28PointwiseOpScalarListFunctorIS6_Li3ELi3ELi0EEEJSt7dividesIS6_EEEEvT_T0_DpT1_
		.amdhsa_group_segment_fixed_size 0
		.amdhsa_private_segment_fixed_size 0
		.amdhsa_kernarg_size 3784
		.amdhsa_user_sgpr_count 6
		.amdhsa_user_sgpr_private_segment_buffer 1
		.amdhsa_user_sgpr_dispatch_ptr 0
		.amdhsa_user_sgpr_queue_ptr 0
		.amdhsa_user_sgpr_kernarg_segment_ptr 1
		.amdhsa_user_sgpr_dispatch_id 0
		.amdhsa_user_sgpr_flat_scratch_init 0
		.amdhsa_user_sgpr_kernarg_preload_length 0
		.amdhsa_user_sgpr_kernarg_preload_offset 0
		.amdhsa_user_sgpr_private_segment_size 0
		.amdhsa_uses_dynamic_stack 0
		.amdhsa_system_sgpr_private_segment_wavefront_offset 0
		.amdhsa_system_sgpr_workgroup_id_x 1
		.amdhsa_system_sgpr_workgroup_id_y 0
		.amdhsa_system_sgpr_workgroup_id_z 0
		.amdhsa_system_sgpr_workgroup_info 0
		.amdhsa_system_vgpr_workitem_id 0
		.amdhsa_next_free_vgpr 64
		.amdhsa_next_free_sgpr 44
		.amdhsa_accum_offset 64
		.amdhsa_reserve_vcc 1
		.amdhsa_reserve_flat_scratch 0
		.amdhsa_float_round_mode_32 0
		.amdhsa_float_round_mode_16_64 0
		.amdhsa_float_denorm_mode_32 3
		.amdhsa_float_denorm_mode_16_64 3
		.amdhsa_dx10_clamp 1
		.amdhsa_ieee_mode 1
		.amdhsa_fp16_overflow 0
		.amdhsa_tg_split 0
		.amdhsa_exception_fp_ieee_invalid_op 0
		.amdhsa_exception_fp_denorm_src 0
		.amdhsa_exception_fp_ieee_div_zero 0
		.amdhsa_exception_fp_ieee_overflow 0
		.amdhsa_exception_fp_ieee_underflow 0
		.amdhsa_exception_fp_ieee_inexact 0
		.amdhsa_exception_int_div_zero 0
	.end_amdhsa_kernel
	.section	.text._ZN2at6native12_GLOBAL__N_125multi_tensor_apply_kernelINS1_28TensorListScalarListMetadataIN3c107complexIfEELi3EEENS1_28PointwiseOpScalarListFunctorIS6_Li3ELi3ELi0EEEJSt7dividesIS6_EEEEvT_T0_DpT1_,"axG",@progbits,_ZN2at6native12_GLOBAL__N_125multi_tensor_apply_kernelINS1_28TensorListScalarListMetadataIN3c107complexIfEELi3EEENS1_28PointwiseOpScalarListFunctorIS6_Li3ELi3ELi0EEEJSt7dividesIS6_EEEEvT_T0_DpT1_,comdat
.Lfunc_end129:
	.size	_ZN2at6native12_GLOBAL__N_125multi_tensor_apply_kernelINS1_28TensorListScalarListMetadataIN3c107complexIfEELi3EEENS1_28PointwiseOpScalarListFunctorIS6_Li3ELi3ELi0EEEJSt7dividesIS6_EEEEvT_T0_DpT1_, .Lfunc_end129-_ZN2at6native12_GLOBAL__N_125multi_tensor_apply_kernelINS1_28TensorListScalarListMetadataIN3c107complexIfEELi3EEENS1_28PointwiseOpScalarListFunctorIS6_Li3ELi3ELi0EEEJSt7dividesIS6_EEEEvT_T0_DpT1_
                                        ; -- End function
	.section	.AMDGPU.csdata,"",@progbits
; Kernel info:
; codeLenInByte = 11412
; NumSgprs: 48
; NumVgprs: 64
; NumAgprs: 0
; TotalNumVgprs: 64
; ScratchSize: 0
; MemoryBound: 1
; FloatMode: 240
; IeeeMode: 1
; LDSByteSize: 0 bytes/workgroup (compile time only)
; SGPRBlocks: 5
; VGPRBlocks: 7
; NumSGPRsForWavesPerEU: 48
; NumVGPRsForWavesPerEU: 64
; AccumOffset: 64
; Occupancy: 8
; WaveLimiterHint : 1
; COMPUTE_PGM_RSRC2:SCRATCH_EN: 0
; COMPUTE_PGM_RSRC2:USER_SGPR: 6
; COMPUTE_PGM_RSRC2:TRAP_HANDLER: 0
; COMPUTE_PGM_RSRC2:TGID_X_EN: 1
; COMPUTE_PGM_RSRC2:TGID_Y_EN: 0
; COMPUTE_PGM_RSRC2:TGID_Z_EN: 0
; COMPUTE_PGM_RSRC2:TIDIG_COMP_CNT: 0
; COMPUTE_PGM_RSRC3_GFX90A:ACCUM_OFFSET: 15
; COMPUTE_PGM_RSRC3_GFX90A:TG_SPLIT: 0
	.section	.text._ZN2at6native12_GLOBAL__N_125multi_tensor_apply_kernelINS1_28TensorListScalarListMetadataIfLi3EEENS1_28PointwiseOpScalarListFunctorIN3c104HalfELi3ELi3ELi0EEEJSt7dividesIfEEEEvT_T0_DpT1_,"axG",@progbits,_ZN2at6native12_GLOBAL__N_125multi_tensor_apply_kernelINS1_28TensorListScalarListMetadataIfLi3EEENS1_28PointwiseOpScalarListFunctorIN3c104HalfELi3ELi3ELi0EEEJSt7dividesIfEEEEvT_T0_DpT1_,comdat
	.globl	_ZN2at6native12_GLOBAL__N_125multi_tensor_apply_kernelINS1_28TensorListScalarListMetadataIfLi3EEENS1_28PointwiseOpScalarListFunctorIN3c104HalfELi3ELi3ELi0EEEJSt7dividesIfEEEEvT_T0_DpT1_ ; -- Begin function _ZN2at6native12_GLOBAL__N_125multi_tensor_apply_kernelINS1_28TensorListScalarListMetadataIfLi3EEENS1_28PointwiseOpScalarListFunctorIN3c104HalfELi3ELi3ELi0EEEJSt7dividesIfEEEEvT_T0_DpT1_
	.p2align	8
	.type	_ZN2at6native12_GLOBAL__N_125multi_tensor_apply_kernelINS1_28TensorListScalarListMetadataIfLi3EEENS1_28PointwiseOpScalarListFunctorIN3c104HalfELi3ELi3ELi0EEEJSt7dividesIfEEEEvT_T0_DpT1_,@function
_ZN2at6native12_GLOBAL__N_125multi_tensor_apply_kernelINS1_28TensorListScalarListMetadataIfLi3EEENS1_28PointwiseOpScalarListFunctorIN3c104HalfELi3ELi3ELi0EEEJSt7dividesIfEEEEvT_T0_DpT1_: ; @_ZN2at6native12_GLOBAL__N_125multi_tensor_apply_kernelINS1_28TensorListScalarListMetadataIfLi3EEENS1_28PointwiseOpScalarListFunctorIN3c104HalfELi3ELi3ELi0EEEJSt7dividesIfEEEEvT_T0_DpT1_
; %bb.0:
	v_mov_b32_e32 v1, s6
	global_load_ubyte v1, v1, s[4:5] offset:1728
	s_add_u32 s0, s4, s6
	s_mul_i32 s1, s6, 3
	s_addc_u32 s2, s5, 0
	s_mul_hi_u32 s3, s6, 3
	s_add_u32 s0, s0, s1
	s_addc_u32 s1, s2, s3
	s_load_dword s0, s[0:1], 0x800
	s_mov_b32 s3, 0
	s_waitcnt lgkmcnt(0)
	s_ashr_i32 s1, s0, 31
	s_waitcnt vmcnt(0)
	v_readfirstlane_b32 s2, v1
	s_lshl_b32 s2, s2, 3
	s_add_u32 s8, s4, s2
	s_load_dwordx2 s[12:13], s[4:5], s2 offset:0x0
	s_load_dwordx2 s[14:15], s[4:5], s2 offset:0x180
	;; [unrolled: 1-line block ×4, first 2 shown]
	v_lshlrev_b32_e32 v1, 2, v1
	s_addc_u32 s2, s5, 0
	v_mov_b32_e32 v3, s2
	v_sub_co_u32_e32 v2, vcc, s8, v1
	s_lshl_b64 s[22:23], s[0:1], 17
	v_subbrev_co_u32_e32 v1, vcc, 0, v3, vcc
	v_readfirstlane_b32 s8, v2
	v_readfirstlane_b32 s9, v1
	s_waitcnt lgkmcnt(0)
	s_add_u32 s10, s14, s22
	s_load_dword s18, s[8:9], 0x600
	s_or_b32 s8, s16, s10
	s_and_b32 s2, s12, 7
	s_and_b32 s8, s8, 7
	s_cmp_eq_u32 s8, 0
	s_cselect_b64 s[8:9], -1, 0
	s_lshl_b64 s[0:1], s[0:1], 16
	s_sub_u32 s20, s6, s0
	s_subb_u32 s21, s7, s1
	s_and_b32 s0, s6, 3
	s_or_b32 s2, s2, s0
	s_cmp_eq_u64 s[2:3], 0
	s_cselect_b64 s[0:1], -1, 0
	s_and_b64 s[2:3], s[8:9], s[0:1]
	s_mov_b64 s[0:1], -1
	s_and_b64 vcc, exec, s[2:3]
	s_cbranch_vccnz .LBB130_29
; %bb.1:
	v_cmp_lt_i64_e64 s[0:1], s[20:21], 1
	s_and_b64 vcc, exec, s[0:1]
	s_cbranch_vccnz .LBB130_28
; %bb.2:
	s_load_dword s0, s[4:5], 0xd14
	v_mov_b32_e32 v2, 0x10000
	v_mov_b32_e32 v3, 0
	v_cmp_lt_u64_e32 vcc, s[20:21], v[2:3]
	v_lshlrev_b32_e32 v14, 1, v0
	s_waitcnt lgkmcnt(0)
	s_and_b32 s6, s0, 0xffff
	s_and_b64 s[0:1], vcc, exec
	v_mov_b32_e32 v19, s13
	v_add_co_u32_e32 v2, vcc, s12, v14
	v_addc_co_u32_e32 v1, vcc, 0, v19, vcc
	v_mov_b32_e32 v21, s15
	v_add_co_u32_e32 v4, vcc, s14, v14
	v_addc_co_u32_e32 v3, vcc, 0, v21, vcc
	v_mov_b32_e32 v15, 0
	v_mov_b32_e32 v23, s17
	v_add_co_u32_e32 v6, vcc, s16, v14
	v_addc_co_u32_e32 v5, vcc, 0, v23, vcc
	v_mad_u64_u32 v[12:13], s[2:3], s6, 6, v[14:15]
	v_add_co_u32_e32 v8, vcc, s12, v12
	v_addc_co_u32_e32 v7, vcc, v19, v13, vcc
	v_add_co_u32_e32 v10, vcc, s14, v12
	v_addc_co_u32_e32 v9, vcc, v21, v13, vcc
	v_add_co_u32_e32 v12, vcc, s16, v12
	s_mul_i32 s8, s6, 3
	v_addc_co_u32_e32 v11, vcc, v23, v13, vcc
	s_cselect_b32 s25, s21, 0
	s_cselect_b32 s24, s20, 0x10000
	s_lshl_b32 s30, s6, 2
	v_add_co_u32_e32 v25, vcc, s8, v0
	v_addc_co_u32_e64 v26, s[2:3], 0, 0, vcc
	v_add_co_u32_e32 v17, vcc, s30, v14
	v_addc_co_u32_e64 v20, s[2:3], 0, 0, vcc
	v_add_co_u32_e32 v14, vcc, s12, v17
	v_addc_co_u32_e32 v13, vcc, v19, v20, vcc
	v_add_co_u32_e32 v16, vcc, s14, v17
	v_addc_co_u32_e32 v15, vcc, v21, v20, vcc
	v_add_co_u32_e32 v18, vcc, s16, v17
	s_lshl_b32 s7, s6, 1
	v_addc_co_u32_e32 v17, vcc, v23, v20, vcc
	v_add_co_u32_e32 v27, vcc, s7, v0
	v_addc_co_u32_e64 v28, s[2:3], 0, 0, vcc
	v_add_co_u32_e32 v29, vcc, s6, v0
	v_lshlrev_b32_e32 v24, 1, v29
	v_addc_co_u32_e64 v30, s[2:3], 0, 0, vcc
	v_add_co_u32_e32 v20, vcc, s12, v24
	v_addc_co_u32_e32 v19, vcc, 0, v19, vcc
	v_add_co_u32_e32 v22, vcc, s14, v24
	v_addc_co_u32_e32 v21, vcc, 0, v21, vcc
	v_add_co_u32_e32 v24, vcc, s16, v24
	s_mov_b32 s19, 0
	v_cmp_eq_f32_e64 s[0:1], s18, 1.0
	s_lshl_b32 s31, s6, 3
	v_addc_co_u32_e32 v23, vcc, 0, v23, vcc
	s_mov_b64 s[26:27], 0
	s_branch .LBB130_4
.LBB130_3:                              ;   in Loop: Header=BB130_4 Depth=1
	s_or_b64 exec, exec, s[2:3]
	s_add_u32 s26, s26, s30
	s_addc_u32 s27, s27, 0
	s_waitcnt vmcnt(1)
	v_pk_mov_b32 v[32:33], s[20:21], s[20:21] op_sel:[0,1]
	v_cmp_lt_i64_e32 vcc, s[26:27], v[32:33]
	v_mov_b32_e32 v32, 0x10000
	v_mov_b32_e32 v33, 0
	v_cmp_lt_u64_e64 s[2:3], s[26:27], v[32:33]
	s_and_b64 s[2:3], vcc, s[2:3]
	v_mov_b32_e32 v31, s19
	v_add_co_u32_e32 v2, vcc, s31, v2
	v_addc_co_u32_e32 v1, vcc, v1, v31, vcc
	v_add_co_u32_e32 v4, vcc, s31, v4
	v_addc_co_u32_e32 v3, vcc, v3, v31, vcc
	;; [unrolled: 2-line block ×12, first 2 shown]
	s_and_b64 vcc, exec, s[2:3]
	s_cbranch_vccz .LBB130_28
.LBB130_4:                              ; =>This Inner Loop Header: Depth=1
	v_mov_b32_e32 v31, s27
	v_add_co_u32_e32 v32, vcc, s26, v0
	v_addc_co_u32_e32 v33, vcc, 0, v31, vcc
	v_cmp_gt_u64_e32 vcc, s[24:25], v[32:33]
	v_mov_b32_e32 v32, 0
	s_waitcnt vmcnt(0)
	v_mov_b32_e32 v35, 0
	s_and_saveexec_b64 s[6:7], vcc
	s_cbranch_execz .LBB130_6
; %bb.5:                                ;   in Loop: Header=BB130_4 Depth=1
	v_mov_b32_e32 v31, s23
	v_add_co_u32_e64 v36, s[2:3], s22, v2
	v_addc_co_u32_e64 v37, s[2:3], v1, v31, s[2:3]
	v_add_co_u32_e64 v38, s[2:3], s22, v4
	v_addc_co_u32_e64 v39, s[2:3], v3, v31, s[2:3]
	global_load_ushort v32, v[36:37], off
	global_load_ushort v35, v[38:39], off
.LBB130_6:                              ;   in Loop: Header=BB130_4 Depth=1
	s_or_b64 exec, exec, s[6:7]
	v_mov_b32_e32 v31, 0
	v_mov_b32_e32 v37, 0
	s_and_saveexec_b64 s[6:7], vcc
	s_cbranch_execz .LBB130_8
; %bb.7:                                ;   in Loop: Header=BB130_4 Depth=1
	v_mov_b32_e32 v33, s23
	v_add_co_u32_e64 v36, s[2:3], s22, v6
	v_addc_co_u32_e64 v37, s[2:3], v5, v33, s[2:3]
	global_load_ushort v37, v[36:37], off
.LBB130_8:                              ;   in Loop: Header=BB130_4 Depth=1
	s_or_b64 exec, exec, s[6:7]
	v_mov_b32_e32 v33, s27
	v_add_co_u32_e64 v38, s[2:3], s26, v29
	v_addc_co_u32_e64 v39, s[2:3], v30, v33, s[2:3]
	v_cmp_gt_u64_e64 s[2:3], s[24:25], v[38:39]
	v_mov_b32_e32 v36, 0
	s_and_saveexec_b64 s[8:9], s[2:3]
	s_cbranch_execz .LBB130_10
; %bb.9:                                ;   in Loop: Header=BB130_4 Depth=1
	v_mov_b32_e32 v31, s23
	v_add_co_u32_e64 v38, s[6:7], s22, v20
	v_addc_co_u32_e64 v39, s[6:7], v19, v31, s[6:7]
	v_add_co_u32_e64 v40, s[6:7], s22, v22
	v_addc_co_u32_e64 v41, s[6:7], v21, v31, s[6:7]
	global_load_ushort v31, v[38:39], off
	global_load_ushort v36, v[40:41], off
.LBB130_10:                             ;   in Loop: Header=BB130_4 Depth=1
	s_or_b64 exec, exec, s[8:9]
	v_mov_b32_e32 v33, 0
	v_mov_b32_e32 v39, 0
	s_and_saveexec_b64 s[8:9], s[2:3]
	s_cbranch_execz .LBB130_12
; %bb.11:                               ;   in Loop: Header=BB130_4 Depth=1
	v_mov_b32_e32 v34, s23
	v_add_co_u32_e64 v38, s[6:7], s22, v24
	v_addc_co_u32_e64 v39, s[6:7], v23, v34, s[6:7]
	global_load_ushort v39, v[38:39], off
.LBB130_12:                             ;   in Loop: Header=BB130_4 Depth=1
	s_or_b64 exec, exec, s[8:9]
	v_mov_b32_e32 v34, s27
	v_add_co_u32_e64 v40, s[6:7], s26, v27
	v_addc_co_u32_e64 v41, s[6:7], v28, v34, s[6:7]
	v_cmp_gt_u64_e64 s[6:7], s[24:25], v[40:41]
	v_mov_b32_e32 v38, 0
	s_and_saveexec_b64 s[10:11], s[6:7]
	s_cbranch_execz .LBB130_14
; %bb.13:                               ;   in Loop: Header=BB130_4 Depth=1
	v_mov_b32_e32 v33, s23
	v_add_co_u32_e64 v40, s[8:9], s22, v14
	v_addc_co_u32_e64 v41, s[8:9], v13, v33, s[8:9]
	v_add_co_u32_e64 v42, s[8:9], s22, v16
	v_addc_co_u32_e64 v43, s[8:9], v15, v33, s[8:9]
	global_load_ushort v33, v[40:41], off
	global_load_ushort v38, v[42:43], off
.LBB130_14:                             ;   in Loop: Header=BB130_4 Depth=1
	s_or_b64 exec, exec, s[10:11]
	v_mov_b32_e32 v34, 0
	v_mov_b32_e32 v41, 0
	s_and_saveexec_b64 s[10:11], s[6:7]
	s_cbranch_execz .LBB130_16
; %bb.15:                               ;   in Loop: Header=BB130_4 Depth=1
	v_mov_b32_e32 v41, s23
	v_add_co_u32_e64 v40, s[8:9], s22, v18
	v_addc_co_u32_e64 v41, s[8:9], v17, v41, s[8:9]
	global_load_ushort v41, v[40:41], off
.LBB130_16:                             ;   in Loop: Header=BB130_4 Depth=1
	s_or_b64 exec, exec, s[10:11]
	v_mov_b32_e32 v40, s27
	v_add_co_u32_e64 v42, s[8:9], s26, v25
	v_addc_co_u32_e64 v43, s[8:9], v26, v40, s[8:9]
	v_cmp_gt_u64_e64 s[8:9], s[24:25], v[42:43]
	v_mov_b32_e32 v40, 0
	s_and_saveexec_b64 s[28:29], s[8:9]
	s_cbranch_execnz .LBB130_22
; %bb.17:                               ;   in Loop: Header=BB130_4 Depth=1
	s_or_b64 exec, exec, s[28:29]
	v_mov_b32_e32 v42, 0
	s_and_saveexec_b64 s[28:29], s[8:9]
	s_cbranch_execnz .LBB130_23
.LBB130_18:                             ;   in Loop: Header=BB130_4 Depth=1
	s_or_b64 exec, exec, s[28:29]
	s_and_saveexec_b64 s[10:11], vcc
	s_cbranch_execnz .LBB130_24
.LBB130_19:                             ;   in Loop: Header=BB130_4 Depth=1
	s_or_b64 exec, exec, s[10:11]
	s_and_saveexec_b64 s[10:11], s[2:3]
	s_cbranch_execnz .LBB130_25
.LBB130_20:                             ;   in Loop: Header=BB130_4 Depth=1
	s_or_b64 exec, exec, s[10:11]
	s_and_saveexec_b64 s[2:3], s[6:7]
	s_cbranch_execnz .LBB130_26
.LBB130_21:                             ;   in Loop: Header=BB130_4 Depth=1
	s_or_b64 exec, exec, s[2:3]
	s_and_saveexec_b64 s[2:3], s[8:9]
	s_cbranch_execz .LBB130_3
	s_branch .LBB130_27
.LBB130_22:                             ;   in Loop: Header=BB130_4 Depth=1
	v_mov_b32_e32 v34, s23
	v_add_co_u32_e64 v42, s[10:11], s22, v8
	v_addc_co_u32_e64 v43, s[10:11], v7, v34, s[10:11]
	v_add_co_u32_e64 v44, s[10:11], s22, v10
	v_addc_co_u32_e64 v45, s[10:11], v9, v34, s[10:11]
	global_load_ushort v34, v[42:43], off
	global_load_ushort v40, v[44:45], off
	s_or_b64 exec, exec, s[28:29]
	v_mov_b32_e32 v42, 0
	s_and_saveexec_b64 s[28:29], s[8:9]
	s_cbranch_execz .LBB130_18
.LBB130_23:                             ;   in Loop: Header=BB130_4 Depth=1
	v_mov_b32_e32 v43, s23
	v_add_co_u32_e64 v42, s[10:11], s22, v12
	v_addc_co_u32_e64 v43, s[10:11], v11, v43, s[10:11]
	global_load_ushort v42, v[42:43], off
	s_or_b64 exec, exec, s[28:29]
	s_and_saveexec_b64 s[10:11], vcc
	s_cbranch_execz .LBB130_19
.LBB130_24:                             ;   in Loop: Header=BB130_4 Depth=1
	s_waitcnt vmcnt(0)
	v_cvt_f32_f16_e32 v35, v35
	v_cvt_f32_f16_e32 v37, v37
	;; [unrolled: 1-line block ×3, first 2 shown]
	v_mov_b32_e32 v43, s23
	v_div_scale_f32 v44, s[28:29], v37, v37, v35
	v_rcp_f32_e32 v45, v44
	v_div_scale_f32 v47, vcc, v35, v37, v35
	v_fma_f32 v48, -v44, v45, 1.0
	v_fmac_f32_e32 v45, v48, v45
	v_mul_f32_e32 v48, v47, v45
	v_fma_f32 v49, -v44, v48, v47
	v_fmac_f32_e32 v48, v49, v45
	v_fma_f32 v44, -v44, v48, v47
	v_div_fmas_f32 v44, v44, v45, v48
	v_div_fixup_f32 v35, v44, v37, v35
	v_add_f32_e32 v37, v35, v46
	v_fma_mix_f32 v32, s18, v35, v32 op_sel_hi:[0,0,1]
	v_cndmask_b32_e64 v32, v32, v37, s[0:1]
	v_cvt_f16_f32_e32 v32, v32
	v_add_co_u32_e32 v44, vcc, s22, v2
	v_addc_co_u32_e32 v45, vcc, v1, v43, vcc
	global_store_short v[44:45], v32, off
	s_or_b64 exec, exec, s[10:11]
	s_and_saveexec_b64 s[10:11], s[2:3]
	s_cbranch_execz .LBB130_20
.LBB130_25:                             ;   in Loop: Header=BB130_4 Depth=1
	s_waitcnt vmcnt(0)
	v_cvt_f32_f16_e32 v32, v36
	v_cvt_f32_f16_e32 v35, v39
	v_cvt_f32_f16_e32 v39, v31
	v_div_scale_f32 v36, s[2:3], v35, v35, v32
	v_rcp_f32_e32 v37, v36
	v_div_scale_f32 v43, vcc, v32, v35, v32
	v_fma_f32 v44, -v36, v37, 1.0
	v_fmac_f32_e32 v37, v44, v37
	v_mul_f32_e32 v44, v43, v37
	v_fma_f32 v45, -v36, v44, v43
	v_fmac_f32_e32 v44, v45, v37
	v_fma_f32 v36, -v36, v44, v43
	v_div_fmas_f32 v36, v36, v37, v44
	v_div_fixup_f32 v32, v36, v35, v32
	v_add_f32_e32 v35, v32, v39
	v_fma_mix_f32 v31, s18, v32, v31 op_sel_hi:[0,0,1]
	v_cndmask_b32_e64 v31, v31, v35, s[0:1]
	v_cvt_f16_f32_e32 v31, v31
	v_mov_b32_e32 v32, s23
	v_add_co_u32_e32 v36, vcc, s22, v20
	v_addc_co_u32_e32 v37, vcc, v19, v32, vcc
	global_store_short v[36:37], v31, off
	s_or_b64 exec, exec, s[10:11]
	s_and_saveexec_b64 s[2:3], s[6:7]
	s_cbranch_execz .LBB130_21
.LBB130_26:                             ;   in Loop: Header=BB130_4 Depth=1
	s_waitcnt vmcnt(0)
	v_cvt_f32_f16_e32 v31, v38
	v_cvt_f32_f16_e32 v32, v41
	;; [unrolled: 1-line block ×3, first 2 shown]
	v_div_scale_f32 v35, s[6:7], v32, v32, v31
	v_rcp_f32_e32 v36, v35
	v_div_scale_f32 v38, vcc, v31, v32, v31
	v_fma_f32 v39, -v35, v36, 1.0
	v_fmac_f32_e32 v36, v39, v36
	v_mul_f32_e32 v39, v38, v36
	v_fma_f32 v41, -v35, v39, v38
	v_fmac_f32_e32 v39, v41, v36
	v_fma_f32 v35, -v35, v39, v38
	v_div_fmas_f32 v35, v35, v36, v39
	v_div_fixup_f32 v31, v35, v32, v31
	v_add_f32_e32 v32, v31, v37
	v_fma_mix_f32 v31, s18, v31, v33 op_sel_hi:[0,0,1]
	v_cndmask_b32_e64 v31, v31, v32, s[0:1]
	v_cvt_f16_f32_e32 v31, v31
	v_mov_b32_e32 v33, s23
	v_add_co_u32_e32 v32, vcc, s22, v14
	v_addc_co_u32_e32 v33, vcc, v13, v33, vcc
	global_store_short v[32:33], v31, off
	s_or_b64 exec, exec, s[2:3]
	s_and_saveexec_b64 s[2:3], s[8:9]
	s_cbranch_execz .LBB130_3
.LBB130_27:                             ;   in Loop: Header=BB130_4 Depth=1
	s_waitcnt vmcnt(0)
	v_cvt_f32_f16_e32 v31, v40
	v_cvt_f32_f16_e32 v32, v42
	;; [unrolled: 1-line block ×3, first 2 shown]
	v_div_scale_f32 v33, s[6:7], v32, v32, v31
	v_rcp_f32_e32 v35, v33
	v_div_scale_f32 v37, vcc, v31, v32, v31
	v_fma_f32 v38, -v33, v35, 1.0
	v_fmac_f32_e32 v35, v38, v35
	v_mul_f32_e32 v38, v37, v35
	v_fma_f32 v39, -v33, v38, v37
	v_fmac_f32_e32 v38, v39, v35
	v_fma_f32 v33, -v33, v38, v37
	v_div_fmas_f32 v33, v33, v35, v38
	v_div_fixup_f32 v31, v33, v32, v31
	v_add_f32_e32 v32, v31, v36
	v_fma_mix_f32 v31, s18, v31, v34 op_sel_hi:[0,0,1]
	v_cndmask_b32_e64 v31, v31, v32, s[0:1]
	v_cvt_f16_f32_e32 v31, v31
	v_mov_b32_e32 v33, s23
	v_add_co_u32_e32 v32, vcc, s22, v8
	v_addc_co_u32_e32 v33, vcc, v7, v33, vcc
	global_store_short v[32:33], v31, off
	s_branch .LBB130_3
.LBB130_28:
	s_mov_b64 s[0:1], 0
.LBB130_29:
	s_andn2_b64 vcc, exec, s[0:1]
	s_cbranch_vccnz .LBB130_33
; %bb.30:
	v_mov_b32_e32 v3, 0
	v_lshlrev_b32_e32 v2, 2, v0
	s_mov_b32 s2, 0
	v_cmp_gt_i64_e32 vcc, s[20:21], v[2:3]
	s_and_saveexec_b64 s[0:1], vcc
	s_cbranch_execz .LBB130_33
; %bb.31:
	s_load_dword s3, s[4:5], 0xd14
	v_lshlrev_b32_e32 v1, 3, v0
	v_mov_b32_e32 v2, s23
	v_add_co_u32_e32 v4, vcc, s22, v1
	s_waitcnt lgkmcnt(0)
	s_and_b32 s3, s3, 0xffff
	v_cmp_eq_f32_e64 s[0:1], s18, 1.0
	s_mov_b32 s19, s18
	s_mov_b32 s8, s18
	;; [unrolled: 1-line block ×3, first 2 shown]
	v_addc_co_u32_e32 v1, vcc, 0, v2, vcc
	s_lshl_b32 s24, s3, 3
	v_add_lshl_u32 v2, v0, s3, 2
	s_lshl_b32 s25, s3, 2
	s_mov_b64 s[10:11], 0
	v_mov_b32_e32 v0, s13
	v_mov_b32_e32 v5, s15
	;; [unrolled: 1-line block ×3, first 2 shown]
	s_mov_b64 s[22:23], 0xffff
	v_mov_b32_e32 v7, s2
	v_mov_b32_e32 v8, s2
.LBB130_32:                             ; =>This Inner Loop Header: Depth=1
	v_add_co_u32_e32 v10, vcc, s12, v4
	v_addc_co_u32_e32 v11, vcc, v0, v1, vcc
	v_add_co_u32_e32 v12, vcc, s14, v4
	v_addc_co_u32_e32 v13, vcc, v5, v1, vcc
	;; [unrolled: 2-line block ×3, first 2 shown]
	global_load_dwordx2 v[16:17], v[12:13], off
	global_load_dwordx2 v[18:19], v[14:15], off
	;; [unrolled: 1-line block ×3, first 2 shown]
	v_cmp_le_i64_e32 vcc, s[20:21], v[2:3]
	v_cmp_lt_u64_e64 s[2:3], s[22:23], v[2:3]
	v_add_co_u32_e64 v4, s[4:5], s24, v4
	v_addc_co_u32_e64 v1, s[4:5], v1, v7, s[4:5]
	s_or_b64 s[26:27], vcc, s[2:3]
	v_add_co_u32_e64 v2, s[4:5], s25, v2
	v_addc_co_u32_e64 v3, s[4:5], v3, v8, s[4:5]
	s_waitcnt vmcnt(2)
	v_cvt_f32_f16_sdwa v9, v17 dst_sel:DWORD dst_unused:UNUSED_PAD src0_sel:WORD_1
	s_waitcnt vmcnt(1)
	v_cvt_f32_f16_sdwa v22, v19 dst_sel:DWORD dst_unused:UNUSED_PAD src0_sel:WORD_1
	s_waitcnt vmcnt(0)
	v_cvt_f32_f16_e32 v12, v20
	v_cvt_f32_f16_sdwa v13, v20 dst_sel:DWORD dst_unused:UNUSED_PAD src0_sel:WORD_1
	v_cvt_f32_f16_e32 v14, v21
	v_cvt_f32_f16_sdwa v15, v21 dst_sel:DWORD dst_unused:UNUSED_PAD src0_sel:WORD_1
	;; [unrolled: 2-line block ×3, first 2 shown]
	v_cvt_f32_f16_e32 v16, v16
	v_cvt_f32_f16_e32 v21, v18
	v_cvt_f32_f16_sdwa v18, v18 dst_sel:DWORD dst_unused:UNUSED_PAD src0_sel:WORD_1
	v_cvt_f32_f16_e32 v19, v19
	v_div_scale_f32 v29, s[6:7], v22, v22, v9
	v_div_scale_f32 v23, s[2:3], v21, v21, v16
	v_div_scale_f32 v25, s[2:3], v18, v18, v17
	v_rcp_f32_e32 v31, v23
	v_div_scale_f32 v27, s[4:5], v19, v19, v20
	v_rcp_f32_e32 v32, v25
	v_rcp_f32_e32 v33, v27
	;; [unrolled: 1-line block ×3, first 2 shown]
	v_fma_f32 v35, -v23, v31, 1.0
	v_div_scale_f32 v24, vcc, v16, v21, v16
	v_fma_f32 v36, -v25, v32, 1.0
	v_fmac_f32_e32 v31, v35, v31
	v_div_scale_f32 v26, s[2:3], v17, v18, v17
	v_fma_f32 v37, -v27, v33, 1.0
	v_fmac_f32_e32 v32, v36, v32
	v_mul_f32_e32 v35, v24, v31
	v_div_scale_f32 v28, s[4:5], v20, v19, v20
	v_fma_f32 v38, -v29, v34, 1.0
	v_fmac_f32_e32 v33, v37, v33
	v_mul_f32_e32 v36, v26, v32
	v_fma_f32 v39, -v23, v35, v24
	v_div_scale_f32 v30, s[6:7], v9, v22, v9
	v_fmac_f32_e32 v34, v38, v34
	v_mul_f32_e32 v37, v28, v33
	v_fma_f32 v40, -v25, v36, v26
	v_fmac_f32_e32 v35, v39, v31
	v_mul_f32_e32 v38, v30, v34
	v_fma_f32 v41, -v27, v37, v28
	v_fmac_f32_e32 v36, v40, v32
	v_fma_f32 v23, -v23, v35, v24
	v_fma_f32 v42, -v29, v38, v30
	v_fmac_f32_e32 v37, v41, v33
	v_fma_f32 v24, -v25, v36, v26
	v_div_fmas_f32 v23, v23, v31, v35
	s_mov_b64 vcc, s[2:3]
	v_fmac_f32_e32 v38, v42, v34
	v_fma_f32 v25, -v27, v37, v28
	v_div_fixup_f32 v16, v23, v21, v16
	v_div_fmas_f32 v21, v24, v32, v36
	s_mov_b64 vcc, s[4:5]
	v_fma_f32 v26, -v29, v38, v30
	v_div_fixup_f32 v17, v21, v18, v17
	v_div_fmas_f32 v18, v25, v33, v37
	s_mov_b64 vcc, s[6:7]
	v_div_fixup_f32 v18, v18, v19, v20
	v_div_fmas_f32 v19, v26, v34, v38
	v_pk_add_f32 v[20:21], v[16:17], v[12:13]
	v_pk_fma_f32 v[12:13], s[18:19], v[16:17], v[12:13]
	v_div_fixup_f32 v19, v19, v22, v9
	v_cndmask_b32_e64 v9, v12, v20, s[0:1]
	v_cndmask_b32_e64 v16, v13, v21, s[0:1]
	v_pk_add_f32 v[12:13], v[18:19], v[14:15]
	v_pk_fma_f32 v[14:15], s[8:9], v[18:19], v[14:15]
	v_cndmask_b32_e64 v12, v14, v12, s[0:1]
	v_cndmask_b32_e64 v13, v15, v13, s[0:1]
	v_cvt_f16_f32_e32 v16, v16
	v_cvt_f16_f32_e32 v9, v9
	;; [unrolled: 1-line block ×4, first 2 shown]
	s_and_b64 s[2:3], exec, s[26:27]
	s_or_b64 s[10:11], s[2:3], s[10:11]
	v_pack_b32_f16 v12, v9, v16
	v_pack_b32_f16 v13, v14, v13
	global_store_dwordx2 v[10:11], v[12:13], off
	s_andn2_b64 exec, exec, s[10:11]
	s_cbranch_execnz .LBB130_32
.LBB130_33:
	s_endpgm
	.section	.rodata,"a",@progbits
	.p2align	6, 0x0
	.amdhsa_kernel _ZN2at6native12_GLOBAL__N_125multi_tensor_apply_kernelINS1_28TensorListScalarListMetadataIfLi3EEENS1_28PointwiseOpScalarListFunctorIN3c104HalfELi3ELi3ELi0EEEJSt7dividesIfEEEEvT_T0_DpT1_
		.amdhsa_group_segment_fixed_size 0
		.amdhsa_private_segment_fixed_size 0
		.amdhsa_kernarg_size 3592
		.amdhsa_user_sgpr_count 6
		.amdhsa_user_sgpr_private_segment_buffer 1
		.amdhsa_user_sgpr_dispatch_ptr 0
		.amdhsa_user_sgpr_queue_ptr 0
		.amdhsa_user_sgpr_kernarg_segment_ptr 1
		.amdhsa_user_sgpr_dispatch_id 0
		.amdhsa_user_sgpr_flat_scratch_init 0
		.amdhsa_user_sgpr_kernarg_preload_length 0
		.amdhsa_user_sgpr_kernarg_preload_offset 0
		.amdhsa_user_sgpr_private_segment_size 0
		.amdhsa_uses_dynamic_stack 0
		.amdhsa_system_sgpr_private_segment_wavefront_offset 0
		.amdhsa_system_sgpr_workgroup_id_x 1
		.amdhsa_system_sgpr_workgroup_id_y 0
		.amdhsa_system_sgpr_workgroup_id_z 0
		.amdhsa_system_sgpr_workgroup_info 0
		.amdhsa_system_vgpr_workitem_id 0
		.amdhsa_next_free_vgpr 50
		.amdhsa_next_free_sgpr 32
		.amdhsa_accum_offset 52
		.amdhsa_reserve_vcc 1
		.amdhsa_reserve_flat_scratch 0
		.amdhsa_float_round_mode_32 0
		.amdhsa_float_round_mode_16_64 0
		.amdhsa_float_denorm_mode_32 3
		.amdhsa_float_denorm_mode_16_64 3
		.amdhsa_dx10_clamp 1
		.amdhsa_ieee_mode 1
		.amdhsa_fp16_overflow 0
		.amdhsa_tg_split 0
		.amdhsa_exception_fp_ieee_invalid_op 0
		.amdhsa_exception_fp_denorm_src 0
		.amdhsa_exception_fp_ieee_div_zero 0
		.amdhsa_exception_fp_ieee_overflow 0
		.amdhsa_exception_fp_ieee_underflow 0
		.amdhsa_exception_fp_ieee_inexact 0
		.amdhsa_exception_int_div_zero 0
	.end_amdhsa_kernel
	.section	.text._ZN2at6native12_GLOBAL__N_125multi_tensor_apply_kernelINS1_28TensorListScalarListMetadataIfLi3EEENS1_28PointwiseOpScalarListFunctorIN3c104HalfELi3ELi3ELi0EEEJSt7dividesIfEEEEvT_T0_DpT1_,"axG",@progbits,_ZN2at6native12_GLOBAL__N_125multi_tensor_apply_kernelINS1_28TensorListScalarListMetadataIfLi3EEENS1_28PointwiseOpScalarListFunctorIN3c104HalfELi3ELi3ELi0EEEJSt7dividesIfEEEEvT_T0_DpT1_,comdat
.Lfunc_end130:
	.size	_ZN2at6native12_GLOBAL__N_125multi_tensor_apply_kernelINS1_28TensorListScalarListMetadataIfLi3EEENS1_28PointwiseOpScalarListFunctorIN3c104HalfELi3ELi3ELi0EEEJSt7dividesIfEEEEvT_T0_DpT1_, .Lfunc_end130-_ZN2at6native12_GLOBAL__N_125multi_tensor_apply_kernelINS1_28TensorListScalarListMetadataIfLi3EEENS1_28PointwiseOpScalarListFunctorIN3c104HalfELi3ELi3ELi0EEEJSt7dividesIfEEEEvT_T0_DpT1_
                                        ; -- End function
	.section	.AMDGPU.csdata,"",@progbits
; Kernel info:
; codeLenInByte = 2612
; NumSgprs: 36
; NumVgprs: 50
; NumAgprs: 0
; TotalNumVgprs: 50
; ScratchSize: 0
; MemoryBound: 0
; FloatMode: 240
; IeeeMode: 1
; LDSByteSize: 0 bytes/workgroup (compile time only)
; SGPRBlocks: 4
; VGPRBlocks: 6
; NumSGPRsForWavesPerEU: 36
; NumVGPRsForWavesPerEU: 50
; AccumOffset: 52
; Occupancy: 8
; WaveLimiterHint : 0
; COMPUTE_PGM_RSRC2:SCRATCH_EN: 0
; COMPUTE_PGM_RSRC2:USER_SGPR: 6
; COMPUTE_PGM_RSRC2:TRAP_HANDLER: 0
; COMPUTE_PGM_RSRC2:TGID_X_EN: 1
; COMPUTE_PGM_RSRC2:TGID_Y_EN: 0
; COMPUTE_PGM_RSRC2:TGID_Z_EN: 0
; COMPUTE_PGM_RSRC2:TIDIG_COMP_CNT: 0
; COMPUTE_PGM_RSRC3_GFX90A:ACCUM_OFFSET: 12
; COMPUTE_PGM_RSRC3_GFX90A:TG_SPLIT: 0
	.section	.text._ZN2at6native12_GLOBAL__N_125multi_tensor_apply_kernelINS1_28TensorListScalarListMetadataIfLi3EEENS1_28PointwiseOpScalarListFunctorIN3c108BFloat16ELi3ELi3ELi0EEEJSt7dividesIfEEEEvT_T0_DpT1_,"axG",@progbits,_ZN2at6native12_GLOBAL__N_125multi_tensor_apply_kernelINS1_28TensorListScalarListMetadataIfLi3EEENS1_28PointwiseOpScalarListFunctorIN3c108BFloat16ELi3ELi3ELi0EEEJSt7dividesIfEEEEvT_T0_DpT1_,comdat
	.globl	_ZN2at6native12_GLOBAL__N_125multi_tensor_apply_kernelINS1_28TensorListScalarListMetadataIfLi3EEENS1_28PointwiseOpScalarListFunctorIN3c108BFloat16ELi3ELi3ELi0EEEJSt7dividesIfEEEEvT_T0_DpT1_ ; -- Begin function _ZN2at6native12_GLOBAL__N_125multi_tensor_apply_kernelINS1_28TensorListScalarListMetadataIfLi3EEENS1_28PointwiseOpScalarListFunctorIN3c108BFloat16ELi3ELi3ELi0EEEJSt7dividesIfEEEEvT_T0_DpT1_
	.p2align	8
	.type	_ZN2at6native12_GLOBAL__N_125multi_tensor_apply_kernelINS1_28TensorListScalarListMetadataIfLi3EEENS1_28PointwiseOpScalarListFunctorIN3c108BFloat16ELi3ELi3ELi0EEEJSt7dividesIfEEEEvT_T0_DpT1_,@function
_ZN2at6native12_GLOBAL__N_125multi_tensor_apply_kernelINS1_28TensorListScalarListMetadataIfLi3EEENS1_28PointwiseOpScalarListFunctorIN3c108BFloat16ELi3ELi3ELi0EEEJSt7dividesIfEEEEvT_T0_DpT1_: ; @_ZN2at6native12_GLOBAL__N_125multi_tensor_apply_kernelINS1_28TensorListScalarListMetadataIfLi3EEENS1_28PointwiseOpScalarListFunctorIN3c108BFloat16ELi3ELi3ELi0EEEJSt7dividesIfEEEEvT_T0_DpT1_
; %bb.0:
	v_mov_b32_e32 v1, s6
	global_load_ubyte v1, v1, s[4:5] offset:1728
	s_add_u32 s0, s4, s6
	s_mul_i32 s1, s6, 3
	s_addc_u32 s2, s5, 0
	s_mul_hi_u32 s3, s6, 3
	s_add_u32 s0, s0, s1
	s_addc_u32 s1, s2, s3
	s_load_dword s0, s[0:1], 0x800
	s_mov_b32 s3, 0
	s_waitcnt lgkmcnt(0)
	s_ashr_i32 s1, s0, 31
	s_waitcnt vmcnt(0)
	v_readfirstlane_b32 s2, v1
	s_lshl_b32 s2, s2, 3
	s_add_u32 s8, s4, s2
	s_load_dwordx2 s[12:13], s[4:5], s2 offset:0x0
	s_load_dwordx2 s[14:15], s[4:5], s2 offset:0x180
	;; [unrolled: 1-line block ×4, first 2 shown]
	v_lshlrev_b32_e32 v1, 2, v1
	s_addc_u32 s2, s5, 0
	v_mov_b32_e32 v3, s2
	v_sub_co_u32_e32 v2, vcc, s8, v1
	s_lshl_b64 s[20:21], s[0:1], 17
	v_subbrev_co_u32_e32 v1, vcc, 0, v3, vcc
	v_readfirstlane_b32 s8, v2
	v_readfirstlane_b32 s9, v1
	s_waitcnt lgkmcnt(0)
	s_add_u32 s10, s14, s20
	s_load_dword s28, s[8:9], 0x600
	s_or_b32 s8, s16, s10
	s_and_b32 s2, s12, 7
	s_and_b32 s8, s8, 7
	s_cmp_eq_u32 s8, 0
	s_cselect_b64 s[8:9], -1, 0
	s_lshl_b64 s[0:1], s[0:1], 16
	s_sub_u32 s18, s6, s0
	s_subb_u32 s19, s7, s1
	s_and_b32 s0, s6, 3
	s_or_b32 s2, s2, s0
	s_cmp_eq_u64 s[2:3], 0
	s_cselect_b64 s[0:1], -1, 0
	s_and_b64 s[2:3], s[8:9], s[0:1]
	s_mov_b64 s[0:1], -1
	s_and_b64 vcc, exec, s[2:3]
	s_cbranch_vccnz .LBB131_29
; %bb.1:
	v_cmp_lt_i64_e64 s[0:1], s[18:19], 1
	s_and_b64 vcc, exec, s[0:1]
	s_cbranch_vccnz .LBB131_28
; %bb.2:
	s_load_dword s0, s[4:5], 0xd14
	v_mov_b32_e32 v2, 0x10000
	v_mov_b32_e32 v3, 0
	v_cmp_lt_u64_e32 vcc, s[18:19], v[2:3]
	v_lshlrev_b32_e32 v14, 1, v0
	s_waitcnt lgkmcnt(0)
	s_and_b32 s6, s0, 0xffff
	s_and_b64 s[0:1], vcc, exec
	v_mov_b32_e32 v19, s13
	v_add_co_u32_e32 v2, vcc, s12, v14
	v_addc_co_u32_e32 v1, vcc, 0, v19, vcc
	v_mov_b32_e32 v21, s15
	v_add_co_u32_e32 v4, vcc, s14, v14
	v_addc_co_u32_e32 v3, vcc, 0, v21, vcc
	v_mov_b32_e32 v15, 0
	v_mov_b32_e32 v23, s17
	v_add_co_u32_e32 v6, vcc, s16, v14
	v_addc_co_u32_e32 v5, vcc, 0, v23, vcc
	v_mad_u64_u32 v[12:13], s[2:3], s6, 6, v[14:15]
	v_add_co_u32_e32 v8, vcc, s12, v12
	v_addc_co_u32_e32 v7, vcc, v19, v13, vcc
	v_add_co_u32_e32 v10, vcc, s14, v12
	v_addc_co_u32_e32 v9, vcc, v21, v13, vcc
	v_add_co_u32_e32 v12, vcc, s16, v12
	s_mul_i32 s8, s6, 3
	v_addc_co_u32_e32 v11, vcc, v23, v13, vcc
	s_cselect_b32 s23, s19, 0
	s_cselect_b32 s22, s18, 0x10000
	s_lshl_b32 s30, s6, 2
	v_add_co_u32_e32 v25, vcc, s8, v0
	v_addc_co_u32_e64 v26, s[2:3], 0, 0, vcc
	v_add_co_u32_e32 v17, vcc, s30, v14
	v_addc_co_u32_e64 v20, s[2:3], 0, 0, vcc
	v_add_co_u32_e32 v14, vcc, s12, v17
	v_addc_co_u32_e32 v13, vcc, v19, v20, vcc
	v_add_co_u32_e32 v16, vcc, s14, v17
	v_addc_co_u32_e32 v15, vcc, v21, v20, vcc
	v_add_co_u32_e32 v18, vcc, s16, v17
	s_lshl_b32 s7, s6, 1
	v_addc_co_u32_e32 v17, vcc, v23, v20, vcc
	v_add_co_u32_e32 v27, vcc, s7, v0
	v_addc_co_u32_e64 v28, s[2:3], 0, 0, vcc
	v_add_co_u32_e32 v29, vcc, s6, v0
	v_lshlrev_b32_e32 v24, 1, v29
	v_addc_co_u32_e64 v30, s[2:3], 0, 0, vcc
	v_add_co_u32_e32 v20, vcc, s12, v24
	v_addc_co_u32_e32 v19, vcc, 0, v19, vcc
	v_add_co_u32_e32 v22, vcc, s14, v24
	v_addc_co_u32_e32 v21, vcc, 0, v21, vcc
	v_add_co_u32_e32 v24, vcc, s16, v24
	s_mov_b32 s29, 0
	v_cmp_eq_f32_e64 s[0:1], s28, 1.0
	s_lshl_b32 s31, s6, 3
	v_addc_co_u32_e32 v23, vcc, 0, v23, vcc
	s_mov_b64 s[24:25], 0
	s_movk_i32 s33, 0x7fff
	v_mov_b32_e32 v31, 0x7fc0
	s_branch .LBB131_4
.LBB131_3:                              ;   in Loop: Header=BB131_4 Depth=1
	s_or_b64 exec, exec, s[2:3]
	s_add_u32 s24, s24, s30
	s_addc_u32 s25, s25, 0
	s_waitcnt vmcnt(1)
	v_pk_mov_b32 v[32:33], s[18:19], s[18:19] op_sel:[0,1]
	v_cmp_lt_i64_e32 vcc, s[24:25], v[32:33]
	v_mov_b32_e32 v32, 0x10000
	v_mov_b32_e32 v33, 0
	v_cmp_lt_u64_e64 s[2:3], s[24:25], v[32:33]
	s_and_b64 s[2:3], vcc, s[2:3]
	v_mov_b32_e32 v32, s29
	v_add_co_u32_e32 v2, vcc, s31, v2
	v_addc_co_u32_e32 v1, vcc, v1, v32, vcc
	v_add_co_u32_e32 v4, vcc, s31, v4
	v_addc_co_u32_e32 v3, vcc, v3, v32, vcc
	;; [unrolled: 2-line block ×12, first 2 shown]
	s_and_b64 vcc, exec, s[2:3]
	s_cbranch_vccz .LBB131_28
.LBB131_4:                              ; =>This Inner Loop Header: Depth=1
	v_mov_b32_e32 v33, s25
	v_add_co_u32_e32 v32, vcc, s24, v0
	v_addc_co_u32_e32 v33, vcc, 0, v33, vcc
	v_cmp_gt_u64_e32 vcc, s[22:23], v[32:33]
	v_mov_b32_e32 v33, 0
	s_waitcnt vmcnt(0)
	v_mov_b32_e32 v35, 0
	s_and_saveexec_b64 s[6:7], vcc
	s_cbranch_execz .LBB131_6
; %bb.5:                                ;   in Loop: Header=BB131_4 Depth=1
	v_mov_b32_e32 v32, s21
	v_add_co_u32_e64 v36, s[2:3], s20, v2
	v_addc_co_u32_e64 v37, s[2:3], v1, v32, s[2:3]
	v_add_co_u32_e64 v38, s[2:3], s20, v4
	v_addc_co_u32_e64 v39, s[2:3], v3, v32, s[2:3]
	global_load_ushort v33, v[36:37], off
	global_load_ushort v35, v[38:39], off
.LBB131_6:                              ;   in Loop: Header=BB131_4 Depth=1
	s_or_b64 exec, exec, s[6:7]
	v_mov_b32_e32 v32, 0
	v_mov_b32_e32 v38, 0
	s_and_saveexec_b64 s[6:7], vcc
	s_cbranch_execz .LBB131_8
; %bb.7:                                ;   in Loop: Header=BB131_4 Depth=1
	v_mov_b32_e32 v34, s21
	v_add_co_u32_e64 v36, s[2:3], s20, v6
	v_addc_co_u32_e64 v37, s[2:3], v5, v34, s[2:3]
	global_load_ushort v38, v[36:37], off
.LBB131_8:                              ;   in Loop: Header=BB131_4 Depth=1
	s_or_b64 exec, exec, s[6:7]
	v_mov_b32_e32 v34, s25
	v_add_co_u32_e64 v36, s[2:3], s24, v29
	v_addc_co_u32_e64 v37, s[2:3], v30, v34, s[2:3]
	v_cmp_gt_u64_e64 s[2:3], s[22:23], v[36:37]
	v_mov_b32_e32 v37, 0
	s_and_saveexec_b64 s[8:9], s[2:3]
	s_cbranch_execz .LBB131_10
; %bb.9:                                ;   in Loop: Header=BB131_4 Depth=1
	v_mov_b32_e32 v32, s21
	v_add_co_u32_e64 v40, s[6:7], s20, v22
	v_addc_co_u32_e64 v41, s[6:7], v21, v32, s[6:7]
	v_add_co_u32_e64 v42, s[6:7], s20, v20
	v_addc_co_u32_e64 v43, s[6:7], v19, v32, s[6:7]
	global_load_ushort v32, v[42:43], off
	global_load_ushort v37, v[40:41], off
.LBB131_10:                             ;   in Loop: Header=BB131_4 Depth=1
	s_or_b64 exec, exec, s[8:9]
	v_mov_b32_e32 v34, 0
	v_mov_b32_e32 v40, 0
	s_and_saveexec_b64 s[8:9], s[2:3]
	s_cbranch_execz .LBB131_12
; %bb.11:                               ;   in Loop: Header=BB131_4 Depth=1
	v_mov_b32_e32 v36, s21
	v_add_co_u32_e64 v40, s[6:7], s20, v24
	v_addc_co_u32_e64 v41, s[6:7], v23, v36, s[6:7]
	global_load_ushort v40, v[40:41], off
.LBB131_12:                             ;   in Loop: Header=BB131_4 Depth=1
	s_or_b64 exec, exec, s[8:9]
	v_mov_b32_e32 v36, s25
	v_add_co_u32_e64 v42, s[6:7], s24, v27
	v_addc_co_u32_e64 v43, s[6:7], v28, v36, s[6:7]
	v_cmp_gt_u64_e64 s[6:7], s[22:23], v[42:43]
	v_mov_b32_e32 v39, 0
	s_and_saveexec_b64 s[10:11], s[6:7]
	s_cbranch_execz .LBB131_14
; %bb.13:                               ;   in Loop: Header=BB131_4 Depth=1
	v_mov_b32_e32 v34, s21
	v_add_co_u32_e64 v42, s[8:9], s20, v16
	v_addc_co_u32_e64 v43, s[8:9], v15, v34, s[8:9]
	v_add_co_u32_e64 v44, s[8:9], s20, v14
	v_addc_co_u32_e64 v45, s[8:9], v13, v34, s[8:9]
	global_load_ushort v34, v[44:45], off
	global_load_ushort v39, v[42:43], off
.LBB131_14:                             ;   in Loop: Header=BB131_4 Depth=1
	s_or_b64 exec, exec, s[10:11]
	v_mov_b32_e32 v36, 0
	v_mov_b32_e32 v42, 0
	s_and_saveexec_b64 s[10:11], s[6:7]
	s_cbranch_execz .LBB131_16
; %bb.15:                               ;   in Loop: Header=BB131_4 Depth=1
	v_mov_b32_e32 v41, s21
	v_add_co_u32_e64 v42, s[8:9], s20, v18
	v_addc_co_u32_e64 v43, s[8:9], v17, v41, s[8:9]
	global_load_ushort v42, v[42:43], off
.LBB131_16:                             ;   in Loop: Header=BB131_4 Depth=1
	s_or_b64 exec, exec, s[10:11]
	v_mov_b32_e32 v41, s25
	v_add_co_u32_e64 v44, s[8:9], s24, v25
	v_addc_co_u32_e64 v45, s[8:9], v26, v41, s[8:9]
	v_cmp_gt_u64_e64 s[8:9], s[22:23], v[44:45]
	v_mov_b32_e32 v41, 0
	s_and_saveexec_b64 s[26:27], s[8:9]
	s_cbranch_execnz .LBB131_22
; %bb.17:                               ;   in Loop: Header=BB131_4 Depth=1
	s_or_b64 exec, exec, s[26:27]
	v_mov_b32_e32 v43, 0
	s_and_saveexec_b64 s[26:27], s[8:9]
	s_cbranch_execnz .LBB131_23
.LBB131_18:                             ;   in Loop: Header=BB131_4 Depth=1
	s_or_b64 exec, exec, s[26:27]
	s_and_saveexec_b64 s[10:11], vcc
	s_cbranch_execnz .LBB131_24
.LBB131_19:                             ;   in Loop: Header=BB131_4 Depth=1
	s_or_b64 exec, exec, s[10:11]
	s_and_saveexec_b64 s[10:11], s[2:3]
	s_cbranch_execnz .LBB131_25
.LBB131_20:                             ;   in Loop: Header=BB131_4 Depth=1
	s_or_b64 exec, exec, s[10:11]
	s_and_saveexec_b64 s[2:3], s[6:7]
	s_cbranch_execnz .LBB131_26
.LBB131_21:                             ;   in Loop: Header=BB131_4 Depth=1
	s_or_b64 exec, exec, s[2:3]
	s_and_saveexec_b64 s[2:3], s[8:9]
	s_cbranch_execz .LBB131_3
	s_branch .LBB131_27
.LBB131_22:                             ;   in Loop: Header=BB131_4 Depth=1
	v_mov_b32_e32 v36, s21
	v_add_co_u32_e64 v44, s[10:11], s20, v10
	v_addc_co_u32_e64 v45, s[10:11], v9, v36, s[10:11]
	v_add_co_u32_e64 v46, s[10:11], s20, v8
	v_addc_co_u32_e64 v47, s[10:11], v7, v36, s[10:11]
	global_load_ushort v36, v[46:47], off
	global_load_ushort v41, v[44:45], off
	s_or_b64 exec, exec, s[26:27]
	v_mov_b32_e32 v43, 0
	s_and_saveexec_b64 s[26:27], s[8:9]
	s_cbranch_execz .LBB131_18
.LBB131_23:                             ;   in Loop: Header=BB131_4 Depth=1
	v_mov_b32_e32 v43, s21
	v_add_co_u32_e64 v44, s[10:11], s20, v12
	v_addc_co_u32_e64 v45, s[10:11], v11, v43, s[10:11]
	global_load_ushort v43, v[44:45], off
	s_or_b64 exec, exec, s[26:27]
	s_and_saveexec_b64 s[10:11], vcc
	s_cbranch_execz .LBB131_19
.LBB131_24:                             ;   in Loop: Header=BB131_4 Depth=1
	s_waitcnt vmcnt(0)
	v_lshlrev_b32_e32 v35, 16, v35
	v_lshlrev_b32_e32 v38, 16, v38
	v_div_scale_f32 v44, s[26:27], v38, v38, v35
	v_rcp_f32_e32 v45, v44
	v_lshlrev_b32_e32 v33, 16, v33
	v_fma_f32 v46, -v44, v45, 1.0
	v_fmac_f32_e32 v45, v46, v45
	v_div_scale_f32 v46, vcc, v35, v38, v35
	v_mul_f32_e32 v47, v46, v45
	v_fma_f32 v48, -v44, v47, v46
	v_fmac_f32_e32 v47, v48, v45
	v_fma_f32 v44, -v44, v47, v46
	v_div_fmas_f32 v44, v44, v45, v47
	v_div_fixup_f32 v35, v44, v38, v35
	v_add_f32_e32 v38, v35, v33
	v_fmac_f32_e32 v33, s28, v35
	v_cndmask_b32_e64 v33, v33, v38, s[0:1]
	v_bfe_u32 v35, v33, 16, 1
	v_add3_u32 v35, v33, v35, s33
	v_lshrrev_b32_e32 v35, 16, v35
	v_cmp_o_f32_e32 vcc, v33, v33
	v_cndmask_b32_e32 v33, v31, v35, vcc
	v_mov_b32_e32 v35, s21
	v_add_co_u32_e32 v44, vcc, s20, v2
	v_addc_co_u32_e32 v45, vcc, v1, v35, vcc
	global_store_short v[44:45], v33, off
	s_or_b64 exec, exec, s[10:11]
	s_and_saveexec_b64 s[10:11], s[2:3]
	s_cbranch_execz .LBB131_20
.LBB131_25:                             ;   in Loop: Header=BB131_4 Depth=1
	s_waitcnt vmcnt(0)
	v_lshlrev_b32_e32 v33, 16, v37
	v_lshlrev_b32_e32 v35, 16, v40
	v_div_scale_f32 v37, s[2:3], v35, v35, v33
	v_rcp_f32_e32 v38, v37
	v_lshlrev_b32_e32 v32, 16, v32
	v_fma_f32 v40, -v37, v38, 1.0
	v_fmac_f32_e32 v38, v40, v38
	v_div_scale_f32 v40, vcc, v33, v35, v33
	v_mul_f32_e32 v44, v40, v38
	v_fma_f32 v45, -v37, v44, v40
	v_fmac_f32_e32 v44, v45, v38
	v_fma_f32 v37, -v37, v44, v40
	v_div_fmas_f32 v37, v37, v38, v44
	v_div_fixup_f32 v33, v37, v35, v33
	v_add_f32_e32 v35, v33, v32
	v_fmac_f32_e32 v32, s28, v33
	v_cndmask_b32_e64 v35, v32, v35, s[0:1]
	v_bfe_u32 v32, v35, 16, 1
	v_add3_u32 v32, v35, v32, s33
	v_lshrrev_b32_e32 v37, 16, v32
	v_mov_b32_e32 v33, s21
	v_add_co_u32_e32 v32, vcc, s20, v20
	v_addc_co_u32_e32 v33, vcc, v19, v33, vcc
	v_cmp_o_f32_e32 vcc, v35, v35
	v_cndmask_b32_e32 v35, v31, v37, vcc
	global_store_short v[32:33], v35, off
	s_or_b64 exec, exec, s[10:11]
	s_and_saveexec_b64 s[2:3], s[6:7]
	s_cbranch_execz .LBB131_21
.LBB131_26:                             ;   in Loop: Header=BB131_4 Depth=1
	s_waitcnt vmcnt(0)
	v_lshlrev_b32_e32 v32, 16, v39
	v_lshlrev_b32_e32 v33, 16, v42
	v_div_scale_f32 v35, s[6:7], v33, v33, v32
	v_rcp_f32_e32 v37, v35
	v_lshlrev_b32_e32 v34, 16, v34
	v_fma_f32 v38, -v35, v37, 1.0
	v_fmac_f32_e32 v37, v38, v37
	v_div_scale_f32 v38, vcc, v32, v33, v32
	v_mul_f32_e32 v39, v38, v37
	v_fma_f32 v40, -v35, v39, v38
	v_fmac_f32_e32 v39, v40, v37
	v_fma_f32 v35, -v35, v39, v38
	v_div_fmas_f32 v35, v35, v37, v39
	v_div_fixup_f32 v32, v35, v33, v32
	v_add_f32_e32 v33, v32, v34
	v_fmac_f32_e32 v34, s28, v32
	v_cndmask_b32_e64 v34, v34, v33, s[0:1]
	v_bfe_u32 v32, v34, 16, 1
	v_add3_u32 v32, v34, v32, s33
	v_lshrrev_b32_e32 v35, 16, v32
	v_mov_b32_e32 v33, s21
	v_add_co_u32_e32 v32, vcc, s20, v14
	v_addc_co_u32_e32 v33, vcc, v13, v33, vcc
	v_cmp_o_f32_e32 vcc, v34, v34
	v_cndmask_b32_e32 v34, v31, v35, vcc
	global_store_short v[32:33], v34, off
	s_or_b64 exec, exec, s[2:3]
	s_and_saveexec_b64 s[2:3], s[8:9]
	s_cbranch_execz .LBB131_3
.LBB131_27:                             ;   in Loop: Header=BB131_4 Depth=1
	s_waitcnt vmcnt(0)
	v_lshlrev_b32_e32 v32, 16, v41
	v_lshlrev_b32_e32 v33, 16, v43
	v_div_scale_f32 v34, s[6:7], v33, v33, v32
	v_rcp_f32_e32 v35, v34
	v_lshlrev_b32_e32 v36, 16, v36
	v_fma_f32 v37, -v34, v35, 1.0
	v_fmac_f32_e32 v35, v37, v35
	v_div_scale_f32 v37, vcc, v32, v33, v32
	v_mul_f32_e32 v38, v37, v35
	v_fma_f32 v39, -v34, v38, v37
	v_fmac_f32_e32 v38, v39, v35
	v_fma_f32 v34, -v34, v38, v37
	v_div_fmas_f32 v34, v34, v35, v38
	v_div_fixup_f32 v32, v34, v33, v32
	v_add_f32_e32 v33, v32, v36
	v_fmac_f32_e32 v36, s28, v32
	v_cndmask_b32_e64 v34, v36, v33, s[0:1]
	v_bfe_u32 v32, v34, 16, 1
	v_add3_u32 v32, v34, v32, s33
	v_lshrrev_b32_e32 v35, 16, v32
	v_mov_b32_e32 v33, s21
	v_add_co_u32_e32 v32, vcc, s20, v8
	v_addc_co_u32_e32 v33, vcc, v7, v33, vcc
	v_cmp_o_f32_e32 vcc, v34, v34
	v_cndmask_b32_e32 v34, v31, v35, vcc
	global_store_short v[32:33], v34, off
	s_branch .LBB131_3
.LBB131_28:
	s_mov_b64 s[0:1], 0
.LBB131_29:
	s_andn2_b64 vcc, exec, s[0:1]
	s_cbranch_vccnz .LBB131_33
; %bb.30:
	v_mov_b32_e32 v3, 0
	v_lshlrev_b32_e32 v2, 2, v0
	s_mov_b32 s2, 0
	v_cmp_gt_i64_e32 vcc, s[18:19], v[2:3]
	s_and_saveexec_b64 s[0:1], vcc
	s_cbranch_execz .LBB131_33
; %bb.31:
	s_load_dword s3, s[4:5], 0xd14
	v_lshlrev_b32_e32 v1, 3, v0
	v_mov_b32_e32 v2, s21
	v_add_co_u32_e32 v4, vcc, s20, v1
	s_waitcnt lgkmcnt(0)
	s_and_b32 s3, s3, 0xffff
	v_cmp_eq_f32_e64 s[0:1], s28, 1.0
	v_addc_co_u32_e32 v1, vcc, 0, v2, vcc
	s_lshl_b32 s20, s3, 3
	v_add_lshl_u32 v2, v0, s3, 2
	s_lshl_b32 s21, s3, 2
	s_mov_b64 s[8:9], 0
	v_mov_b32_e32 v0, s13
	v_mov_b32_e32 v5, s15
	;; [unrolled: 1-line block ×3, first 2 shown]
	s_movk_i32 s13, 0x7fff
	v_mov_b32_e32 v7, 0x7fc0
	v_mov_b32_e32 v8, 0x7fc00000
	s_mov_b64 s[10:11], 0xffff
	v_mov_b32_e32 v9, s2
	v_mov_b32_e32 v10, s2
.LBB131_32:                             ; =>This Inner Loop Header: Depth=1
	v_add_co_u32_e32 v12, vcc, s12, v4
	v_addc_co_u32_e32 v13, vcc, v0, v1, vcc
	v_add_co_u32_e32 v14, vcc, s14, v4
	v_addc_co_u32_e32 v15, vcc, v5, v1, vcc
	;; [unrolled: 2-line block ×3, first 2 shown]
	global_load_dwordx2 v[18:19], v[12:13], off
	global_load_dwordx2 v[20:21], v[14:15], off
	;; [unrolled: 1-line block ×3, first 2 shown]
	v_cmp_le_i64_e32 vcc, s[18:19], v[2:3]
	v_cmp_lt_u64_e64 s[2:3], s[10:11], v[2:3]
	s_or_b64 s[2:3], vcc, s[2:3]
	v_add_co_u32_e64 v4, s[4:5], s20, v4
	s_and_b64 s[2:3], exec, s[2:3]
	v_addc_co_u32_e64 v1, s[4:5], v1, v9, s[4:5]
	s_or_b64 s[8:9], s[2:3], s[8:9]
	v_add_co_u32_e64 v2, s[4:5], s21, v2
	v_addc_co_u32_e64 v3, s[4:5], v3, v10, s[4:5]
	s_waitcnt vmcnt(2)
	v_lshlrev_b32_e32 v11, 16, v18
	s_waitcnt vmcnt(1)
	v_lshlrev_b32_e32 v14, 16, v20
	;; [unrolled: 2-line block ×3, first 2 shown]
	v_and_b32_e32 v17, 0xffff0000, v20
	v_and_b32_e32 v24, 0xffff0000, v22
	v_alignbit_b32 v20, v21, v20, 16
	v_alignbit_b32 v22, v23, v22, 16
	v_div_scale_f32 v25, s[2:3], v15, v15, v14
	v_and_b32_e32 v21, 0xffff0000, v21
	v_and_b32_e32 v23, 0xffff0000, v23
	v_div_scale_f32 v27, s[2:3], v24, v24, v17
	v_and_b32_e32 v20, 0xffff0000, v20
	v_and_b32_e32 v22, 0xffff0000, v22
	v_rcp_f32_e32 v31, v25
	v_div_scale_f32 v29, s[4:5], v23, v23, v21
	v_rcp_f32_e32 v32, v27
	v_div_scale_f32 v33, s[6:7], v22, v22, v20
	v_rcp_f32_e32 v35, v29
	v_rcp_f32_e32 v36, v33
	v_fma_f32 v37, -v25, v31, 1.0
	v_div_scale_f32 v26, vcc, v14, v15, v14
	v_fma_f32 v38, -v27, v32, 1.0
	v_fmac_f32_e32 v31, v37, v31
	v_div_scale_f32 v28, s[2:3], v17, v24, v17
	v_fma_f32 v39, -v29, v35, 1.0
	v_fmac_f32_e32 v32, v38, v32
	v_fma_f32 v37, -v33, v36, 1.0
	v_mul_f32_e32 v38, v26, v31
	v_div_scale_f32 v34, s[6:7], v20, v22, v20
	v_fmac_f32_e32 v35, v39, v35
	v_mul_f32_e32 v39, v28, v32
	v_fmac_f32_e32 v36, v37, v36
	v_fma_f32 v40, -v25, v38, v26
	v_div_scale_f32 v30, s[4:5], v21, v23, v21
	v_fma_f32 v41, -v27, v39, v28
	v_mul_f32_e32 v42, v34, v36
	v_fmac_f32_e32 v38, v40, v31
	v_mul_f32_e32 v37, v30, v35
	v_fmac_f32_e32 v39, v41, v32
	v_fma_f32 v40, -v33, v42, v34
	v_fma_f32 v25, -v25, v38, v26
	;; [unrolled: 1-line block ×4, first 2 shown]
	v_fmac_f32_e32 v42, v40, v36
	v_div_fmas_f32 v25, v25, v31, v38
	s_mov_b64 vcc, s[2:3]
	v_fmac_f32_e32 v37, v43, v35
	v_fma_f32 v28, -v33, v42, v34
	v_div_fixup_f32 v14, v25, v15, v14
	v_div_fmas_f32 v15, v26, v32, v39
	s_mov_b64 vcc, s[6:7]
	v_and_b32_e32 v16, 0xffff0000, v18
	v_alignbit_b32 v18, v19, v18, 16
	v_fma_f32 v27, -v29, v37, v30
	v_add_f32_e32 v25, v14, v11
	v_fmac_f32_e32 v11, s28, v14
	v_div_fixup_f32 v14, v15, v24, v17
	v_div_fmas_f32 v15, v28, v36, v42
	s_mov_b64 vcc, s[4:5]
	v_and_b32_e32 v18, 0xffff0000, v18
	v_cndmask_b32_e64 v11, v11, v25, s[0:1]
	v_add_f32_e32 v17, v14, v16
	v_fmac_f32_e32 v16, s28, v14
	v_div_fixup_f32 v14, v15, v22, v20
	v_div_fmas_f32 v15, v27, v35, v37
	v_and_b32_e32 v19, 0xffff0000, v19
	v_bfe_u32 v20, v11, 16, 1
	v_cndmask_b32_e64 v16, v16, v17, s[0:1]
	v_add_f32_e32 v17, v14, v18
	v_fmac_f32_e32 v18, s28, v14
	v_div_fixup_f32 v14, v15, v23, v21
	v_add3_u32 v15, v11, v20, s13
	v_bfe_u32 v20, v16, 16, 1
	v_cndmask_b32_e64 v17, v18, v17, s[0:1]
	v_add_f32_e32 v18, v14, v19
	v_fmac_f32_e32 v19, s28, v14
	v_lshrrev_b32_e32 v14, 16, v15
	v_add3_u32 v15, v16, v20, s13
	v_bfe_u32 v20, v17, 16, 1
	v_cndmask_b32_e64 v18, v19, v18, s[0:1]
	v_cmp_o_f32_e32 vcc, v11, v11
	v_cndmask_b32_e32 v11, v7, v14, vcc
	v_and_b32_e32 v14, 0xffff0000, v15
	v_add3_u32 v15, v17, v20, s13
	v_bfe_u32 v19, v18, 16, 1
	v_cmp_o_f32_e32 vcc, v16, v16
	v_cndmask_b32_e32 v14, v8, v14, vcc
	v_lshrrev_b32_e32 v15, 16, v15
	v_add3_u32 v16, v18, v19, s13
	v_cmp_o_f32_e32 vcc, v17, v17
	v_cndmask_b32_e32 v15, v7, v15, vcc
	v_and_b32_e32 v16, 0xffff0000, v16
	v_cmp_o_f32_e32 vcc, v18, v18
	v_or_b32_e32 v11, v11, v14
	v_cndmask_b32_e32 v16, v8, v16, vcc
	v_or3_b32 v14, v11, 0, 0
	v_or3_b32 v15, 0, v15, v16
	global_store_dwordx2 v[12:13], v[14:15], off
	s_andn2_b64 exec, exec, s[8:9]
	s_cbranch_execnz .LBB131_32
.LBB131_33:
	s_endpgm
	.section	.rodata,"a",@progbits
	.p2align	6, 0x0
	.amdhsa_kernel _ZN2at6native12_GLOBAL__N_125multi_tensor_apply_kernelINS1_28TensorListScalarListMetadataIfLi3EEENS1_28PointwiseOpScalarListFunctorIN3c108BFloat16ELi3ELi3ELi0EEEJSt7dividesIfEEEEvT_T0_DpT1_
		.amdhsa_group_segment_fixed_size 0
		.amdhsa_private_segment_fixed_size 0
		.amdhsa_kernarg_size 3592
		.amdhsa_user_sgpr_count 6
		.amdhsa_user_sgpr_private_segment_buffer 1
		.amdhsa_user_sgpr_dispatch_ptr 0
		.amdhsa_user_sgpr_queue_ptr 0
		.amdhsa_user_sgpr_kernarg_segment_ptr 1
		.amdhsa_user_sgpr_dispatch_id 0
		.amdhsa_user_sgpr_flat_scratch_init 0
		.amdhsa_user_sgpr_kernarg_preload_length 0
		.amdhsa_user_sgpr_kernarg_preload_offset 0
		.amdhsa_user_sgpr_private_segment_size 0
		.amdhsa_uses_dynamic_stack 0
		.amdhsa_system_sgpr_private_segment_wavefront_offset 0
		.amdhsa_system_sgpr_workgroup_id_x 1
		.amdhsa_system_sgpr_workgroup_id_y 0
		.amdhsa_system_sgpr_workgroup_id_z 0
		.amdhsa_system_sgpr_workgroup_info 0
		.amdhsa_system_vgpr_workitem_id 0
		.amdhsa_next_free_vgpr 49
		.amdhsa_next_free_sgpr 34
		.amdhsa_accum_offset 52
		.amdhsa_reserve_vcc 1
		.amdhsa_reserve_flat_scratch 0
		.amdhsa_float_round_mode_32 0
		.amdhsa_float_round_mode_16_64 0
		.amdhsa_float_denorm_mode_32 3
		.amdhsa_float_denorm_mode_16_64 3
		.amdhsa_dx10_clamp 1
		.amdhsa_ieee_mode 1
		.amdhsa_fp16_overflow 0
		.amdhsa_tg_split 0
		.amdhsa_exception_fp_ieee_invalid_op 0
		.amdhsa_exception_fp_denorm_src 0
		.amdhsa_exception_fp_ieee_div_zero 0
		.amdhsa_exception_fp_ieee_overflow 0
		.amdhsa_exception_fp_ieee_underflow 0
		.amdhsa_exception_fp_ieee_inexact 0
		.amdhsa_exception_int_div_zero 0
	.end_amdhsa_kernel
	.section	.text._ZN2at6native12_GLOBAL__N_125multi_tensor_apply_kernelINS1_28TensorListScalarListMetadataIfLi3EEENS1_28PointwiseOpScalarListFunctorIN3c108BFloat16ELi3ELi3ELi0EEEJSt7dividesIfEEEEvT_T0_DpT1_,"axG",@progbits,_ZN2at6native12_GLOBAL__N_125multi_tensor_apply_kernelINS1_28TensorListScalarListMetadataIfLi3EEENS1_28PointwiseOpScalarListFunctorIN3c108BFloat16ELi3ELi3ELi0EEEJSt7dividesIfEEEEvT_T0_DpT1_,comdat
.Lfunc_end131:
	.size	_ZN2at6native12_GLOBAL__N_125multi_tensor_apply_kernelINS1_28TensorListScalarListMetadataIfLi3EEENS1_28PointwiseOpScalarListFunctorIN3c108BFloat16ELi3ELi3ELi0EEEJSt7dividesIfEEEEvT_T0_DpT1_, .Lfunc_end131-_ZN2at6native12_GLOBAL__N_125multi_tensor_apply_kernelINS1_28TensorListScalarListMetadataIfLi3EEENS1_28PointwiseOpScalarListFunctorIN3c108BFloat16ELi3ELi3ELi0EEEJSt7dividesIfEEEEvT_T0_DpT1_
                                        ; -- End function
	.section	.AMDGPU.csdata,"",@progbits
; Kernel info:
; codeLenInByte = 2856
; NumSgprs: 38
; NumVgprs: 49
; NumAgprs: 0
; TotalNumVgprs: 49
; ScratchSize: 0
; MemoryBound: 0
; FloatMode: 240
; IeeeMode: 1
; LDSByteSize: 0 bytes/workgroup (compile time only)
; SGPRBlocks: 4
; VGPRBlocks: 6
; NumSGPRsForWavesPerEU: 38
; NumVGPRsForWavesPerEU: 49
; AccumOffset: 52
; Occupancy: 8
; WaveLimiterHint : 0
; COMPUTE_PGM_RSRC2:SCRATCH_EN: 0
; COMPUTE_PGM_RSRC2:USER_SGPR: 6
; COMPUTE_PGM_RSRC2:TRAP_HANDLER: 0
; COMPUTE_PGM_RSRC2:TGID_X_EN: 1
; COMPUTE_PGM_RSRC2:TGID_Y_EN: 0
; COMPUTE_PGM_RSRC2:TGID_Z_EN: 0
; COMPUTE_PGM_RSRC2:TIDIG_COMP_CNT: 0
; COMPUTE_PGM_RSRC3_GFX90A:ACCUM_OFFSET: 12
; COMPUTE_PGM_RSRC3_GFX90A:TG_SPLIT: 0
	.text
	.p2alignl 6, 3212836864
	.fill 256, 4, 3212836864
	.type	__hip_cuid_4503c48556420211,@object ; @__hip_cuid_4503c48556420211
	.section	.bss,"aw",@nobits
	.globl	__hip_cuid_4503c48556420211
__hip_cuid_4503c48556420211:
	.byte	0                               ; 0x0
	.size	__hip_cuid_4503c48556420211, 1

	.ident	"AMD clang version 19.0.0git (https://github.com/RadeonOpenCompute/llvm-project roc-6.4.0 25133 c7fe45cf4b819c5991fe208aaa96edf142730f1d)"
	.section	".note.GNU-stack","",@progbits
	.addrsig
	.addrsig_sym __hip_cuid_4503c48556420211
	.amdgpu_metadata
---
amdhsa.kernels:
  - .agpr_count:     0
    .args:
      - .offset:         0
        .size:           3048
        .value_kind:     by_value
      - .offset:         3048
        .size:           1
        .value_kind:     by_value
      - .offset:         3049
        .size:           1
        .value_kind:     by_value
      - .offset:         3050
        .size:           1
        .value_kind:     by_value
      - .offset:         3056
        .size:           4
        .value_kind:     hidden_block_count_x
      - .offset:         3060
        .size:           4
        .value_kind:     hidden_block_count_y
      - .offset:         3064
        .size:           4
        .value_kind:     hidden_block_count_z
      - .offset:         3068
        .size:           2
        .value_kind:     hidden_group_size_x
      - .offset:         3070
        .size:           2
        .value_kind:     hidden_group_size_y
      - .offset:         3072
        .size:           2
        .value_kind:     hidden_group_size_z
      - .offset:         3074
        .size:           2
        .value_kind:     hidden_remainder_x
      - .offset:         3076
        .size:           2
        .value_kind:     hidden_remainder_y
      - .offset:         3078
        .size:           2
        .value_kind:     hidden_remainder_z
      - .offset:         3096
        .size:           8
        .value_kind:     hidden_global_offset_x
      - .offset:         3104
        .size:           8
        .value_kind:     hidden_global_offset_y
      - .offset:         3112
        .size:           8
        .value_kind:     hidden_global_offset_z
      - .offset:         3120
        .size:           2
        .value_kind:     hidden_grid_dims
    .group_segment_fixed_size: 0
    .kernarg_segment_align: 8
    .kernarg_segment_size: 3312
    .language:       OpenCL C
    .language_version:
      - 2
      - 0
    .max_flat_workgroup_size: 512
    .name:           _ZN2at6native12_GLOBAL__N_125multi_tensor_apply_kernelINS1_18TensorListMetadataILi4EEENS1_24PointwiseOpScalarFunctorIhLi4ELi3ELi3EEEJSt10multipliesIhEhEEEvT_T0_DpT1_
    .private_segment_fixed_size: 0
    .sgpr_count:     34
    .sgpr_spill_count: 0
    .symbol:         _ZN2at6native12_GLOBAL__N_125multi_tensor_apply_kernelINS1_18TensorListMetadataILi4EEENS1_24PointwiseOpScalarFunctorIhLi4ELi3ELi3EEEJSt10multipliesIhEhEEEvT_T0_DpT1_.kd
    .uniform_work_group_size: 1
    .uses_dynamic_stack: false
    .vgpr_count:     54
    .vgpr_spill_count: 0
    .wavefront_size: 64
  - .agpr_count:     0
    .args:
      - .offset:         0
        .size:           3048
        .value_kind:     by_value
      - .offset:         3048
        .size:           1
        .value_kind:     by_value
      - .offset:         3049
        .size:           1
        .value_kind:     by_value
      - .offset:         3050
        .size:           1
        .value_kind:     by_value
      - .offset:         3056
        .size:           4
        .value_kind:     hidden_block_count_x
      - .offset:         3060
        .size:           4
        .value_kind:     hidden_block_count_y
      - .offset:         3064
        .size:           4
        .value_kind:     hidden_block_count_z
      - .offset:         3068
        .size:           2
        .value_kind:     hidden_group_size_x
      - .offset:         3070
        .size:           2
        .value_kind:     hidden_group_size_y
      - .offset:         3072
        .size:           2
        .value_kind:     hidden_group_size_z
      - .offset:         3074
        .size:           2
        .value_kind:     hidden_remainder_x
      - .offset:         3076
        .size:           2
        .value_kind:     hidden_remainder_y
      - .offset:         3078
        .size:           2
        .value_kind:     hidden_remainder_z
      - .offset:         3096
        .size:           8
        .value_kind:     hidden_global_offset_x
      - .offset:         3104
        .size:           8
        .value_kind:     hidden_global_offset_y
      - .offset:         3112
        .size:           8
        .value_kind:     hidden_global_offset_z
      - .offset:         3120
        .size:           2
        .value_kind:     hidden_grid_dims
    .group_segment_fixed_size: 0
    .kernarg_segment_align: 8
    .kernarg_segment_size: 3312
    .language:       OpenCL C
    .language_version:
      - 2
      - 0
    .max_flat_workgroup_size: 512
    .name:           _ZN2at6native12_GLOBAL__N_125multi_tensor_apply_kernelINS1_18TensorListMetadataILi4EEENS1_24PointwiseOpScalarFunctorIaLi4ELi3ELi3EEEJSt10multipliesIaEaEEEvT_T0_DpT1_
    .private_segment_fixed_size: 0
    .sgpr_count:     34
    .sgpr_spill_count: 0
    .symbol:         _ZN2at6native12_GLOBAL__N_125multi_tensor_apply_kernelINS1_18TensorListMetadataILi4EEENS1_24PointwiseOpScalarFunctorIaLi4ELi3ELi3EEEJSt10multipliesIaEaEEEvT_T0_DpT1_.kd
    .uniform_work_group_size: 1
    .uses_dynamic_stack: false
    .vgpr_count:     54
    .vgpr_spill_count: 0
    .wavefront_size: 64
  - .agpr_count:     0
    .args:
      - .offset:         0
        .size:           3048
        .value_kind:     by_value
      - .offset:         3048
        .size:           1
        .value_kind:     by_value
      - .offset:         3049
        .size:           1
        .value_kind:     by_value
      - .offset:         3052
        .size:           4
        .value_kind:     by_value
      - .offset:         3056
        .size:           4
        .value_kind:     hidden_block_count_x
      - .offset:         3060
        .size:           4
        .value_kind:     hidden_block_count_y
      - .offset:         3064
        .size:           4
        .value_kind:     hidden_block_count_z
      - .offset:         3068
        .size:           2
        .value_kind:     hidden_group_size_x
      - .offset:         3070
        .size:           2
        .value_kind:     hidden_group_size_y
      - .offset:         3072
        .size:           2
        .value_kind:     hidden_group_size_z
      - .offset:         3074
        .size:           2
        .value_kind:     hidden_remainder_x
      - .offset:         3076
        .size:           2
        .value_kind:     hidden_remainder_y
      - .offset:         3078
        .size:           2
        .value_kind:     hidden_remainder_z
      - .offset:         3096
        .size:           8
        .value_kind:     hidden_global_offset_x
      - .offset:         3104
        .size:           8
        .value_kind:     hidden_global_offset_y
      - .offset:         3112
        .size:           8
        .value_kind:     hidden_global_offset_z
      - .offset:         3120
        .size:           2
        .value_kind:     hidden_grid_dims
    .group_segment_fixed_size: 0
    .kernarg_segment_align: 8
    .kernarg_segment_size: 3312
    .language:       OpenCL C
    .language_version:
      - 2
      - 0
    .max_flat_workgroup_size: 512
    .name:           _ZN2at6native12_GLOBAL__N_125multi_tensor_apply_kernelINS1_18TensorListMetadataILi4EEENS1_24PointwiseOpScalarFunctorIiLi4ELi3ELi3EEEJSt10multipliesIiEiEEEvT_T0_DpT1_
    .private_segment_fixed_size: 0
    .sgpr_count:     36
    .sgpr_spill_count: 0
    .symbol:         _ZN2at6native12_GLOBAL__N_125multi_tensor_apply_kernelINS1_18TensorListMetadataILi4EEENS1_24PointwiseOpScalarFunctorIiLi4ELi3ELi3EEEJSt10multipliesIiEiEEEvT_T0_DpT1_.kd
    .uniform_work_group_size: 1
    .uses_dynamic_stack: false
    .vgpr_count:     56
    .vgpr_spill_count: 0
    .wavefront_size: 64
  - .agpr_count:     0
    .args:
      - .offset:         0
        .size:           3048
        .value_kind:     by_value
      - .offset:         3048
        .size:           1
        .value_kind:     by_value
      - .offset:         3049
        .size:           1
        .value_kind:     by_value
      - .offset:         3056
        .size:           8
        .value_kind:     by_value
      - .offset:         3064
        .size:           4
        .value_kind:     hidden_block_count_x
      - .offset:         3068
        .size:           4
        .value_kind:     hidden_block_count_y
      - .offset:         3072
        .size:           4
        .value_kind:     hidden_block_count_z
      - .offset:         3076
        .size:           2
        .value_kind:     hidden_group_size_x
      - .offset:         3078
        .size:           2
        .value_kind:     hidden_group_size_y
      - .offset:         3080
        .size:           2
        .value_kind:     hidden_group_size_z
      - .offset:         3082
        .size:           2
        .value_kind:     hidden_remainder_x
      - .offset:         3084
        .size:           2
        .value_kind:     hidden_remainder_y
      - .offset:         3086
        .size:           2
        .value_kind:     hidden_remainder_z
      - .offset:         3104
        .size:           8
        .value_kind:     hidden_global_offset_x
      - .offset:         3112
        .size:           8
        .value_kind:     hidden_global_offset_y
      - .offset:         3120
        .size:           8
        .value_kind:     hidden_global_offset_z
      - .offset:         3128
        .size:           2
        .value_kind:     hidden_grid_dims
    .group_segment_fixed_size: 0
    .kernarg_segment_align: 8
    .kernarg_segment_size: 3320
    .language:       OpenCL C
    .language_version:
      - 2
      - 0
    .max_flat_workgroup_size: 512
    .name:           _ZN2at6native12_GLOBAL__N_125multi_tensor_apply_kernelINS1_18TensorListMetadataILi4EEENS1_24PointwiseOpScalarFunctorIlLi4ELi3ELi3EEEJSt10multipliesIlElEEEvT_T0_DpT1_
    .private_segment_fixed_size: 0
    .sgpr_count:     40
    .sgpr_spill_count: 0
    .symbol:         _ZN2at6native12_GLOBAL__N_125multi_tensor_apply_kernelINS1_18TensorListMetadataILi4EEENS1_24PointwiseOpScalarFunctorIlLi4ELi3ELi3EEEJSt10multipliesIlElEEEvT_T0_DpT1_.kd
    .uniform_work_group_size: 1
    .uses_dynamic_stack: false
    .vgpr_count:     68
    .vgpr_spill_count: 0
    .wavefront_size: 64
  - .agpr_count:     0
    .args:
      - .offset:         0
        .size:           3048
        .value_kind:     by_value
      - .offset:         3048
        .size:           1
        .value_kind:     by_value
      - .offset:         3049
        .size:           1
        .value_kind:     by_value
      - .offset:         3050
        .size:           2
        .value_kind:     by_value
      - .offset:         3056
        .size:           4
        .value_kind:     hidden_block_count_x
      - .offset:         3060
        .size:           4
        .value_kind:     hidden_block_count_y
      - .offset:         3064
        .size:           4
        .value_kind:     hidden_block_count_z
      - .offset:         3068
        .size:           2
        .value_kind:     hidden_group_size_x
      - .offset:         3070
        .size:           2
        .value_kind:     hidden_group_size_y
      - .offset:         3072
        .size:           2
        .value_kind:     hidden_group_size_z
      - .offset:         3074
        .size:           2
        .value_kind:     hidden_remainder_x
      - .offset:         3076
        .size:           2
        .value_kind:     hidden_remainder_y
      - .offset:         3078
        .size:           2
        .value_kind:     hidden_remainder_z
      - .offset:         3096
        .size:           8
        .value_kind:     hidden_global_offset_x
      - .offset:         3104
        .size:           8
        .value_kind:     hidden_global_offset_y
      - .offset:         3112
        .size:           8
        .value_kind:     hidden_global_offset_z
      - .offset:         3120
        .size:           2
        .value_kind:     hidden_grid_dims
    .group_segment_fixed_size: 0
    .kernarg_segment_align: 8
    .kernarg_segment_size: 3312
    .language:       OpenCL C
    .language_version:
      - 2
      - 0
    .max_flat_workgroup_size: 512
    .name:           _ZN2at6native12_GLOBAL__N_125multi_tensor_apply_kernelINS1_18TensorListMetadataILi4EEENS1_24PointwiseOpScalarFunctorIsLi4ELi3ELi3EEEJSt10multipliesIsEsEEEvT_T0_DpT1_
    .private_segment_fixed_size: 0
    .sgpr_count:     36
    .sgpr_spill_count: 0
    .symbol:         _ZN2at6native12_GLOBAL__N_125multi_tensor_apply_kernelINS1_18TensorListMetadataILi4EEENS1_24PointwiseOpScalarFunctorIsLi4ELi3ELi3EEEJSt10multipliesIsEsEEEvT_T0_DpT1_.kd
    .uniform_work_group_size: 1
    .uses_dynamic_stack: false
    .vgpr_count:     54
    .vgpr_spill_count: 0
    .wavefront_size: 64
  - .agpr_count:     0
    .args:
      - .offset:         0
        .size:           3048
        .value_kind:     by_value
      - .offset:         3048
        .size:           1
        .value_kind:     by_value
      - .offset:         3049
        .size:           1
        .value_kind:     by_value
      - .offset:         3056
        .size:           8
        .value_kind:     by_value
      - .offset:         3064
        .size:           4
        .value_kind:     hidden_block_count_x
      - .offset:         3068
        .size:           4
        .value_kind:     hidden_block_count_y
      - .offset:         3072
        .size:           4
        .value_kind:     hidden_block_count_z
      - .offset:         3076
        .size:           2
        .value_kind:     hidden_group_size_x
      - .offset:         3078
        .size:           2
        .value_kind:     hidden_group_size_y
      - .offset:         3080
        .size:           2
        .value_kind:     hidden_group_size_z
      - .offset:         3082
        .size:           2
        .value_kind:     hidden_remainder_x
      - .offset:         3084
        .size:           2
        .value_kind:     hidden_remainder_y
      - .offset:         3086
        .size:           2
        .value_kind:     hidden_remainder_z
      - .offset:         3104
        .size:           8
        .value_kind:     hidden_global_offset_x
      - .offset:         3112
        .size:           8
        .value_kind:     hidden_global_offset_y
      - .offset:         3120
        .size:           8
        .value_kind:     hidden_global_offset_z
      - .offset:         3128
        .size:           2
        .value_kind:     hidden_grid_dims
    .group_segment_fixed_size: 0
    .kernarg_segment_align: 8
    .kernarg_segment_size: 3320
    .language:       OpenCL C
    .language_version:
      - 2
      - 0
    .max_flat_workgroup_size: 512
    .name:           _ZN2at6native12_GLOBAL__N_125multi_tensor_apply_kernelINS1_18TensorListMetadataILi4EEENS1_24PointwiseOpScalarFunctorIdLi4ELi3ELi3EEEJSt10multipliesIdEdEEEvT_T0_DpT1_
    .private_segment_fixed_size: 0
    .sgpr_count:     41
    .sgpr_spill_count: 0
    .symbol:         _ZN2at6native12_GLOBAL__N_125multi_tensor_apply_kernelINS1_18TensorListMetadataILi4EEENS1_24PointwiseOpScalarFunctorIdLi4ELi3ELi3EEEJSt10multipliesIdEdEEEvT_T0_DpT1_.kd
    .uniform_work_group_size: 1
    .uses_dynamic_stack: false
    .vgpr_count:     68
    .vgpr_spill_count: 0
    .wavefront_size: 64
  - .agpr_count:     0
    .args:
      - .offset:         0
        .size:           3048
        .value_kind:     by_value
      - .offset:         3048
        .size:           1
        .value_kind:     by_value
      - .offset:         3049
        .size:           1
        .value_kind:     by_value
      - .offset:         3052
        .size:           4
        .value_kind:     by_value
      - .offset:         3056
        .size:           4
        .value_kind:     hidden_block_count_x
      - .offset:         3060
        .size:           4
        .value_kind:     hidden_block_count_y
      - .offset:         3064
        .size:           4
        .value_kind:     hidden_block_count_z
      - .offset:         3068
        .size:           2
        .value_kind:     hidden_group_size_x
      - .offset:         3070
        .size:           2
        .value_kind:     hidden_group_size_y
      - .offset:         3072
        .size:           2
        .value_kind:     hidden_group_size_z
      - .offset:         3074
        .size:           2
        .value_kind:     hidden_remainder_x
      - .offset:         3076
        .size:           2
        .value_kind:     hidden_remainder_y
      - .offset:         3078
        .size:           2
        .value_kind:     hidden_remainder_z
      - .offset:         3096
        .size:           8
        .value_kind:     hidden_global_offset_x
      - .offset:         3104
        .size:           8
        .value_kind:     hidden_global_offset_y
      - .offset:         3112
        .size:           8
        .value_kind:     hidden_global_offset_z
      - .offset:         3120
        .size:           2
        .value_kind:     hidden_grid_dims
    .group_segment_fixed_size: 0
    .kernarg_segment_align: 8
    .kernarg_segment_size: 3312
    .language:       OpenCL C
    .language_version:
      - 2
      - 0
    .max_flat_workgroup_size: 512
    .name:           _ZN2at6native12_GLOBAL__N_125multi_tensor_apply_kernelINS1_18TensorListMetadataILi4EEENS1_24PointwiseOpScalarFunctorIfLi4ELi3ELi3EEEJSt10multipliesIfEfEEEvT_T0_DpT1_
    .private_segment_fixed_size: 0
    .sgpr_count:     42
    .sgpr_spill_count: 0
    .symbol:         _ZN2at6native12_GLOBAL__N_125multi_tensor_apply_kernelINS1_18TensorListMetadataILi4EEENS1_24PointwiseOpScalarFunctorIfLi4ELi3ELi3EEEJSt10multipliesIfEfEEEvT_T0_DpT1_.kd
    .uniform_work_group_size: 1
    .uses_dynamic_stack: false
    .vgpr_count:     54
    .vgpr_spill_count: 0
    .wavefront_size: 64
  - .agpr_count:     0
    .args:
      - .offset:         0
        .size:           3048
        .value_kind:     by_value
      - .offset:         3048
        .size:           1
        .value_kind:     by_value
      - .offset:         3049
        .size:           1
        .value_kind:     by_value
      - .offset:         3056
        .size:           16
        .value_kind:     by_value
      - .offset:         3072
        .size:           4
        .value_kind:     hidden_block_count_x
      - .offset:         3076
        .size:           4
        .value_kind:     hidden_block_count_y
      - .offset:         3080
        .size:           4
        .value_kind:     hidden_block_count_z
      - .offset:         3084
        .size:           2
        .value_kind:     hidden_group_size_x
      - .offset:         3086
        .size:           2
        .value_kind:     hidden_group_size_y
      - .offset:         3088
        .size:           2
        .value_kind:     hidden_group_size_z
      - .offset:         3090
        .size:           2
        .value_kind:     hidden_remainder_x
      - .offset:         3092
        .size:           2
        .value_kind:     hidden_remainder_y
      - .offset:         3094
        .size:           2
        .value_kind:     hidden_remainder_z
      - .offset:         3112
        .size:           8
        .value_kind:     hidden_global_offset_x
      - .offset:         3120
        .size:           8
        .value_kind:     hidden_global_offset_y
      - .offset:         3128
        .size:           8
        .value_kind:     hidden_global_offset_z
      - .offset:         3136
        .size:           2
        .value_kind:     hidden_grid_dims
    .group_segment_fixed_size: 0
    .kernarg_segment_align: 16
    .kernarg_segment_size: 3328
    .language:       OpenCL C
    .language_version:
      - 2
      - 0
    .max_flat_workgroup_size: 512
    .name:           _ZN2at6native12_GLOBAL__N_125multi_tensor_apply_kernelINS1_18TensorListMetadataILi4EEENS1_24PointwiseOpScalarFunctorIN3c107complexIdEELi4ELi3ELi3EEEJSt10multipliesIS8_ES8_EEEvT_T0_DpT1_
    .private_segment_fixed_size: 0
    .sgpr_count:     49
    .sgpr_spill_count: 0
    .symbol:         _ZN2at6native12_GLOBAL__N_125multi_tensor_apply_kernelINS1_18TensorListMetadataILi4EEENS1_24PointwiseOpScalarFunctorIN3c107complexIdEELi4ELi3ELi3EEEJSt10multipliesIS8_ES8_EEEvT_T0_DpT1_.kd
    .uniform_work_group_size: 1
    .uses_dynamic_stack: false
    .vgpr_count:     86
    .vgpr_spill_count: 0
    .wavefront_size: 64
  - .agpr_count:     0
    .args:
      - .offset:         0
        .size:           3048
        .value_kind:     by_value
      - .offset:         3048
        .size:           1
        .value_kind:     by_value
      - .offset:         3049
        .size:           1
        .value_kind:     by_value
      - .offset:         3056
        .size:           8
        .value_kind:     by_value
      - .offset:         3064
        .size:           4
        .value_kind:     hidden_block_count_x
      - .offset:         3068
        .size:           4
        .value_kind:     hidden_block_count_y
      - .offset:         3072
        .size:           4
        .value_kind:     hidden_block_count_z
      - .offset:         3076
        .size:           2
        .value_kind:     hidden_group_size_x
      - .offset:         3078
        .size:           2
        .value_kind:     hidden_group_size_y
      - .offset:         3080
        .size:           2
        .value_kind:     hidden_group_size_z
      - .offset:         3082
        .size:           2
        .value_kind:     hidden_remainder_x
      - .offset:         3084
        .size:           2
        .value_kind:     hidden_remainder_y
      - .offset:         3086
        .size:           2
        .value_kind:     hidden_remainder_z
      - .offset:         3104
        .size:           8
        .value_kind:     hidden_global_offset_x
      - .offset:         3112
        .size:           8
        .value_kind:     hidden_global_offset_y
      - .offset:         3120
        .size:           8
        .value_kind:     hidden_global_offset_z
      - .offset:         3128
        .size:           2
        .value_kind:     hidden_grid_dims
    .group_segment_fixed_size: 0
    .kernarg_segment_align: 8
    .kernarg_segment_size: 3320
    .language:       OpenCL C
    .language_version:
      - 2
      - 0
    .max_flat_workgroup_size: 512
    .name:           _ZN2at6native12_GLOBAL__N_125multi_tensor_apply_kernelINS1_18TensorListMetadataILi4EEENS1_24PointwiseOpScalarFunctorIN3c107complexIfEELi4ELi3ELi3EEEJSt10multipliesIS8_ES8_EEEvT_T0_DpT1_
    .private_segment_fixed_size: 0
    .sgpr_count:     47
    .sgpr_spill_count: 0
    .symbol:         _ZN2at6native12_GLOBAL__N_125multi_tensor_apply_kernelINS1_18TensorListMetadataILi4EEENS1_24PointwiseOpScalarFunctorIN3c107complexIfEELi4ELi3ELi3EEEJSt10multipliesIS8_ES8_EEEvT_T0_DpT1_.kd
    .uniform_work_group_size: 1
    .uses_dynamic_stack: false
    .vgpr_count:     60
    .vgpr_spill_count: 0
    .wavefront_size: 64
  - .agpr_count:     0
    .args:
      - .offset:         0
        .size:           3048
        .value_kind:     by_value
      - .offset:         3048
        .size:           1
        .value_kind:     by_value
      - .offset:         3049
        .size:           1
        .value_kind:     by_value
      - .offset:         3052
        .size:           4
        .value_kind:     by_value
      - .offset:         3056
        .size:           4
        .value_kind:     hidden_block_count_x
      - .offset:         3060
        .size:           4
        .value_kind:     hidden_block_count_y
      - .offset:         3064
        .size:           4
        .value_kind:     hidden_block_count_z
      - .offset:         3068
        .size:           2
        .value_kind:     hidden_group_size_x
      - .offset:         3070
        .size:           2
        .value_kind:     hidden_group_size_y
      - .offset:         3072
        .size:           2
        .value_kind:     hidden_group_size_z
      - .offset:         3074
        .size:           2
        .value_kind:     hidden_remainder_x
      - .offset:         3076
        .size:           2
        .value_kind:     hidden_remainder_y
      - .offset:         3078
        .size:           2
        .value_kind:     hidden_remainder_z
      - .offset:         3096
        .size:           8
        .value_kind:     hidden_global_offset_x
      - .offset:         3104
        .size:           8
        .value_kind:     hidden_global_offset_y
      - .offset:         3112
        .size:           8
        .value_kind:     hidden_global_offset_z
      - .offset:         3120
        .size:           2
        .value_kind:     hidden_grid_dims
    .group_segment_fixed_size: 0
    .kernarg_segment_align: 8
    .kernarg_segment_size: 3312
    .language:       OpenCL C
    .language_version:
      - 2
      - 0
    .max_flat_workgroup_size: 512
    .name:           _ZN2at6native12_GLOBAL__N_125multi_tensor_apply_kernelINS1_18TensorListMetadataILi4EEENS1_24PointwiseOpScalarFunctorIN3c104HalfELi4ELi3ELi3EEEJSt10multipliesIfEfEEEvT_T0_DpT1_
    .private_segment_fixed_size: 0
    .sgpr_count:     42
    .sgpr_spill_count: 0
    .symbol:         _ZN2at6native12_GLOBAL__N_125multi_tensor_apply_kernelINS1_18TensorListMetadataILi4EEENS1_24PointwiseOpScalarFunctorIN3c104HalfELi4ELi3ELi3EEEJSt10multipliesIfEfEEEvT_T0_DpT1_.kd
    .uniform_work_group_size: 1
    .uses_dynamic_stack: false
    .vgpr_count:     54
    .vgpr_spill_count: 0
    .wavefront_size: 64
  - .agpr_count:     0
    .args:
      - .offset:         0
        .size:           3048
        .value_kind:     by_value
      - .offset:         3048
        .size:           1
        .value_kind:     by_value
      - .offset:         3049
        .size:           1
        .value_kind:     by_value
      - .offset:         3052
        .size:           4
        .value_kind:     by_value
      - .offset:         3056
        .size:           4
        .value_kind:     hidden_block_count_x
      - .offset:         3060
        .size:           4
        .value_kind:     hidden_block_count_y
      - .offset:         3064
        .size:           4
        .value_kind:     hidden_block_count_z
      - .offset:         3068
        .size:           2
        .value_kind:     hidden_group_size_x
      - .offset:         3070
        .size:           2
        .value_kind:     hidden_group_size_y
      - .offset:         3072
        .size:           2
        .value_kind:     hidden_group_size_z
      - .offset:         3074
        .size:           2
        .value_kind:     hidden_remainder_x
      - .offset:         3076
        .size:           2
        .value_kind:     hidden_remainder_y
      - .offset:         3078
        .size:           2
        .value_kind:     hidden_remainder_z
      - .offset:         3096
        .size:           8
        .value_kind:     hidden_global_offset_x
      - .offset:         3104
        .size:           8
        .value_kind:     hidden_global_offset_y
      - .offset:         3112
        .size:           8
        .value_kind:     hidden_global_offset_z
      - .offset:         3120
        .size:           2
        .value_kind:     hidden_grid_dims
    .group_segment_fixed_size: 0
    .kernarg_segment_align: 8
    .kernarg_segment_size: 3312
    .language:       OpenCL C
    .language_version:
      - 2
      - 0
    .max_flat_workgroup_size: 512
    .name:           _ZN2at6native12_GLOBAL__N_125multi_tensor_apply_kernelINS1_18TensorListMetadataILi4EEENS1_24PointwiseOpScalarFunctorIN3c108BFloat16ELi4ELi3ELi3EEEJSt10multipliesIfEfEEEvT_T0_DpT1_
    .private_segment_fixed_size: 0
    .sgpr_count:     42
    .sgpr_spill_count: 0
    .symbol:         _ZN2at6native12_GLOBAL__N_125multi_tensor_apply_kernelINS1_18TensorListMetadataILi4EEENS1_24PointwiseOpScalarFunctorIN3c108BFloat16ELi4ELi3ELi3EEEJSt10multipliesIfEfEEEvT_T0_DpT1_.kd
    .uniform_work_group_size: 1
    .uses_dynamic_stack: false
    .vgpr_count:     56
    .vgpr_spill_count: 0
    .wavefront_size: 64
  - .agpr_count:     0
    .args:
      - .offset:         0
        .size:           3048
        .value_kind:     by_value
      - .offset:         3048
        .size:           1
        .value_kind:     by_value
      - .offset:         3049
        .size:           1
        .value_kind:     by_value
      - .offset:         3050
        .size:           1
        .value_kind:     by_value
      - .offset:         3056
        .size:           4
        .value_kind:     hidden_block_count_x
      - .offset:         3060
        .size:           4
        .value_kind:     hidden_block_count_y
      - .offset:         3064
        .size:           4
        .value_kind:     hidden_block_count_z
      - .offset:         3068
        .size:           2
        .value_kind:     hidden_group_size_x
      - .offset:         3070
        .size:           2
        .value_kind:     hidden_group_size_y
      - .offset:         3072
        .size:           2
        .value_kind:     hidden_group_size_z
      - .offset:         3074
        .size:           2
        .value_kind:     hidden_remainder_x
      - .offset:         3076
        .size:           2
        .value_kind:     hidden_remainder_y
      - .offset:         3078
        .size:           2
        .value_kind:     hidden_remainder_z
      - .offset:         3096
        .size:           8
        .value_kind:     hidden_global_offset_x
      - .offset:         3104
        .size:           8
        .value_kind:     hidden_global_offset_y
      - .offset:         3112
        .size:           8
        .value_kind:     hidden_global_offset_z
      - .offset:         3120
        .size:           2
        .value_kind:     hidden_grid_dims
    .group_segment_fixed_size: 0
    .kernarg_segment_align: 8
    .kernarg_segment_size: 3312
    .language:       OpenCL C
    .language_version:
      - 2
      - 0
    .max_flat_workgroup_size: 512
    .name:           _ZN2at6native12_GLOBAL__N_125multi_tensor_apply_kernelINS1_18TensorListMetadataILi4EEENS1_32PointwiseOpScalar0dTensorFunctorIhLi4ELi2ELi3EEEJSt10multipliesIhEhEEEvT_T0_DpT1_
    .private_segment_fixed_size: 0
    .sgpr_count:     33
    .sgpr_spill_count: 0
    .symbol:         _ZN2at6native12_GLOBAL__N_125multi_tensor_apply_kernelINS1_18TensorListMetadataILi4EEENS1_32PointwiseOpScalar0dTensorFunctorIhLi4ELi2ELi3EEEJSt10multipliesIhEhEEEvT_T0_DpT1_.kd
    .uniform_work_group_size: 1
    .uses_dynamic_stack: false
    .vgpr_count:     47
    .vgpr_spill_count: 0
    .wavefront_size: 64
  - .agpr_count:     0
    .args:
      - .offset:         0
        .size:           3048
        .value_kind:     by_value
      - .offset:         3048
        .size:           1
        .value_kind:     by_value
      - .offset:         3049
        .size:           1
        .value_kind:     by_value
      - .offset:         3050
        .size:           1
        .value_kind:     by_value
      - .offset:         3056
        .size:           4
        .value_kind:     hidden_block_count_x
      - .offset:         3060
        .size:           4
        .value_kind:     hidden_block_count_y
      - .offset:         3064
        .size:           4
        .value_kind:     hidden_block_count_z
      - .offset:         3068
        .size:           2
        .value_kind:     hidden_group_size_x
      - .offset:         3070
        .size:           2
        .value_kind:     hidden_group_size_y
      - .offset:         3072
        .size:           2
        .value_kind:     hidden_group_size_z
      - .offset:         3074
        .size:           2
        .value_kind:     hidden_remainder_x
      - .offset:         3076
        .size:           2
        .value_kind:     hidden_remainder_y
      - .offset:         3078
        .size:           2
        .value_kind:     hidden_remainder_z
      - .offset:         3096
        .size:           8
        .value_kind:     hidden_global_offset_x
      - .offset:         3104
        .size:           8
        .value_kind:     hidden_global_offset_y
      - .offset:         3112
        .size:           8
        .value_kind:     hidden_global_offset_z
      - .offset:         3120
        .size:           2
        .value_kind:     hidden_grid_dims
    .group_segment_fixed_size: 0
    .kernarg_segment_align: 8
    .kernarg_segment_size: 3312
    .language:       OpenCL C
    .language_version:
      - 2
      - 0
    .max_flat_workgroup_size: 512
    .name:           _ZN2at6native12_GLOBAL__N_125multi_tensor_apply_kernelINS1_18TensorListMetadataILi4EEENS1_32PointwiseOpScalar0dTensorFunctorIaLi4ELi2ELi3EEEJSt10multipliesIaEaEEEvT_T0_DpT1_
    .private_segment_fixed_size: 0
    .sgpr_count:     33
    .sgpr_spill_count: 0
    .symbol:         _ZN2at6native12_GLOBAL__N_125multi_tensor_apply_kernelINS1_18TensorListMetadataILi4EEENS1_32PointwiseOpScalar0dTensorFunctorIaLi4ELi2ELi3EEEJSt10multipliesIaEaEEEvT_T0_DpT1_.kd
    .uniform_work_group_size: 1
    .uses_dynamic_stack: false
    .vgpr_count:     47
    .vgpr_spill_count: 0
    .wavefront_size: 64
  - .agpr_count:     0
    .args:
      - .offset:         0
        .size:           3048
        .value_kind:     by_value
      - .offset:         3048
        .size:           1
        .value_kind:     by_value
      - .offset:         3049
        .size:           1
        .value_kind:     by_value
      - .offset:         3052
        .size:           4
        .value_kind:     by_value
      - .offset:         3056
        .size:           4
        .value_kind:     hidden_block_count_x
      - .offset:         3060
        .size:           4
        .value_kind:     hidden_block_count_y
      - .offset:         3064
        .size:           4
        .value_kind:     hidden_block_count_z
      - .offset:         3068
        .size:           2
        .value_kind:     hidden_group_size_x
      - .offset:         3070
        .size:           2
        .value_kind:     hidden_group_size_y
      - .offset:         3072
        .size:           2
        .value_kind:     hidden_group_size_z
      - .offset:         3074
        .size:           2
        .value_kind:     hidden_remainder_x
      - .offset:         3076
        .size:           2
        .value_kind:     hidden_remainder_y
      - .offset:         3078
        .size:           2
        .value_kind:     hidden_remainder_z
      - .offset:         3096
        .size:           8
        .value_kind:     hidden_global_offset_x
      - .offset:         3104
        .size:           8
        .value_kind:     hidden_global_offset_y
      - .offset:         3112
        .size:           8
        .value_kind:     hidden_global_offset_z
      - .offset:         3120
        .size:           2
        .value_kind:     hidden_grid_dims
    .group_segment_fixed_size: 0
    .kernarg_segment_align: 8
    .kernarg_segment_size: 3312
    .language:       OpenCL C
    .language_version:
      - 2
      - 0
    .max_flat_workgroup_size: 512
    .name:           _ZN2at6native12_GLOBAL__N_125multi_tensor_apply_kernelINS1_18TensorListMetadataILi4EEENS1_32PointwiseOpScalar0dTensorFunctorIiLi4ELi2ELi3EEEJSt10multipliesIiEiEEEvT_T0_DpT1_
    .private_segment_fixed_size: 0
    .sgpr_count:     34
    .sgpr_spill_count: 0
    .symbol:         _ZN2at6native12_GLOBAL__N_125multi_tensor_apply_kernelINS1_18TensorListMetadataILi4EEENS1_32PointwiseOpScalar0dTensorFunctorIiLi4ELi2ELi3EEEJSt10multipliesIiEiEEEvT_T0_DpT1_.kd
    .uniform_work_group_size: 1
    .uses_dynamic_stack: false
    .vgpr_count:     44
    .vgpr_spill_count: 0
    .wavefront_size: 64
  - .agpr_count:     0
    .args:
      - .offset:         0
        .size:           3048
        .value_kind:     by_value
      - .offset:         3048
        .size:           1
        .value_kind:     by_value
      - .offset:         3049
        .size:           1
        .value_kind:     by_value
      - .offset:         3056
        .size:           8
        .value_kind:     by_value
      - .offset:         3064
        .size:           4
        .value_kind:     hidden_block_count_x
      - .offset:         3068
        .size:           4
        .value_kind:     hidden_block_count_y
      - .offset:         3072
        .size:           4
        .value_kind:     hidden_block_count_z
      - .offset:         3076
        .size:           2
        .value_kind:     hidden_group_size_x
      - .offset:         3078
        .size:           2
        .value_kind:     hidden_group_size_y
      - .offset:         3080
        .size:           2
        .value_kind:     hidden_group_size_z
      - .offset:         3082
        .size:           2
        .value_kind:     hidden_remainder_x
      - .offset:         3084
        .size:           2
        .value_kind:     hidden_remainder_y
      - .offset:         3086
        .size:           2
        .value_kind:     hidden_remainder_z
      - .offset:         3104
        .size:           8
        .value_kind:     hidden_global_offset_x
      - .offset:         3112
        .size:           8
        .value_kind:     hidden_global_offset_y
      - .offset:         3120
        .size:           8
        .value_kind:     hidden_global_offset_z
      - .offset:         3128
        .size:           2
        .value_kind:     hidden_grid_dims
    .group_segment_fixed_size: 0
    .kernarg_segment_align: 8
    .kernarg_segment_size: 3320
    .language:       OpenCL C
    .language_version:
      - 2
      - 0
    .max_flat_workgroup_size: 512
    .name:           _ZN2at6native12_GLOBAL__N_125multi_tensor_apply_kernelINS1_18TensorListMetadataILi4EEENS1_32PointwiseOpScalar0dTensorFunctorIlLi4ELi2ELi3EEEJSt10multipliesIlElEEEvT_T0_DpT1_
    .private_segment_fixed_size: 0
    .sgpr_count:     41
    .sgpr_spill_count: 0
    .symbol:         _ZN2at6native12_GLOBAL__N_125multi_tensor_apply_kernelINS1_18TensorListMetadataILi4EEENS1_32PointwiseOpScalar0dTensorFunctorIlLi4ELi2ELi3EEEJSt10multipliesIlElEEEvT_T0_DpT1_.kd
    .uniform_work_group_size: 1
    .uses_dynamic_stack: false
    .vgpr_count:     52
    .vgpr_spill_count: 0
    .wavefront_size: 64
  - .agpr_count:     0
    .args:
      - .offset:         0
        .size:           3048
        .value_kind:     by_value
      - .offset:         3048
        .size:           1
        .value_kind:     by_value
      - .offset:         3049
        .size:           1
        .value_kind:     by_value
      - .offset:         3050
        .size:           2
        .value_kind:     by_value
      - .offset:         3056
        .size:           4
        .value_kind:     hidden_block_count_x
      - .offset:         3060
        .size:           4
        .value_kind:     hidden_block_count_y
      - .offset:         3064
        .size:           4
        .value_kind:     hidden_block_count_z
      - .offset:         3068
        .size:           2
        .value_kind:     hidden_group_size_x
      - .offset:         3070
        .size:           2
        .value_kind:     hidden_group_size_y
      - .offset:         3072
        .size:           2
        .value_kind:     hidden_group_size_z
      - .offset:         3074
        .size:           2
        .value_kind:     hidden_remainder_x
      - .offset:         3076
        .size:           2
        .value_kind:     hidden_remainder_y
      - .offset:         3078
        .size:           2
        .value_kind:     hidden_remainder_z
      - .offset:         3096
        .size:           8
        .value_kind:     hidden_global_offset_x
      - .offset:         3104
        .size:           8
        .value_kind:     hidden_global_offset_y
      - .offset:         3112
        .size:           8
        .value_kind:     hidden_global_offset_z
      - .offset:         3120
        .size:           2
        .value_kind:     hidden_grid_dims
    .group_segment_fixed_size: 0
    .kernarg_segment_align: 8
    .kernarg_segment_size: 3312
    .language:       OpenCL C
    .language_version:
      - 2
      - 0
    .max_flat_workgroup_size: 512
    .name:           _ZN2at6native12_GLOBAL__N_125multi_tensor_apply_kernelINS1_18TensorListMetadataILi4EEENS1_32PointwiseOpScalar0dTensorFunctorIsLi4ELi2ELi3EEEJSt10multipliesIsEsEEEvT_T0_DpT1_
    .private_segment_fixed_size: 0
    .sgpr_count:     29
    .sgpr_spill_count: 0
    .symbol:         _ZN2at6native12_GLOBAL__N_125multi_tensor_apply_kernelINS1_18TensorListMetadataILi4EEENS1_32PointwiseOpScalar0dTensorFunctorIsLi4ELi2ELi3EEEJSt10multipliesIsEsEEEvT_T0_DpT1_.kd
    .uniform_work_group_size: 1
    .uses_dynamic_stack: false
    .vgpr_count:     43
    .vgpr_spill_count: 0
    .wavefront_size: 64
  - .agpr_count:     0
    .args:
      - .offset:         0
        .size:           3048
        .value_kind:     by_value
      - .offset:         3048
        .size:           1
        .value_kind:     by_value
      - .offset:         3049
        .size:           1
        .value_kind:     by_value
      - .offset:         3056
        .size:           8
        .value_kind:     by_value
      - .offset:         3064
        .size:           4
        .value_kind:     hidden_block_count_x
      - .offset:         3068
        .size:           4
        .value_kind:     hidden_block_count_y
      - .offset:         3072
        .size:           4
        .value_kind:     hidden_block_count_z
      - .offset:         3076
        .size:           2
        .value_kind:     hidden_group_size_x
      - .offset:         3078
        .size:           2
        .value_kind:     hidden_group_size_y
      - .offset:         3080
        .size:           2
        .value_kind:     hidden_group_size_z
      - .offset:         3082
        .size:           2
        .value_kind:     hidden_remainder_x
      - .offset:         3084
        .size:           2
        .value_kind:     hidden_remainder_y
      - .offset:         3086
        .size:           2
        .value_kind:     hidden_remainder_z
      - .offset:         3104
        .size:           8
        .value_kind:     hidden_global_offset_x
      - .offset:         3112
        .size:           8
        .value_kind:     hidden_global_offset_y
      - .offset:         3120
        .size:           8
        .value_kind:     hidden_global_offset_z
      - .offset:         3128
        .size:           2
        .value_kind:     hidden_grid_dims
    .group_segment_fixed_size: 0
    .kernarg_segment_align: 8
    .kernarg_segment_size: 3320
    .language:       OpenCL C
    .language_version:
      - 2
      - 0
    .max_flat_workgroup_size: 512
    .name:           _ZN2at6native12_GLOBAL__N_125multi_tensor_apply_kernelINS1_18TensorListMetadataILi4EEENS1_32PointwiseOpScalar0dTensorFunctorIdLi4ELi2ELi3EEEJSt10multipliesIdEdEEEvT_T0_DpT1_
    .private_segment_fixed_size: 0
    .sgpr_count:     41
    .sgpr_spill_count: 0
    .symbol:         _ZN2at6native12_GLOBAL__N_125multi_tensor_apply_kernelINS1_18TensorListMetadataILi4EEENS1_32PointwiseOpScalar0dTensorFunctorIdLi4ELi2ELi3EEEJSt10multipliesIdEdEEEvT_T0_DpT1_.kd
    .uniform_work_group_size: 1
    .uses_dynamic_stack: false
    .vgpr_count:     52
    .vgpr_spill_count: 0
    .wavefront_size: 64
  - .agpr_count:     0
    .args:
      - .offset:         0
        .size:           3048
        .value_kind:     by_value
      - .offset:         3048
        .size:           1
        .value_kind:     by_value
      - .offset:         3049
        .size:           1
        .value_kind:     by_value
      - .offset:         3052
        .size:           4
        .value_kind:     by_value
      - .offset:         3056
        .size:           4
        .value_kind:     hidden_block_count_x
      - .offset:         3060
        .size:           4
        .value_kind:     hidden_block_count_y
      - .offset:         3064
        .size:           4
        .value_kind:     hidden_block_count_z
      - .offset:         3068
        .size:           2
        .value_kind:     hidden_group_size_x
      - .offset:         3070
        .size:           2
        .value_kind:     hidden_group_size_y
      - .offset:         3072
        .size:           2
        .value_kind:     hidden_group_size_z
      - .offset:         3074
        .size:           2
        .value_kind:     hidden_remainder_x
      - .offset:         3076
        .size:           2
        .value_kind:     hidden_remainder_y
      - .offset:         3078
        .size:           2
        .value_kind:     hidden_remainder_z
      - .offset:         3096
        .size:           8
        .value_kind:     hidden_global_offset_x
      - .offset:         3104
        .size:           8
        .value_kind:     hidden_global_offset_y
      - .offset:         3112
        .size:           8
        .value_kind:     hidden_global_offset_z
      - .offset:         3120
        .size:           2
        .value_kind:     hidden_grid_dims
    .group_segment_fixed_size: 0
    .kernarg_segment_align: 8
    .kernarg_segment_size: 3312
    .language:       OpenCL C
    .language_version:
      - 2
      - 0
    .max_flat_workgroup_size: 512
    .name:           _ZN2at6native12_GLOBAL__N_125multi_tensor_apply_kernelINS1_18TensorListMetadataILi4EEENS1_32PointwiseOpScalar0dTensorFunctorIfLi4ELi2ELi3EEEJSt10multipliesIfEfEEEvT_T0_DpT1_
    .private_segment_fixed_size: 0
    .sgpr_count:     39
    .sgpr_spill_count: 0
    .symbol:         _ZN2at6native12_GLOBAL__N_125multi_tensor_apply_kernelINS1_18TensorListMetadataILi4EEENS1_32PointwiseOpScalar0dTensorFunctorIfLi4ELi2ELi3EEEJSt10multipliesIfEfEEEvT_T0_DpT1_.kd
    .uniform_work_group_size: 1
    .uses_dynamic_stack: false
    .vgpr_count:     44
    .vgpr_spill_count: 0
    .wavefront_size: 64
  - .agpr_count:     0
    .args:
      - .offset:         0
        .size:           3048
        .value_kind:     by_value
      - .offset:         3048
        .size:           1
        .value_kind:     by_value
      - .offset:         3049
        .size:           1
        .value_kind:     by_value
      - .offset:         3056
        .size:           16
        .value_kind:     by_value
      - .offset:         3072
        .size:           4
        .value_kind:     hidden_block_count_x
      - .offset:         3076
        .size:           4
        .value_kind:     hidden_block_count_y
      - .offset:         3080
        .size:           4
        .value_kind:     hidden_block_count_z
      - .offset:         3084
        .size:           2
        .value_kind:     hidden_group_size_x
      - .offset:         3086
        .size:           2
        .value_kind:     hidden_group_size_y
      - .offset:         3088
        .size:           2
        .value_kind:     hidden_group_size_z
      - .offset:         3090
        .size:           2
        .value_kind:     hidden_remainder_x
      - .offset:         3092
        .size:           2
        .value_kind:     hidden_remainder_y
      - .offset:         3094
        .size:           2
        .value_kind:     hidden_remainder_z
      - .offset:         3112
        .size:           8
        .value_kind:     hidden_global_offset_x
      - .offset:         3120
        .size:           8
        .value_kind:     hidden_global_offset_y
      - .offset:         3128
        .size:           8
        .value_kind:     hidden_global_offset_z
      - .offset:         3136
        .size:           2
        .value_kind:     hidden_grid_dims
    .group_segment_fixed_size: 0
    .kernarg_segment_align: 16
    .kernarg_segment_size: 3328
    .language:       OpenCL C
    .language_version:
      - 2
      - 0
    .max_flat_workgroup_size: 512
    .name:           _ZN2at6native12_GLOBAL__N_125multi_tensor_apply_kernelINS1_18TensorListMetadataILi4EEENS1_32PointwiseOpScalar0dTensorFunctorIN3c107complexIdEELi4ELi2ELi3EEEJSt10multipliesIS8_ES8_EEEvT_T0_DpT1_
    .private_segment_fixed_size: 0
    .sgpr_count:     45
    .sgpr_spill_count: 0
    .symbol:         _ZN2at6native12_GLOBAL__N_125multi_tensor_apply_kernelINS1_18TensorListMetadataILi4EEENS1_32PointwiseOpScalar0dTensorFunctorIN3c107complexIdEELi4ELi2ELi3EEEJSt10multipliesIS8_ES8_EEEvT_T0_DpT1_.kd
    .uniform_work_group_size: 1
    .uses_dynamic_stack: false
    .vgpr_count:     68
    .vgpr_spill_count: 0
    .wavefront_size: 64
  - .agpr_count:     0
    .args:
      - .offset:         0
        .size:           3048
        .value_kind:     by_value
      - .offset:         3048
        .size:           1
        .value_kind:     by_value
      - .offset:         3049
        .size:           1
        .value_kind:     by_value
      - .offset:         3056
        .size:           8
        .value_kind:     by_value
      - .offset:         3064
        .size:           4
        .value_kind:     hidden_block_count_x
      - .offset:         3068
        .size:           4
        .value_kind:     hidden_block_count_y
      - .offset:         3072
        .size:           4
        .value_kind:     hidden_block_count_z
      - .offset:         3076
        .size:           2
        .value_kind:     hidden_group_size_x
      - .offset:         3078
        .size:           2
        .value_kind:     hidden_group_size_y
      - .offset:         3080
        .size:           2
        .value_kind:     hidden_group_size_z
      - .offset:         3082
        .size:           2
        .value_kind:     hidden_remainder_x
      - .offset:         3084
        .size:           2
        .value_kind:     hidden_remainder_y
      - .offset:         3086
        .size:           2
        .value_kind:     hidden_remainder_z
      - .offset:         3104
        .size:           8
        .value_kind:     hidden_global_offset_x
      - .offset:         3112
        .size:           8
        .value_kind:     hidden_global_offset_y
      - .offset:         3120
        .size:           8
        .value_kind:     hidden_global_offset_z
      - .offset:         3128
        .size:           2
        .value_kind:     hidden_grid_dims
    .group_segment_fixed_size: 0
    .kernarg_segment_align: 8
    .kernarg_segment_size: 3320
    .language:       OpenCL C
    .language_version:
      - 2
      - 0
    .max_flat_workgroup_size: 512
    .name:           _ZN2at6native12_GLOBAL__N_125multi_tensor_apply_kernelINS1_18TensorListMetadataILi4EEENS1_32PointwiseOpScalar0dTensorFunctorIN3c107complexIfEELi4ELi2ELi3EEEJSt10multipliesIS8_ES8_EEEvT_T0_DpT1_
    .private_segment_fixed_size: 0
    .sgpr_count:     53
    .sgpr_spill_count: 0
    .symbol:         _ZN2at6native12_GLOBAL__N_125multi_tensor_apply_kernelINS1_18TensorListMetadataILi4EEENS1_32PointwiseOpScalar0dTensorFunctorIN3c107complexIfEELi4ELi2ELi3EEEJSt10multipliesIS8_ES8_EEEvT_T0_DpT1_.kd
    .uniform_work_group_size: 1
    .uses_dynamic_stack: false
    .vgpr_count:     52
    .vgpr_spill_count: 0
    .wavefront_size: 64
  - .agpr_count:     0
    .args:
      - .offset:         0
        .size:           3048
        .value_kind:     by_value
      - .offset:         3048
        .size:           1
        .value_kind:     by_value
      - .offset:         3049
        .size:           1
        .value_kind:     by_value
      - .offset:         3052
        .size:           4
        .value_kind:     by_value
      - .offset:         3056
        .size:           4
        .value_kind:     hidden_block_count_x
      - .offset:         3060
        .size:           4
        .value_kind:     hidden_block_count_y
      - .offset:         3064
        .size:           4
        .value_kind:     hidden_block_count_z
      - .offset:         3068
        .size:           2
        .value_kind:     hidden_group_size_x
      - .offset:         3070
        .size:           2
        .value_kind:     hidden_group_size_y
      - .offset:         3072
        .size:           2
        .value_kind:     hidden_group_size_z
      - .offset:         3074
        .size:           2
        .value_kind:     hidden_remainder_x
      - .offset:         3076
        .size:           2
        .value_kind:     hidden_remainder_y
      - .offset:         3078
        .size:           2
        .value_kind:     hidden_remainder_z
      - .offset:         3096
        .size:           8
        .value_kind:     hidden_global_offset_x
      - .offset:         3104
        .size:           8
        .value_kind:     hidden_global_offset_y
      - .offset:         3112
        .size:           8
        .value_kind:     hidden_global_offset_z
      - .offset:         3120
        .size:           2
        .value_kind:     hidden_grid_dims
    .group_segment_fixed_size: 0
    .kernarg_segment_align: 8
    .kernarg_segment_size: 3312
    .language:       OpenCL C
    .language_version:
      - 2
      - 0
    .max_flat_workgroup_size: 512
    .name:           _ZN2at6native12_GLOBAL__N_125multi_tensor_apply_kernelINS1_18TensorListMetadataILi4EEENS1_32PointwiseOpScalar0dTensorFunctorIN3c104HalfELi4ELi2ELi3EEEJSt10multipliesIfEfEEEvT_T0_DpT1_
    .private_segment_fixed_size: 0
    .sgpr_count:     38
    .sgpr_spill_count: 0
    .symbol:         _ZN2at6native12_GLOBAL__N_125multi_tensor_apply_kernelINS1_18TensorListMetadataILi4EEENS1_32PointwiseOpScalar0dTensorFunctorIN3c104HalfELi4ELi2ELi3EEEJSt10multipliesIfEfEEEvT_T0_DpT1_.kd
    .uniform_work_group_size: 1
    .uses_dynamic_stack: false
    .vgpr_count:     46
    .vgpr_spill_count: 0
    .wavefront_size: 64
  - .agpr_count:     0
    .args:
      - .offset:         0
        .size:           3048
        .value_kind:     by_value
      - .offset:         3048
        .size:           1
        .value_kind:     by_value
      - .offset:         3049
        .size:           1
        .value_kind:     by_value
      - .offset:         3052
        .size:           4
        .value_kind:     by_value
      - .offset:         3056
        .size:           4
        .value_kind:     hidden_block_count_x
      - .offset:         3060
        .size:           4
        .value_kind:     hidden_block_count_y
      - .offset:         3064
        .size:           4
        .value_kind:     hidden_block_count_z
      - .offset:         3068
        .size:           2
        .value_kind:     hidden_group_size_x
      - .offset:         3070
        .size:           2
        .value_kind:     hidden_group_size_y
      - .offset:         3072
        .size:           2
        .value_kind:     hidden_group_size_z
      - .offset:         3074
        .size:           2
        .value_kind:     hidden_remainder_x
      - .offset:         3076
        .size:           2
        .value_kind:     hidden_remainder_y
      - .offset:         3078
        .size:           2
        .value_kind:     hidden_remainder_z
      - .offset:         3096
        .size:           8
        .value_kind:     hidden_global_offset_x
      - .offset:         3104
        .size:           8
        .value_kind:     hidden_global_offset_y
      - .offset:         3112
        .size:           8
        .value_kind:     hidden_global_offset_z
      - .offset:         3120
        .size:           2
        .value_kind:     hidden_grid_dims
    .group_segment_fixed_size: 0
    .kernarg_segment_align: 8
    .kernarg_segment_size: 3312
    .language:       OpenCL C
    .language_version:
      - 2
      - 0
    .max_flat_workgroup_size: 512
    .name:           _ZN2at6native12_GLOBAL__N_125multi_tensor_apply_kernelINS1_18TensorListMetadataILi4EEENS1_32PointwiseOpScalar0dTensorFunctorIN3c108BFloat16ELi4ELi2ELi3EEEJSt10multipliesIfEfEEEvT_T0_DpT1_
    .private_segment_fixed_size: 0
    .sgpr_count:     32
    .sgpr_spill_count: 0
    .symbol:         _ZN2at6native12_GLOBAL__N_125multi_tensor_apply_kernelINS1_18TensorListMetadataILi4EEENS1_32PointwiseOpScalar0dTensorFunctorIN3c108BFloat16ELi4ELi2ELi3EEEJSt10multipliesIfEfEEEvT_T0_DpT1_.kd
    .uniform_work_group_size: 1
    .uses_dynamic_stack: false
    .vgpr_count:     44
    .vgpr_spill_count: 0
    .wavefront_size: 64
  - .agpr_count:     0
    .args:
      - .offset:         0
        .size:           3144
        .value_kind:     by_value
      - .offset:         3144
        .size:           1
        .value_kind:     by_value
      - .offset:         3145
        .size:           1
        .value_kind:     by_value
      - .offset:         3146
        .size:           1
        .value_kind:     by_value
      - .offset:         3152
        .size:           4
        .value_kind:     hidden_block_count_x
      - .offset:         3156
        .size:           4
        .value_kind:     hidden_block_count_y
      - .offset:         3160
        .size:           4
        .value_kind:     hidden_block_count_z
      - .offset:         3164
        .size:           2
        .value_kind:     hidden_group_size_x
      - .offset:         3166
        .size:           2
        .value_kind:     hidden_group_size_y
      - .offset:         3168
        .size:           2
        .value_kind:     hidden_group_size_z
      - .offset:         3170
        .size:           2
        .value_kind:     hidden_remainder_x
      - .offset:         3172
        .size:           2
        .value_kind:     hidden_remainder_y
      - .offset:         3174
        .size:           2
        .value_kind:     hidden_remainder_z
      - .offset:         3192
        .size:           8
        .value_kind:     hidden_global_offset_x
      - .offset:         3200
        .size:           8
        .value_kind:     hidden_global_offset_y
      - .offset:         3208
        .size:           8
        .value_kind:     hidden_global_offset_z
      - .offset:         3216
        .size:           2
        .value_kind:     hidden_grid_dims
    .group_segment_fixed_size: 0
    .kernarg_segment_align: 8
    .kernarg_segment_size: 3408
    .language:       OpenCL C
    .language_version:
      - 2
      - 0
    .max_flat_workgroup_size: 512
    .name:           _ZN2at6native12_GLOBAL__N_125multi_tensor_apply_kernelINS1_18TensorListMetadataILi3EEENS1_24PointwiseOpScalarFunctorIhLi3ELi3ELi0EEEJSt10multipliesIhEhEEEvT_T0_DpT1_
    .private_segment_fixed_size: 0
    .sgpr_count:     31
    .sgpr_spill_count: 0
    .symbol:         _ZN2at6native12_GLOBAL__N_125multi_tensor_apply_kernelINS1_18TensorListMetadataILi3EEENS1_24PointwiseOpScalarFunctorIhLi3ELi3ELi0EEEJSt10multipliesIhEhEEEvT_T0_DpT1_.kd
    .uniform_work_group_size: 1
    .uses_dynamic_stack: false
    .vgpr_count:     46
    .vgpr_spill_count: 0
    .wavefront_size: 64
  - .agpr_count:     0
    .args:
      - .offset:         0
        .size:           3144
        .value_kind:     by_value
      - .offset:         3144
        .size:           1
        .value_kind:     by_value
      - .offset:         3145
        .size:           1
        .value_kind:     by_value
      - .offset:         3146
        .size:           1
        .value_kind:     by_value
      - .offset:         3152
        .size:           4
        .value_kind:     hidden_block_count_x
      - .offset:         3156
        .size:           4
        .value_kind:     hidden_block_count_y
      - .offset:         3160
        .size:           4
        .value_kind:     hidden_block_count_z
      - .offset:         3164
        .size:           2
        .value_kind:     hidden_group_size_x
      - .offset:         3166
        .size:           2
        .value_kind:     hidden_group_size_y
      - .offset:         3168
        .size:           2
        .value_kind:     hidden_group_size_z
      - .offset:         3170
        .size:           2
        .value_kind:     hidden_remainder_x
      - .offset:         3172
        .size:           2
        .value_kind:     hidden_remainder_y
      - .offset:         3174
        .size:           2
        .value_kind:     hidden_remainder_z
      - .offset:         3192
        .size:           8
        .value_kind:     hidden_global_offset_x
      - .offset:         3200
        .size:           8
        .value_kind:     hidden_global_offset_y
      - .offset:         3208
        .size:           8
        .value_kind:     hidden_global_offset_z
      - .offset:         3216
        .size:           2
        .value_kind:     hidden_grid_dims
    .group_segment_fixed_size: 0
    .kernarg_segment_align: 8
    .kernarg_segment_size: 3408
    .language:       OpenCL C
    .language_version:
      - 2
      - 0
    .max_flat_workgroup_size: 512
    .name:           _ZN2at6native12_GLOBAL__N_125multi_tensor_apply_kernelINS1_18TensorListMetadataILi3EEENS1_24PointwiseOpScalarFunctorIaLi3ELi3ELi0EEEJSt10multipliesIaEaEEEvT_T0_DpT1_
    .private_segment_fixed_size: 0
    .sgpr_count:     31
    .sgpr_spill_count: 0
    .symbol:         _ZN2at6native12_GLOBAL__N_125multi_tensor_apply_kernelINS1_18TensorListMetadataILi3EEENS1_24PointwiseOpScalarFunctorIaLi3ELi3ELi0EEEJSt10multipliesIaEaEEEvT_T0_DpT1_.kd
    .uniform_work_group_size: 1
    .uses_dynamic_stack: false
    .vgpr_count:     46
    .vgpr_spill_count: 0
    .wavefront_size: 64
  - .agpr_count:     0
    .args:
      - .offset:         0
        .size:           3144
        .value_kind:     by_value
      - .offset:         3144
        .size:           1
        .value_kind:     by_value
      - .offset:         3145
        .size:           1
        .value_kind:     by_value
      - .offset:         3148
        .size:           4
        .value_kind:     by_value
      - .offset:         3152
        .size:           4
        .value_kind:     hidden_block_count_x
      - .offset:         3156
        .size:           4
        .value_kind:     hidden_block_count_y
      - .offset:         3160
        .size:           4
        .value_kind:     hidden_block_count_z
      - .offset:         3164
        .size:           2
        .value_kind:     hidden_group_size_x
      - .offset:         3166
        .size:           2
        .value_kind:     hidden_group_size_y
      - .offset:         3168
        .size:           2
        .value_kind:     hidden_group_size_z
      - .offset:         3170
        .size:           2
        .value_kind:     hidden_remainder_x
      - .offset:         3172
        .size:           2
        .value_kind:     hidden_remainder_y
      - .offset:         3174
        .size:           2
        .value_kind:     hidden_remainder_z
      - .offset:         3192
        .size:           8
        .value_kind:     hidden_global_offset_x
      - .offset:         3200
        .size:           8
        .value_kind:     hidden_global_offset_y
      - .offset:         3208
        .size:           8
        .value_kind:     hidden_global_offset_z
      - .offset:         3216
        .size:           2
        .value_kind:     hidden_grid_dims
    .group_segment_fixed_size: 0
    .kernarg_segment_align: 8
    .kernarg_segment_size: 3408
    .language:       OpenCL C
    .language_version:
      - 2
      - 0
    .max_flat_workgroup_size: 512
    .name:           _ZN2at6native12_GLOBAL__N_125multi_tensor_apply_kernelINS1_18TensorListMetadataILi3EEENS1_24PointwiseOpScalarFunctorIiLi3ELi3ELi0EEEJSt10multipliesIiEiEEEvT_T0_DpT1_
    .private_segment_fixed_size: 0
    .sgpr_count:     34
    .sgpr_spill_count: 0
    .symbol:         _ZN2at6native12_GLOBAL__N_125multi_tensor_apply_kernelINS1_18TensorListMetadataILi3EEENS1_24PointwiseOpScalarFunctorIiLi3ELi3ELi0EEEJSt10multipliesIiEiEEEvT_T0_DpT1_.kd
    .uniform_work_group_size: 1
    .uses_dynamic_stack: false
    .vgpr_count:     48
    .vgpr_spill_count: 0
    .wavefront_size: 64
  - .agpr_count:     0
    .args:
      - .offset:         0
        .size:           3144
        .value_kind:     by_value
      - .offset:         3144
        .size:           1
        .value_kind:     by_value
      - .offset:         3145
        .size:           1
        .value_kind:     by_value
      - .offset:         3152
        .size:           8
        .value_kind:     by_value
      - .offset:         3160
        .size:           4
        .value_kind:     hidden_block_count_x
      - .offset:         3164
        .size:           4
        .value_kind:     hidden_block_count_y
      - .offset:         3168
        .size:           4
        .value_kind:     hidden_block_count_z
      - .offset:         3172
        .size:           2
        .value_kind:     hidden_group_size_x
      - .offset:         3174
        .size:           2
        .value_kind:     hidden_group_size_y
      - .offset:         3176
        .size:           2
        .value_kind:     hidden_group_size_z
      - .offset:         3178
        .size:           2
        .value_kind:     hidden_remainder_x
      - .offset:         3180
        .size:           2
        .value_kind:     hidden_remainder_y
      - .offset:         3182
        .size:           2
        .value_kind:     hidden_remainder_z
      - .offset:         3200
        .size:           8
        .value_kind:     hidden_global_offset_x
      - .offset:         3208
        .size:           8
        .value_kind:     hidden_global_offset_y
      - .offset:         3216
        .size:           8
        .value_kind:     hidden_global_offset_z
      - .offset:         3224
        .size:           2
        .value_kind:     hidden_grid_dims
    .group_segment_fixed_size: 0
    .kernarg_segment_align: 8
    .kernarg_segment_size: 3416
    .language:       OpenCL C
    .language_version:
      - 2
      - 0
    .max_flat_workgroup_size: 512
    .name:           _ZN2at6native12_GLOBAL__N_125multi_tensor_apply_kernelINS1_18TensorListMetadataILi3EEENS1_24PointwiseOpScalarFunctorIlLi3ELi3ELi0EEEJSt10multipliesIlElEEEvT_T0_DpT1_
    .private_segment_fixed_size: 0
    .sgpr_count:     35
    .sgpr_spill_count: 0
    .symbol:         _ZN2at6native12_GLOBAL__N_125multi_tensor_apply_kernelINS1_18TensorListMetadataILi3EEENS1_24PointwiseOpScalarFunctorIlLi3ELi3ELi0EEEJSt10multipliesIlElEEEvT_T0_DpT1_.kd
    .uniform_work_group_size: 1
    .uses_dynamic_stack: false
    .vgpr_count:     60
    .vgpr_spill_count: 0
    .wavefront_size: 64
  - .agpr_count:     0
    .args:
      - .offset:         0
        .size:           3144
        .value_kind:     by_value
      - .offset:         3144
        .size:           1
        .value_kind:     by_value
      - .offset:         3145
        .size:           1
        .value_kind:     by_value
      - .offset:         3146
        .size:           2
        .value_kind:     by_value
      - .offset:         3152
        .size:           4
        .value_kind:     hidden_block_count_x
      - .offset:         3156
        .size:           4
        .value_kind:     hidden_block_count_y
      - .offset:         3160
        .size:           4
        .value_kind:     hidden_block_count_z
      - .offset:         3164
        .size:           2
        .value_kind:     hidden_group_size_x
      - .offset:         3166
        .size:           2
        .value_kind:     hidden_group_size_y
      - .offset:         3168
        .size:           2
        .value_kind:     hidden_group_size_z
      - .offset:         3170
        .size:           2
        .value_kind:     hidden_remainder_x
      - .offset:         3172
        .size:           2
        .value_kind:     hidden_remainder_y
      - .offset:         3174
        .size:           2
        .value_kind:     hidden_remainder_z
      - .offset:         3192
        .size:           8
        .value_kind:     hidden_global_offset_x
      - .offset:         3200
        .size:           8
        .value_kind:     hidden_global_offset_y
      - .offset:         3208
        .size:           8
        .value_kind:     hidden_global_offset_z
      - .offset:         3216
        .size:           2
        .value_kind:     hidden_grid_dims
    .group_segment_fixed_size: 0
    .kernarg_segment_align: 8
    .kernarg_segment_size: 3408
    .language:       OpenCL C
    .language_version:
      - 2
      - 0
    .max_flat_workgroup_size: 512
    .name:           _ZN2at6native12_GLOBAL__N_125multi_tensor_apply_kernelINS1_18TensorListMetadataILi3EEENS1_24PointwiseOpScalarFunctorIsLi3ELi3ELi0EEEJSt10multipliesIsEsEEEvT_T0_DpT1_
    .private_segment_fixed_size: 0
    .sgpr_count:     34
    .sgpr_spill_count: 0
    .symbol:         _ZN2at6native12_GLOBAL__N_125multi_tensor_apply_kernelINS1_18TensorListMetadataILi3EEENS1_24PointwiseOpScalarFunctorIsLi3ELi3ELi0EEEJSt10multipliesIsEsEEEvT_T0_DpT1_.kd
    .uniform_work_group_size: 1
    .uses_dynamic_stack: false
    .vgpr_count:     46
    .vgpr_spill_count: 0
    .wavefront_size: 64
  - .agpr_count:     0
    .args:
      - .offset:         0
        .size:           3144
        .value_kind:     by_value
      - .offset:         3144
        .size:           1
        .value_kind:     by_value
      - .offset:         3145
        .size:           1
        .value_kind:     by_value
      - .offset:         3152
        .size:           8
        .value_kind:     by_value
      - .offset:         3160
        .size:           4
        .value_kind:     hidden_block_count_x
      - .offset:         3164
        .size:           4
        .value_kind:     hidden_block_count_y
      - .offset:         3168
        .size:           4
        .value_kind:     hidden_block_count_z
      - .offset:         3172
        .size:           2
        .value_kind:     hidden_group_size_x
      - .offset:         3174
        .size:           2
        .value_kind:     hidden_group_size_y
      - .offset:         3176
        .size:           2
        .value_kind:     hidden_group_size_z
      - .offset:         3178
        .size:           2
        .value_kind:     hidden_remainder_x
      - .offset:         3180
        .size:           2
        .value_kind:     hidden_remainder_y
      - .offset:         3182
        .size:           2
        .value_kind:     hidden_remainder_z
      - .offset:         3200
        .size:           8
        .value_kind:     hidden_global_offset_x
      - .offset:         3208
        .size:           8
        .value_kind:     hidden_global_offset_y
      - .offset:         3216
        .size:           8
        .value_kind:     hidden_global_offset_z
      - .offset:         3224
        .size:           2
        .value_kind:     hidden_grid_dims
    .group_segment_fixed_size: 0
    .kernarg_segment_align: 8
    .kernarg_segment_size: 3416
    .language:       OpenCL C
    .language_version:
      - 2
      - 0
    .max_flat_workgroup_size: 512
    .name:           _ZN2at6native12_GLOBAL__N_125multi_tensor_apply_kernelINS1_18TensorListMetadataILi3EEENS1_24PointwiseOpScalarFunctorIdLi3ELi3ELi0EEEJSt10multipliesIdEdEEEvT_T0_DpT1_
    .private_segment_fixed_size: 0
    .sgpr_count:     38
    .sgpr_spill_count: 0
    .symbol:         _ZN2at6native12_GLOBAL__N_125multi_tensor_apply_kernelINS1_18TensorListMetadataILi3EEENS1_24PointwiseOpScalarFunctorIdLi3ELi3ELi0EEEJSt10multipliesIdEdEEEvT_T0_DpT1_.kd
    .uniform_work_group_size: 1
    .uses_dynamic_stack: false
    .vgpr_count:     60
    .vgpr_spill_count: 0
    .wavefront_size: 64
  - .agpr_count:     0
    .args:
      - .offset:         0
        .size:           3144
        .value_kind:     by_value
      - .offset:         3144
        .size:           1
        .value_kind:     by_value
      - .offset:         3145
        .size:           1
        .value_kind:     by_value
      - .offset:         3148
        .size:           4
        .value_kind:     by_value
      - .offset:         3152
        .size:           4
        .value_kind:     hidden_block_count_x
      - .offset:         3156
        .size:           4
        .value_kind:     hidden_block_count_y
      - .offset:         3160
        .size:           4
        .value_kind:     hidden_block_count_z
      - .offset:         3164
        .size:           2
        .value_kind:     hidden_group_size_x
      - .offset:         3166
        .size:           2
        .value_kind:     hidden_group_size_y
      - .offset:         3168
        .size:           2
        .value_kind:     hidden_group_size_z
      - .offset:         3170
        .size:           2
        .value_kind:     hidden_remainder_x
      - .offset:         3172
        .size:           2
        .value_kind:     hidden_remainder_y
      - .offset:         3174
        .size:           2
        .value_kind:     hidden_remainder_z
      - .offset:         3192
        .size:           8
        .value_kind:     hidden_global_offset_x
      - .offset:         3200
        .size:           8
        .value_kind:     hidden_global_offset_y
      - .offset:         3208
        .size:           8
        .value_kind:     hidden_global_offset_z
      - .offset:         3216
        .size:           2
        .value_kind:     hidden_grid_dims
    .group_segment_fixed_size: 0
    .kernarg_segment_align: 8
    .kernarg_segment_size: 3408
    .language:       OpenCL C
    .language_version:
      - 2
      - 0
    .max_flat_workgroup_size: 512
    .name:           _ZN2at6native12_GLOBAL__N_125multi_tensor_apply_kernelINS1_18TensorListMetadataILi3EEENS1_24PointwiseOpScalarFunctorIfLi3ELi3ELi0EEEJSt10multipliesIfEfEEEvT_T0_DpT1_
    .private_segment_fixed_size: 0
    .sgpr_count:     39
    .sgpr_spill_count: 0
    .symbol:         _ZN2at6native12_GLOBAL__N_125multi_tensor_apply_kernelINS1_18TensorListMetadataILi3EEENS1_24PointwiseOpScalarFunctorIfLi3ELi3ELi0EEEJSt10multipliesIfEfEEEvT_T0_DpT1_.kd
    .uniform_work_group_size: 1
    .uses_dynamic_stack: false
    .vgpr_count:     46
    .vgpr_spill_count: 0
    .wavefront_size: 64
  - .agpr_count:     0
    .args:
      - .offset:         0
        .size:           3144
        .value_kind:     by_value
      - .offset:         3144
        .size:           1
        .value_kind:     by_value
      - .offset:         3145
        .size:           1
        .value_kind:     by_value
      - .offset:         3152
        .size:           16
        .value_kind:     by_value
      - .offset:         3168
        .size:           4
        .value_kind:     hidden_block_count_x
      - .offset:         3172
        .size:           4
        .value_kind:     hidden_block_count_y
      - .offset:         3176
        .size:           4
        .value_kind:     hidden_block_count_z
      - .offset:         3180
        .size:           2
        .value_kind:     hidden_group_size_x
      - .offset:         3182
        .size:           2
        .value_kind:     hidden_group_size_y
      - .offset:         3184
        .size:           2
        .value_kind:     hidden_group_size_z
      - .offset:         3186
        .size:           2
        .value_kind:     hidden_remainder_x
      - .offset:         3188
        .size:           2
        .value_kind:     hidden_remainder_y
      - .offset:         3190
        .size:           2
        .value_kind:     hidden_remainder_z
      - .offset:         3208
        .size:           8
        .value_kind:     hidden_global_offset_x
      - .offset:         3216
        .size:           8
        .value_kind:     hidden_global_offset_y
      - .offset:         3224
        .size:           8
        .value_kind:     hidden_global_offset_z
      - .offset:         3232
        .size:           2
        .value_kind:     hidden_grid_dims
    .group_segment_fixed_size: 0
    .kernarg_segment_align: 16
    .kernarg_segment_size: 3424
    .language:       OpenCL C
    .language_version:
      - 2
      - 0
    .max_flat_workgroup_size: 512
    .name:           _ZN2at6native12_GLOBAL__N_125multi_tensor_apply_kernelINS1_18TensorListMetadataILi3EEENS1_24PointwiseOpScalarFunctorIN3c107complexIdEELi3ELi3ELi0EEEJSt10multipliesIS8_ES8_EEEvT_T0_DpT1_
    .private_segment_fixed_size: 0
    .sgpr_count:     47
    .sgpr_spill_count: 0
    .symbol:         _ZN2at6native12_GLOBAL__N_125multi_tensor_apply_kernelINS1_18TensorListMetadataILi3EEENS1_24PointwiseOpScalarFunctorIN3c107complexIdEELi3ELi3ELi0EEEJSt10multipliesIS8_ES8_EEEvT_T0_DpT1_.kd
    .uniform_work_group_size: 1
    .uses_dynamic_stack: false
    .vgpr_count:     78
    .vgpr_spill_count: 0
    .wavefront_size: 64
  - .agpr_count:     0
    .args:
      - .offset:         0
        .size:           3144
        .value_kind:     by_value
      - .offset:         3144
        .size:           1
        .value_kind:     by_value
      - .offset:         3145
        .size:           1
        .value_kind:     by_value
      - .offset:         3152
        .size:           8
        .value_kind:     by_value
      - .offset:         3160
        .size:           4
        .value_kind:     hidden_block_count_x
      - .offset:         3164
        .size:           4
        .value_kind:     hidden_block_count_y
      - .offset:         3168
        .size:           4
        .value_kind:     hidden_block_count_z
      - .offset:         3172
        .size:           2
        .value_kind:     hidden_group_size_x
      - .offset:         3174
        .size:           2
        .value_kind:     hidden_group_size_y
      - .offset:         3176
        .size:           2
        .value_kind:     hidden_group_size_z
      - .offset:         3178
        .size:           2
        .value_kind:     hidden_remainder_x
      - .offset:         3180
        .size:           2
        .value_kind:     hidden_remainder_y
      - .offset:         3182
        .size:           2
        .value_kind:     hidden_remainder_z
      - .offset:         3200
        .size:           8
        .value_kind:     hidden_global_offset_x
      - .offset:         3208
        .size:           8
        .value_kind:     hidden_global_offset_y
      - .offset:         3216
        .size:           8
        .value_kind:     hidden_global_offset_z
      - .offset:         3224
        .size:           2
        .value_kind:     hidden_grid_dims
    .group_segment_fixed_size: 0
    .kernarg_segment_align: 8
    .kernarg_segment_size: 3416
    .language:       OpenCL C
    .language_version:
      - 2
      - 0
    .max_flat_workgroup_size: 512
    .name:           _ZN2at6native12_GLOBAL__N_125multi_tensor_apply_kernelINS1_18TensorListMetadataILi3EEENS1_24PointwiseOpScalarFunctorIN3c107complexIfEELi3ELi3ELi0EEEJSt10multipliesIS8_ES8_EEEvT_T0_DpT1_
    .private_segment_fixed_size: 0
    .sgpr_count:     38
    .sgpr_spill_count: 0
    .symbol:         _ZN2at6native12_GLOBAL__N_125multi_tensor_apply_kernelINS1_18TensorListMetadataILi3EEENS1_24PointwiseOpScalarFunctorIN3c107complexIfEELi3ELi3ELi0EEEJSt10multipliesIS8_ES8_EEEvT_T0_DpT1_.kd
    .uniform_work_group_size: 1
    .uses_dynamic_stack: false
    .vgpr_count:     56
    .vgpr_spill_count: 0
    .wavefront_size: 64
  - .agpr_count:     0
    .args:
      - .offset:         0
        .size:           3144
        .value_kind:     by_value
      - .offset:         3144
        .size:           1
        .value_kind:     by_value
      - .offset:         3145
        .size:           1
        .value_kind:     by_value
      - .offset:         3148
        .size:           4
        .value_kind:     by_value
      - .offset:         3152
        .size:           4
        .value_kind:     hidden_block_count_x
      - .offset:         3156
        .size:           4
        .value_kind:     hidden_block_count_y
      - .offset:         3160
        .size:           4
        .value_kind:     hidden_block_count_z
      - .offset:         3164
        .size:           2
        .value_kind:     hidden_group_size_x
      - .offset:         3166
        .size:           2
        .value_kind:     hidden_group_size_y
      - .offset:         3168
        .size:           2
        .value_kind:     hidden_group_size_z
      - .offset:         3170
        .size:           2
        .value_kind:     hidden_remainder_x
      - .offset:         3172
        .size:           2
        .value_kind:     hidden_remainder_y
      - .offset:         3174
        .size:           2
        .value_kind:     hidden_remainder_z
      - .offset:         3192
        .size:           8
        .value_kind:     hidden_global_offset_x
      - .offset:         3200
        .size:           8
        .value_kind:     hidden_global_offset_y
      - .offset:         3208
        .size:           8
        .value_kind:     hidden_global_offset_z
      - .offset:         3216
        .size:           2
        .value_kind:     hidden_grid_dims
    .group_segment_fixed_size: 0
    .kernarg_segment_align: 8
    .kernarg_segment_size: 3408
    .language:       OpenCL C
    .language_version:
      - 2
      - 0
    .max_flat_workgroup_size: 512
    .name:           _ZN2at6native12_GLOBAL__N_125multi_tensor_apply_kernelINS1_18TensorListMetadataILi3EEENS1_24PointwiseOpScalarFunctorIN3c104HalfELi3ELi3ELi0EEEJSt10multipliesIfEfEEEvT_T0_DpT1_
    .private_segment_fixed_size: 0
    .sgpr_count:     39
    .sgpr_spill_count: 0
    .symbol:         _ZN2at6native12_GLOBAL__N_125multi_tensor_apply_kernelINS1_18TensorListMetadataILi3EEENS1_24PointwiseOpScalarFunctorIN3c104HalfELi3ELi3ELi0EEEJSt10multipliesIfEfEEEvT_T0_DpT1_.kd
    .uniform_work_group_size: 1
    .uses_dynamic_stack: false
    .vgpr_count:     46
    .vgpr_spill_count: 0
    .wavefront_size: 64
  - .agpr_count:     0
    .args:
      - .offset:         0
        .size:           3144
        .value_kind:     by_value
      - .offset:         3144
        .size:           1
        .value_kind:     by_value
      - .offset:         3145
        .size:           1
        .value_kind:     by_value
      - .offset:         3148
        .size:           4
        .value_kind:     by_value
      - .offset:         3152
        .size:           4
        .value_kind:     hidden_block_count_x
      - .offset:         3156
        .size:           4
        .value_kind:     hidden_block_count_y
      - .offset:         3160
        .size:           4
        .value_kind:     hidden_block_count_z
      - .offset:         3164
        .size:           2
        .value_kind:     hidden_group_size_x
      - .offset:         3166
        .size:           2
        .value_kind:     hidden_group_size_y
      - .offset:         3168
        .size:           2
        .value_kind:     hidden_group_size_z
      - .offset:         3170
        .size:           2
        .value_kind:     hidden_remainder_x
      - .offset:         3172
        .size:           2
        .value_kind:     hidden_remainder_y
      - .offset:         3174
        .size:           2
        .value_kind:     hidden_remainder_z
      - .offset:         3192
        .size:           8
        .value_kind:     hidden_global_offset_x
      - .offset:         3200
        .size:           8
        .value_kind:     hidden_global_offset_y
      - .offset:         3208
        .size:           8
        .value_kind:     hidden_global_offset_z
      - .offset:         3216
        .size:           2
        .value_kind:     hidden_grid_dims
    .group_segment_fixed_size: 0
    .kernarg_segment_align: 8
    .kernarg_segment_size: 3408
    .language:       OpenCL C
    .language_version:
      - 2
      - 0
    .max_flat_workgroup_size: 512
    .name:           _ZN2at6native12_GLOBAL__N_125multi_tensor_apply_kernelINS1_18TensorListMetadataILi3EEENS1_24PointwiseOpScalarFunctorIN3c108BFloat16ELi3ELi3ELi0EEEJSt10multipliesIfEfEEEvT_T0_DpT1_
    .private_segment_fixed_size: 0
    .sgpr_count:     40
    .sgpr_spill_count: 0
    .symbol:         _ZN2at6native12_GLOBAL__N_125multi_tensor_apply_kernelINS1_18TensorListMetadataILi3EEENS1_24PointwiseOpScalarFunctorIN3c108BFloat16ELi3ELi3ELi0EEEJSt10multipliesIfEfEEEvT_T0_DpT1_.kd
    .uniform_work_group_size: 1
    .uses_dynamic_stack: false
    .vgpr_count:     48
    .vgpr_spill_count: 0
    .wavefront_size: 64
  - .agpr_count:     0
    .args:
      - .offset:         0
        .size:           3144
        .value_kind:     by_value
      - .offset:         3144
        .size:           1
        .value_kind:     by_value
      - .offset:         3145
        .size:           1
        .value_kind:     by_value
      - .offset:         3146
        .size:           1
        .value_kind:     by_value
      - .offset:         3152
        .size:           4
        .value_kind:     hidden_block_count_x
      - .offset:         3156
        .size:           4
        .value_kind:     hidden_block_count_y
      - .offset:         3160
        .size:           4
        .value_kind:     hidden_block_count_z
      - .offset:         3164
        .size:           2
        .value_kind:     hidden_group_size_x
      - .offset:         3166
        .size:           2
        .value_kind:     hidden_group_size_y
      - .offset:         3168
        .size:           2
        .value_kind:     hidden_group_size_z
      - .offset:         3170
        .size:           2
        .value_kind:     hidden_remainder_x
      - .offset:         3172
        .size:           2
        .value_kind:     hidden_remainder_y
      - .offset:         3174
        .size:           2
        .value_kind:     hidden_remainder_z
      - .offset:         3192
        .size:           8
        .value_kind:     hidden_global_offset_x
      - .offset:         3200
        .size:           8
        .value_kind:     hidden_global_offset_y
      - .offset:         3208
        .size:           8
        .value_kind:     hidden_global_offset_z
      - .offset:         3216
        .size:           2
        .value_kind:     hidden_grid_dims
    .group_segment_fixed_size: 0
    .kernarg_segment_align: 8
    .kernarg_segment_size: 3408
    .language:       OpenCL C
    .language_version:
      - 2
      - 0
    .max_flat_workgroup_size: 512
    .name:           _ZN2at6native12_GLOBAL__N_125multi_tensor_apply_kernelINS1_18TensorListMetadataILi3EEENS1_32PointwiseOpScalar0dTensorFunctorIhLi3ELi2ELi0EEEJSt10multipliesIhEhEEEvT_T0_DpT1_
    .private_segment_fixed_size: 0
    .sgpr_count:     29
    .sgpr_spill_count: 0
    .symbol:         _ZN2at6native12_GLOBAL__N_125multi_tensor_apply_kernelINS1_18TensorListMetadataILi3EEENS1_32PointwiseOpScalar0dTensorFunctorIhLi3ELi2ELi0EEEJSt10multipliesIhEhEEEvT_T0_DpT1_.kd
    .uniform_work_group_size: 1
    .uses_dynamic_stack: false
    .vgpr_count:     39
    .vgpr_spill_count: 0
    .wavefront_size: 64
  - .agpr_count:     0
    .args:
      - .offset:         0
        .size:           3144
        .value_kind:     by_value
      - .offset:         3144
        .size:           1
        .value_kind:     by_value
      - .offset:         3145
        .size:           1
        .value_kind:     by_value
      - .offset:         3146
        .size:           1
        .value_kind:     by_value
      - .offset:         3152
        .size:           4
        .value_kind:     hidden_block_count_x
      - .offset:         3156
        .size:           4
        .value_kind:     hidden_block_count_y
      - .offset:         3160
        .size:           4
        .value_kind:     hidden_block_count_z
      - .offset:         3164
        .size:           2
        .value_kind:     hidden_group_size_x
      - .offset:         3166
        .size:           2
        .value_kind:     hidden_group_size_y
      - .offset:         3168
        .size:           2
        .value_kind:     hidden_group_size_z
      - .offset:         3170
        .size:           2
        .value_kind:     hidden_remainder_x
      - .offset:         3172
        .size:           2
        .value_kind:     hidden_remainder_y
      - .offset:         3174
        .size:           2
        .value_kind:     hidden_remainder_z
      - .offset:         3192
        .size:           8
        .value_kind:     hidden_global_offset_x
      - .offset:         3200
        .size:           8
        .value_kind:     hidden_global_offset_y
      - .offset:         3208
        .size:           8
        .value_kind:     hidden_global_offset_z
      - .offset:         3216
        .size:           2
        .value_kind:     hidden_grid_dims
    .group_segment_fixed_size: 0
    .kernarg_segment_align: 8
    .kernarg_segment_size: 3408
    .language:       OpenCL C
    .language_version:
      - 2
      - 0
    .max_flat_workgroup_size: 512
    .name:           _ZN2at6native12_GLOBAL__N_125multi_tensor_apply_kernelINS1_18TensorListMetadataILi3EEENS1_32PointwiseOpScalar0dTensorFunctorIaLi3ELi2ELi0EEEJSt10multipliesIaEaEEEvT_T0_DpT1_
    .private_segment_fixed_size: 0
    .sgpr_count:     29
    .sgpr_spill_count: 0
    .symbol:         _ZN2at6native12_GLOBAL__N_125multi_tensor_apply_kernelINS1_18TensorListMetadataILi3EEENS1_32PointwiseOpScalar0dTensorFunctorIaLi3ELi2ELi0EEEJSt10multipliesIaEaEEEvT_T0_DpT1_.kd
    .uniform_work_group_size: 1
    .uses_dynamic_stack: false
    .vgpr_count:     39
    .vgpr_spill_count: 0
    .wavefront_size: 64
  - .agpr_count:     0
    .args:
      - .offset:         0
        .size:           3144
        .value_kind:     by_value
      - .offset:         3144
        .size:           1
        .value_kind:     by_value
      - .offset:         3145
        .size:           1
        .value_kind:     by_value
      - .offset:         3148
        .size:           4
        .value_kind:     by_value
      - .offset:         3152
        .size:           4
        .value_kind:     hidden_block_count_x
      - .offset:         3156
        .size:           4
        .value_kind:     hidden_block_count_y
      - .offset:         3160
        .size:           4
        .value_kind:     hidden_block_count_z
      - .offset:         3164
        .size:           2
        .value_kind:     hidden_group_size_x
      - .offset:         3166
        .size:           2
        .value_kind:     hidden_group_size_y
      - .offset:         3168
        .size:           2
        .value_kind:     hidden_group_size_z
      - .offset:         3170
        .size:           2
        .value_kind:     hidden_remainder_x
      - .offset:         3172
        .size:           2
        .value_kind:     hidden_remainder_y
      - .offset:         3174
        .size:           2
        .value_kind:     hidden_remainder_z
      - .offset:         3192
        .size:           8
        .value_kind:     hidden_global_offset_x
      - .offset:         3200
        .size:           8
        .value_kind:     hidden_global_offset_y
      - .offset:         3208
        .size:           8
        .value_kind:     hidden_global_offset_z
      - .offset:         3216
        .size:           2
        .value_kind:     hidden_grid_dims
    .group_segment_fixed_size: 0
    .kernarg_segment_align: 8
    .kernarg_segment_size: 3408
    .language:       OpenCL C
    .language_version:
      - 2
      - 0
    .max_flat_workgroup_size: 512
    .name:           _ZN2at6native12_GLOBAL__N_125multi_tensor_apply_kernelINS1_18TensorListMetadataILi3EEENS1_32PointwiseOpScalar0dTensorFunctorIiLi3ELi2ELi0EEEJSt10multipliesIiEiEEEvT_T0_DpT1_
    .private_segment_fixed_size: 0
    .sgpr_count:     30
    .sgpr_spill_count: 0
    .symbol:         _ZN2at6native12_GLOBAL__N_125multi_tensor_apply_kernelINS1_18TensorListMetadataILi3EEENS1_32PointwiseOpScalar0dTensorFunctorIiLi3ELi2ELi0EEEJSt10multipliesIiEiEEEvT_T0_DpT1_.kd
    .uniform_work_group_size: 1
    .uses_dynamic_stack: false
    .vgpr_count:     38
    .vgpr_spill_count: 0
    .wavefront_size: 64
  - .agpr_count:     0
    .args:
      - .offset:         0
        .size:           3144
        .value_kind:     by_value
      - .offset:         3144
        .size:           1
        .value_kind:     by_value
      - .offset:         3145
        .size:           1
        .value_kind:     by_value
      - .offset:         3152
        .size:           8
        .value_kind:     by_value
      - .offset:         3160
        .size:           4
        .value_kind:     hidden_block_count_x
      - .offset:         3164
        .size:           4
        .value_kind:     hidden_block_count_y
      - .offset:         3168
        .size:           4
        .value_kind:     hidden_block_count_z
      - .offset:         3172
        .size:           2
        .value_kind:     hidden_group_size_x
      - .offset:         3174
        .size:           2
        .value_kind:     hidden_group_size_y
      - .offset:         3176
        .size:           2
        .value_kind:     hidden_group_size_z
      - .offset:         3178
        .size:           2
        .value_kind:     hidden_remainder_x
      - .offset:         3180
        .size:           2
        .value_kind:     hidden_remainder_y
      - .offset:         3182
        .size:           2
        .value_kind:     hidden_remainder_z
      - .offset:         3200
        .size:           8
        .value_kind:     hidden_global_offset_x
      - .offset:         3208
        .size:           8
        .value_kind:     hidden_global_offset_y
      - .offset:         3216
        .size:           8
        .value_kind:     hidden_global_offset_z
      - .offset:         3224
        .size:           2
        .value_kind:     hidden_grid_dims
    .group_segment_fixed_size: 0
    .kernarg_segment_align: 8
    .kernarg_segment_size: 3416
    .language:       OpenCL C
    .language_version:
      - 2
      - 0
    .max_flat_workgroup_size: 512
    .name:           _ZN2at6native12_GLOBAL__N_125multi_tensor_apply_kernelINS1_18TensorListMetadataILi3EEENS1_32PointwiseOpScalar0dTensorFunctorIlLi3ELi2ELi0EEEJSt10multipliesIlElEEEvT_T0_DpT1_
    .private_segment_fixed_size: 0
    .sgpr_count:     36
    .sgpr_spill_count: 0
    .symbol:         _ZN2at6native12_GLOBAL__N_125multi_tensor_apply_kernelINS1_18TensorListMetadataILi3EEENS1_32PointwiseOpScalar0dTensorFunctorIlLi3ELi2ELi0EEEJSt10multipliesIlElEEEvT_T0_DpT1_.kd
    .uniform_work_group_size: 1
    .uses_dynamic_stack: false
    .vgpr_count:     44
    .vgpr_spill_count: 0
    .wavefront_size: 64
  - .agpr_count:     0
    .args:
      - .offset:         0
        .size:           3144
        .value_kind:     by_value
      - .offset:         3144
        .size:           1
        .value_kind:     by_value
      - .offset:         3145
        .size:           1
        .value_kind:     by_value
      - .offset:         3146
        .size:           2
        .value_kind:     by_value
      - .offset:         3152
        .size:           4
        .value_kind:     hidden_block_count_x
      - .offset:         3156
        .size:           4
        .value_kind:     hidden_block_count_y
      - .offset:         3160
        .size:           4
        .value_kind:     hidden_block_count_z
      - .offset:         3164
        .size:           2
        .value_kind:     hidden_group_size_x
      - .offset:         3166
        .size:           2
        .value_kind:     hidden_group_size_y
      - .offset:         3168
        .size:           2
        .value_kind:     hidden_group_size_z
      - .offset:         3170
        .size:           2
        .value_kind:     hidden_remainder_x
      - .offset:         3172
        .size:           2
        .value_kind:     hidden_remainder_y
      - .offset:         3174
        .size:           2
        .value_kind:     hidden_remainder_z
      - .offset:         3192
        .size:           8
        .value_kind:     hidden_global_offset_x
      - .offset:         3200
        .size:           8
        .value_kind:     hidden_global_offset_y
      - .offset:         3208
        .size:           8
        .value_kind:     hidden_global_offset_z
      - .offset:         3216
        .size:           2
        .value_kind:     hidden_grid_dims
    .group_segment_fixed_size: 0
    .kernarg_segment_align: 8
    .kernarg_segment_size: 3408
    .language:       OpenCL C
    .language_version:
      - 2
      - 0
    .max_flat_workgroup_size: 512
    .name:           _ZN2at6native12_GLOBAL__N_125multi_tensor_apply_kernelINS1_18TensorListMetadataILi3EEENS1_32PointwiseOpScalar0dTensorFunctorIsLi3ELi2ELi0EEEJSt10multipliesIsEsEEEvT_T0_DpT1_
    .private_segment_fixed_size: 0
    .sgpr_count:     30
    .sgpr_spill_count: 0
    .symbol:         _ZN2at6native12_GLOBAL__N_125multi_tensor_apply_kernelINS1_18TensorListMetadataILi3EEENS1_32PointwiseOpScalar0dTensorFunctorIsLi3ELi2ELi0EEEJSt10multipliesIsEsEEEvT_T0_DpT1_.kd
    .uniform_work_group_size: 1
    .uses_dynamic_stack: false
    .vgpr_count:     35
    .vgpr_spill_count: 0
    .wavefront_size: 64
  - .agpr_count:     0
    .args:
      - .offset:         0
        .size:           3144
        .value_kind:     by_value
      - .offset:         3144
        .size:           1
        .value_kind:     by_value
      - .offset:         3145
        .size:           1
        .value_kind:     by_value
      - .offset:         3152
        .size:           8
        .value_kind:     by_value
      - .offset:         3160
        .size:           4
        .value_kind:     hidden_block_count_x
      - .offset:         3164
        .size:           4
        .value_kind:     hidden_block_count_y
      - .offset:         3168
        .size:           4
        .value_kind:     hidden_block_count_z
      - .offset:         3172
        .size:           2
        .value_kind:     hidden_group_size_x
      - .offset:         3174
        .size:           2
        .value_kind:     hidden_group_size_y
      - .offset:         3176
        .size:           2
        .value_kind:     hidden_group_size_z
      - .offset:         3178
        .size:           2
        .value_kind:     hidden_remainder_x
      - .offset:         3180
        .size:           2
        .value_kind:     hidden_remainder_y
      - .offset:         3182
        .size:           2
        .value_kind:     hidden_remainder_z
      - .offset:         3200
        .size:           8
        .value_kind:     hidden_global_offset_x
      - .offset:         3208
        .size:           8
        .value_kind:     hidden_global_offset_y
      - .offset:         3216
        .size:           8
        .value_kind:     hidden_global_offset_z
      - .offset:         3224
        .size:           2
        .value_kind:     hidden_grid_dims
    .group_segment_fixed_size: 0
    .kernarg_segment_align: 8
    .kernarg_segment_size: 3416
    .language:       OpenCL C
    .language_version:
      - 2
      - 0
    .max_flat_workgroup_size: 512
    .name:           _ZN2at6native12_GLOBAL__N_125multi_tensor_apply_kernelINS1_18TensorListMetadataILi3EEENS1_32PointwiseOpScalar0dTensorFunctorIdLi3ELi2ELi0EEEJSt10multipliesIdEdEEEvT_T0_DpT1_
    .private_segment_fixed_size: 0
    .sgpr_count:     36
    .sgpr_spill_count: 0
    .symbol:         _ZN2at6native12_GLOBAL__N_125multi_tensor_apply_kernelINS1_18TensorListMetadataILi3EEENS1_32PointwiseOpScalar0dTensorFunctorIdLi3ELi2ELi0EEEJSt10multipliesIdEdEEEvT_T0_DpT1_.kd
    .uniform_work_group_size: 1
    .uses_dynamic_stack: false
    .vgpr_count:     44
    .vgpr_spill_count: 0
    .wavefront_size: 64
  - .agpr_count:     0
    .args:
      - .offset:         0
        .size:           3144
        .value_kind:     by_value
      - .offset:         3144
        .size:           1
        .value_kind:     by_value
      - .offset:         3145
        .size:           1
        .value_kind:     by_value
      - .offset:         3148
        .size:           4
        .value_kind:     by_value
      - .offset:         3152
        .size:           4
        .value_kind:     hidden_block_count_x
      - .offset:         3156
        .size:           4
        .value_kind:     hidden_block_count_y
      - .offset:         3160
        .size:           4
        .value_kind:     hidden_block_count_z
      - .offset:         3164
        .size:           2
        .value_kind:     hidden_group_size_x
      - .offset:         3166
        .size:           2
        .value_kind:     hidden_group_size_y
      - .offset:         3168
        .size:           2
        .value_kind:     hidden_group_size_z
      - .offset:         3170
        .size:           2
        .value_kind:     hidden_remainder_x
      - .offset:         3172
        .size:           2
        .value_kind:     hidden_remainder_y
      - .offset:         3174
        .size:           2
        .value_kind:     hidden_remainder_z
      - .offset:         3192
        .size:           8
        .value_kind:     hidden_global_offset_x
      - .offset:         3200
        .size:           8
        .value_kind:     hidden_global_offset_y
      - .offset:         3208
        .size:           8
        .value_kind:     hidden_global_offset_z
      - .offset:         3216
        .size:           2
        .value_kind:     hidden_grid_dims
    .group_segment_fixed_size: 0
    .kernarg_segment_align: 8
    .kernarg_segment_size: 3408
    .language:       OpenCL C
    .language_version:
      - 2
      - 0
    .max_flat_workgroup_size: 512
    .name:           _ZN2at6native12_GLOBAL__N_125multi_tensor_apply_kernelINS1_18TensorListMetadataILi3EEENS1_32PointwiseOpScalar0dTensorFunctorIfLi3ELi2ELi0EEEJSt10multipliesIfEfEEEvT_T0_DpT1_
    .private_segment_fixed_size: 0
    .sgpr_count:     34
    .sgpr_spill_count: 0
    .symbol:         _ZN2at6native12_GLOBAL__N_125multi_tensor_apply_kernelINS1_18TensorListMetadataILi3EEENS1_32PointwiseOpScalar0dTensorFunctorIfLi3ELi2ELi0EEEJSt10multipliesIfEfEEEvT_T0_DpT1_.kd
    .uniform_work_group_size: 1
    .uses_dynamic_stack: false
    .vgpr_count:     38
    .vgpr_spill_count: 0
    .wavefront_size: 64
  - .agpr_count:     0
    .args:
      - .offset:         0
        .size:           3144
        .value_kind:     by_value
      - .offset:         3144
        .size:           1
        .value_kind:     by_value
      - .offset:         3145
        .size:           1
        .value_kind:     by_value
      - .offset:         3152
        .size:           16
        .value_kind:     by_value
      - .offset:         3168
        .size:           4
        .value_kind:     hidden_block_count_x
      - .offset:         3172
        .size:           4
        .value_kind:     hidden_block_count_y
      - .offset:         3176
        .size:           4
        .value_kind:     hidden_block_count_z
      - .offset:         3180
        .size:           2
        .value_kind:     hidden_group_size_x
      - .offset:         3182
        .size:           2
        .value_kind:     hidden_group_size_y
      - .offset:         3184
        .size:           2
        .value_kind:     hidden_group_size_z
      - .offset:         3186
        .size:           2
        .value_kind:     hidden_remainder_x
      - .offset:         3188
        .size:           2
        .value_kind:     hidden_remainder_y
      - .offset:         3190
        .size:           2
        .value_kind:     hidden_remainder_z
      - .offset:         3208
        .size:           8
        .value_kind:     hidden_global_offset_x
      - .offset:         3216
        .size:           8
        .value_kind:     hidden_global_offset_y
      - .offset:         3224
        .size:           8
        .value_kind:     hidden_global_offset_z
      - .offset:         3232
        .size:           2
        .value_kind:     hidden_grid_dims
    .group_segment_fixed_size: 0
    .kernarg_segment_align: 16
    .kernarg_segment_size: 3424
    .language:       OpenCL C
    .language_version:
      - 2
      - 0
    .max_flat_workgroup_size: 512
    .name:           _ZN2at6native12_GLOBAL__N_125multi_tensor_apply_kernelINS1_18TensorListMetadataILi3EEENS1_32PointwiseOpScalar0dTensorFunctorIN3c107complexIdEELi3ELi2ELi0EEEJSt10multipliesIS8_ES8_EEEvT_T0_DpT1_
    .private_segment_fixed_size: 0
    .sgpr_count:     41
    .sgpr_spill_count: 0
    .symbol:         _ZN2at6native12_GLOBAL__N_125multi_tensor_apply_kernelINS1_18TensorListMetadataILi3EEENS1_32PointwiseOpScalar0dTensorFunctorIN3c107complexIdEELi3ELi2ELi0EEEJSt10multipliesIS8_ES8_EEEvT_T0_DpT1_.kd
    .uniform_work_group_size: 1
    .uses_dynamic_stack: false
    .vgpr_count:     60
    .vgpr_spill_count: 0
    .wavefront_size: 64
  - .agpr_count:     0
    .args:
      - .offset:         0
        .size:           3144
        .value_kind:     by_value
      - .offset:         3144
        .size:           1
        .value_kind:     by_value
      - .offset:         3145
        .size:           1
        .value_kind:     by_value
      - .offset:         3152
        .size:           8
        .value_kind:     by_value
      - .offset:         3160
        .size:           4
        .value_kind:     hidden_block_count_x
      - .offset:         3164
        .size:           4
        .value_kind:     hidden_block_count_y
      - .offset:         3168
        .size:           4
        .value_kind:     hidden_block_count_z
      - .offset:         3172
        .size:           2
        .value_kind:     hidden_group_size_x
      - .offset:         3174
        .size:           2
        .value_kind:     hidden_group_size_y
      - .offset:         3176
        .size:           2
        .value_kind:     hidden_group_size_z
      - .offset:         3178
        .size:           2
        .value_kind:     hidden_remainder_x
      - .offset:         3180
        .size:           2
        .value_kind:     hidden_remainder_y
      - .offset:         3182
        .size:           2
        .value_kind:     hidden_remainder_z
      - .offset:         3200
        .size:           8
        .value_kind:     hidden_global_offset_x
      - .offset:         3208
        .size:           8
        .value_kind:     hidden_global_offset_y
      - .offset:         3216
        .size:           8
        .value_kind:     hidden_global_offset_z
      - .offset:         3224
        .size:           2
        .value_kind:     hidden_grid_dims
    .group_segment_fixed_size: 0
    .kernarg_segment_align: 8
    .kernarg_segment_size: 3416
    .language:       OpenCL C
    .language_version:
      - 2
      - 0
    .max_flat_workgroup_size: 512
    .name:           _ZN2at6native12_GLOBAL__N_125multi_tensor_apply_kernelINS1_18TensorListMetadataILi3EEENS1_32PointwiseOpScalar0dTensorFunctorIN3c107complexIfEELi3ELi2ELi0EEEJSt10multipliesIS8_ES8_EEEvT_T0_DpT1_
    .private_segment_fixed_size: 0
    .sgpr_count:     49
    .sgpr_spill_count: 0
    .symbol:         _ZN2at6native12_GLOBAL__N_125multi_tensor_apply_kernelINS1_18TensorListMetadataILi3EEENS1_32PointwiseOpScalar0dTensorFunctorIN3c107complexIfEELi3ELi2ELi0EEEJSt10multipliesIS8_ES8_EEEvT_T0_DpT1_.kd
    .uniform_work_group_size: 1
    .uses_dynamic_stack: false
    .vgpr_count:     44
    .vgpr_spill_count: 0
    .wavefront_size: 64
  - .agpr_count:     0
    .args:
      - .offset:         0
        .size:           3144
        .value_kind:     by_value
      - .offset:         3144
        .size:           1
        .value_kind:     by_value
      - .offset:         3145
        .size:           1
        .value_kind:     by_value
      - .offset:         3148
        .size:           4
        .value_kind:     by_value
      - .offset:         3152
        .size:           4
        .value_kind:     hidden_block_count_x
      - .offset:         3156
        .size:           4
        .value_kind:     hidden_block_count_y
      - .offset:         3160
        .size:           4
        .value_kind:     hidden_block_count_z
      - .offset:         3164
        .size:           2
        .value_kind:     hidden_group_size_x
      - .offset:         3166
        .size:           2
        .value_kind:     hidden_group_size_y
      - .offset:         3168
        .size:           2
        .value_kind:     hidden_group_size_z
      - .offset:         3170
        .size:           2
        .value_kind:     hidden_remainder_x
      - .offset:         3172
        .size:           2
        .value_kind:     hidden_remainder_y
      - .offset:         3174
        .size:           2
        .value_kind:     hidden_remainder_z
      - .offset:         3192
        .size:           8
        .value_kind:     hidden_global_offset_x
      - .offset:         3200
        .size:           8
        .value_kind:     hidden_global_offset_y
      - .offset:         3208
        .size:           8
        .value_kind:     hidden_global_offset_z
      - .offset:         3216
        .size:           2
        .value_kind:     hidden_grid_dims
    .group_segment_fixed_size: 0
    .kernarg_segment_align: 8
    .kernarg_segment_size: 3408
    .language:       OpenCL C
    .language_version:
      - 2
      - 0
    .max_flat_workgroup_size: 512
    .name:           _ZN2at6native12_GLOBAL__N_125multi_tensor_apply_kernelINS1_18TensorListMetadataILi3EEENS1_32PointwiseOpScalar0dTensorFunctorIN3c104HalfELi3ELi2ELi0EEEJSt10multipliesIfEfEEEvT_T0_DpT1_
    .private_segment_fixed_size: 0
    .sgpr_count:     33
    .sgpr_spill_count: 0
    .symbol:         _ZN2at6native12_GLOBAL__N_125multi_tensor_apply_kernelINS1_18TensorListMetadataILi3EEENS1_32PointwiseOpScalar0dTensorFunctorIN3c104HalfELi3ELi2ELi0EEEJSt10multipliesIfEfEEEvT_T0_DpT1_.kd
    .uniform_work_group_size: 1
    .uses_dynamic_stack: false
    .vgpr_count:     38
    .vgpr_spill_count: 0
    .wavefront_size: 64
  - .agpr_count:     0
    .args:
      - .offset:         0
        .size:           3144
        .value_kind:     by_value
      - .offset:         3144
        .size:           1
        .value_kind:     by_value
      - .offset:         3145
        .size:           1
        .value_kind:     by_value
      - .offset:         3148
        .size:           4
        .value_kind:     by_value
      - .offset:         3152
        .size:           4
        .value_kind:     hidden_block_count_x
      - .offset:         3156
        .size:           4
        .value_kind:     hidden_block_count_y
      - .offset:         3160
        .size:           4
        .value_kind:     hidden_block_count_z
      - .offset:         3164
        .size:           2
        .value_kind:     hidden_group_size_x
      - .offset:         3166
        .size:           2
        .value_kind:     hidden_group_size_y
      - .offset:         3168
        .size:           2
        .value_kind:     hidden_group_size_z
      - .offset:         3170
        .size:           2
        .value_kind:     hidden_remainder_x
      - .offset:         3172
        .size:           2
        .value_kind:     hidden_remainder_y
      - .offset:         3174
        .size:           2
        .value_kind:     hidden_remainder_z
      - .offset:         3192
        .size:           8
        .value_kind:     hidden_global_offset_x
      - .offset:         3200
        .size:           8
        .value_kind:     hidden_global_offset_y
      - .offset:         3208
        .size:           8
        .value_kind:     hidden_global_offset_z
      - .offset:         3216
        .size:           2
        .value_kind:     hidden_grid_dims
    .group_segment_fixed_size: 0
    .kernarg_segment_align: 8
    .kernarg_segment_size: 3408
    .language:       OpenCL C
    .language_version:
      - 2
      - 0
    .max_flat_workgroup_size: 512
    .name:           _ZN2at6native12_GLOBAL__N_125multi_tensor_apply_kernelINS1_18TensorListMetadataILi3EEENS1_32PointwiseOpScalar0dTensorFunctorIN3c108BFloat16ELi3ELi2ELi0EEEJSt10multipliesIfEfEEEvT_T0_DpT1_
    .private_segment_fixed_size: 0
    .sgpr_count:     32
    .sgpr_spill_count: 0
    .symbol:         _ZN2at6native12_GLOBAL__N_125multi_tensor_apply_kernelINS1_18TensorListMetadataILi3EEENS1_32PointwiseOpScalar0dTensorFunctorIN3c108BFloat16ELi3ELi2ELi0EEEJSt10multipliesIfEfEEEvT_T0_DpT1_.kd
    .uniform_work_group_size: 1
    .uses_dynamic_stack: false
    .vgpr_count:     36
    .vgpr_spill_count: 0
    .wavefront_size: 64
  - .agpr_count:     0
    .args:
      - .offset:         0
        .size:           3048
        .value_kind:     by_value
      - .offset:         3048
        .size:           1
        .value_kind:     by_value
      - .offset:         3049
        .size:           1
        .value_kind:     by_value
      - .offset:         3050
        .size:           1
        .value_kind:     by_value
      - .offset:         3056
        .size:           4
        .value_kind:     hidden_block_count_x
      - .offset:         3060
        .size:           4
        .value_kind:     hidden_block_count_y
      - .offset:         3064
        .size:           4
        .value_kind:     hidden_block_count_z
      - .offset:         3068
        .size:           2
        .value_kind:     hidden_group_size_x
      - .offset:         3070
        .size:           2
        .value_kind:     hidden_group_size_y
      - .offset:         3072
        .size:           2
        .value_kind:     hidden_group_size_z
      - .offset:         3074
        .size:           2
        .value_kind:     hidden_remainder_x
      - .offset:         3076
        .size:           2
        .value_kind:     hidden_remainder_y
      - .offset:         3078
        .size:           2
        .value_kind:     hidden_remainder_z
      - .offset:         3096
        .size:           8
        .value_kind:     hidden_global_offset_x
      - .offset:         3104
        .size:           8
        .value_kind:     hidden_global_offset_y
      - .offset:         3112
        .size:           8
        .value_kind:     hidden_global_offset_z
      - .offset:         3120
        .size:           2
        .value_kind:     hidden_grid_dims
    .group_segment_fixed_size: 0
    .kernarg_segment_align: 8
    .kernarg_segment_size: 3312
    .language:       OpenCL C
    .language_version:
      - 2
      - 0
    .max_flat_workgroup_size: 512
    .name:           _ZN2at6native12_GLOBAL__N_125multi_tensor_apply_kernelINS1_18TensorListMetadataILi4EEENS1_24PointwiseOpScalarFunctorIhLi4ELi3ELi3EEEJSt7dividesIhEhEEEvT_T0_DpT1_
    .private_segment_fixed_size: 0
    .sgpr_count:     34
    .sgpr_spill_count: 0
    .symbol:         _ZN2at6native12_GLOBAL__N_125multi_tensor_apply_kernelINS1_18TensorListMetadataILi4EEENS1_24PointwiseOpScalarFunctorIhLi4ELi3ELi3EEEJSt7dividesIhEhEEEvT_T0_DpT1_.kd
    .uniform_work_group_size: 1
    .uses_dynamic_stack: false
    .vgpr_count:     55
    .vgpr_spill_count: 0
    .wavefront_size: 64
  - .agpr_count:     0
    .args:
      - .offset:         0
        .size:           3048
        .value_kind:     by_value
      - .offset:         3048
        .size:           1
        .value_kind:     by_value
      - .offset:         3049
        .size:           1
        .value_kind:     by_value
      - .offset:         3050
        .size:           1
        .value_kind:     by_value
      - .offset:         3056
        .size:           4
        .value_kind:     hidden_block_count_x
      - .offset:         3060
        .size:           4
        .value_kind:     hidden_block_count_y
      - .offset:         3064
        .size:           4
        .value_kind:     hidden_block_count_z
      - .offset:         3068
        .size:           2
        .value_kind:     hidden_group_size_x
      - .offset:         3070
        .size:           2
        .value_kind:     hidden_group_size_y
      - .offset:         3072
        .size:           2
        .value_kind:     hidden_group_size_z
      - .offset:         3074
        .size:           2
        .value_kind:     hidden_remainder_x
      - .offset:         3076
        .size:           2
        .value_kind:     hidden_remainder_y
      - .offset:         3078
        .size:           2
        .value_kind:     hidden_remainder_z
      - .offset:         3096
        .size:           8
        .value_kind:     hidden_global_offset_x
      - .offset:         3104
        .size:           8
        .value_kind:     hidden_global_offset_y
      - .offset:         3112
        .size:           8
        .value_kind:     hidden_global_offset_z
      - .offset:         3120
        .size:           2
        .value_kind:     hidden_grid_dims
    .group_segment_fixed_size: 0
    .kernarg_segment_align: 8
    .kernarg_segment_size: 3312
    .language:       OpenCL C
    .language_version:
      - 2
      - 0
    .max_flat_workgroup_size: 512
    .name:           _ZN2at6native12_GLOBAL__N_125multi_tensor_apply_kernelINS1_18TensorListMetadataILi4EEENS1_24PointwiseOpScalarFunctorIaLi4ELi3ELi3EEEJSt7dividesIaEaEEEvT_T0_DpT1_
    .private_segment_fixed_size: 0
    .sgpr_count:     34
    .sgpr_spill_count: 0
    .symbol:         _ZN2at6native12_GLOBAL__N_125multi_tensor_apply_kernelINS1_18TensorListMetadataILi4EEENS1_24PointwiseOpScalarFunctorIaLi4ELi3ELi3EEEJSt7dividesIaEaEEEvT_T0_DpT1_.kd
    .uniform_work_group_size: 1
    .uses_dynamic_stack: false
    .vgpr_count:     55
    .vgpr_spill_count: 0
    .wavefront_size: 64
  - .agpr_count:     0
    .args:
      - .offset:         0
        .size:           3048
        .value_kind:     by_value
      - .offset:         3048
        .size:           1
        .value_kind:     by_value
      - .offset:         3049
        .size:           1
        .value_kind:     by_value
      - .offset:         3052
        .size:           4
        .value_kind:     by_value
      - .offset:         3056
        .size:           4
        .value_kind:     hidden_block_count_x
      - .offset:         3060
        .size:           4
        .value_kind:     hidden_block_count_y
      - .offset:         3064
        .size:           4
        .value_kind:     hidden_block_count_z
      - .offset:         3068
        .size:           2
        .value_kind:     hidden_group_size_x
      - .offset:         3070
        .size:           2
        .value_kind:     hidden_group_size_y
      - .offset:         3072
        .size:           2
        .value_kind:     hidden_group_size_z
      - .offset:         3074
        .size:           2
        .value_kind:     hidden_remainder_x
      - .offset:         3076
        .size:           2
        .value_kind:     hidden_remainder_y
      - .offset:         3078
        .size:           2
        .value_kind:     hidden_remainder_z
      - .offset:         3096
        .size:           8
        .value_kind:     hidden_global_offset_x
      - .offset:         3104
        .size:           8
        .value_kind:     hidden_global_offset_y
      - .offset:         3112
        .size:           8
        .value_kind:     hidden_global_offset_z
      - .offset:         3120
        .size:           2
        .value_kind:     hidden_grid_dims
    .group_segment_fixed_size: 0
    .kernarg_segment_align: 8
    .kernarg_segment_size: 3312
    .language:       OpenCL C
    .language_version:
      - 2
      - 0
    .max_flat_workgroup_size: 512
    .name:           _ZN2at6native12_GLOBAL__N_125multi_tensor_apply_kernelINS1_18TensorListMetadataILi4EEENS1_24PointwiseOpScalarFunctorIiLi4ELi3ELi3EEEJSt7dividesIiEiEEEvT_T0_DpT1_
    .private_segment_fixed_size: 0
    .sgpr_count:     36
    .sgpr_spill_count: 0
    .symbol:         _ZN2at6native12_GLOBAL__N_125multi_tensor_apply_kernelINS1_18TensorListMetadataILi4EEENS1_24PointwiseOpScalarFunctorIiLi4ELi3ELi3EEEJSt7dividesIiEiEEEvT_T0_DpT1_.kd
    .uniform_work_group_size: 1
    .uses_dynamic_stack: false
    .vgpr_count:     56
    .vgpr_spill_count: 0
    .wavefront_size: 64
  - .agpr_count:     0
    .args:
      - .offset:         0
        .size:           3048
        .value_kind:     by_value
      - .offset:         3048
        .size:           1
        .value_kind:     by_value
      - .offset:         3049
        .size:           1
        .value_kind:     by_value
      - .offset:         3056
        .size:           8
        .value_kind:     by_value
      - .offset:         3064
        .size:           4
        .value_kind:     hidden_block_count_x
      - .offset:         3068
        .size:           4
        .value_kind:     hidden_block_count_y
      - .offset:         3072
        .size:           4
        .value_kind:     hidden_block_count_z
      - .offset:         3076
        .size:           2
        .value_kind:     hidden_group_size_x
      - .offset:         3078
        .size:           2
        .value_kind:     hidden_group_size_y
      - .offset:         3080
        .size:           2
        .value_kind:     hidden_group_size_z
      - .offset:         3082
        .size:           2
        .value_kind:     hidden_remainder_x
      - .offset:         3084
        .size:           2
        .value_kind:     hidden_remainder_y
      - .offset:         3086
        .size:           2
        .value_kind:     hidden_remainder_z
      - .offset:         3104
        .size:           8
        .value_kind:     hidden_global_offset_x
      - .offset:         3112
        .size:           8
        .value_kind:     hidden_global_offset_y
      - .offset:         3120
        .size:           8
        .value_kind:     hidden_global_offset_z
      - .offset:         3128
        .size:           2
        .value_kind:     hidden_grid_dims
    .group_segment_fixed_size: 0
    .kernarg_segment_align: 8
    .kernarg_segment_size: 3320
    .language:       OpenCL C
    .language_version:
      - 2
      - 0
    .max_flat_workgroup_size: 512
    .name:           _ZN2at6native12_GLOBAL__N_125multi_tensor_apply_kernelINS1_18TensorListMetadataILi4EEENS1_24PointwiseOpScalarFunctorIlLi4ELi3ELi3EEEJSt7dividesIlElEEEvT_T0_DpT1_
    .private_segment_fixed_size: 0
    .sgpr_count:     40
    .sgpr_spill_count: 0
    .symbol:         _ZN2at6native12_GLOBAL__N_125multi_tensor_apply_kernelINS1_18TensorListMetadataILi4EEENS1_24PointwiseOpScalarFunctorIlLi4ELi3ELi3EEEJSt7dividesIlElEEEvT_T0_DpT1_.kd
    .uniform_work_group_size: 1
    .uses_dynamic_stack: false
    .vgpr_count:     75
    .vgpr_spill_count: 0
    .wavefront_size: 64
  - .agpr_count:     0
    .args:
      - .offset:         0
        .size:           3048
        .value_kind:     by_value
      - .offset:         3048
        .size:           1
        .value_kind:     by_value
      - .offset:         3049
        .size:           1
        .value_kind:     by_value
      - .offset:         3050
        .size:           2
        .value_kind:     by_value
      - .offset:         3056
        .size:           4
        .value_kind:     hidden_block_count_x
      - .offset:         3060
        .size:           4
        .value_kind:     hidden_block_count_y
      - .offset:         3064
        .size:           4
        .value_kind:     hidden_block_count_z
      - .offset:         3068
        .size:           2
        .value_kind:     hidden_group_size_x
      - .offset:         3070
        .size:           2
        .value_kind:     hidden_group_size_y
      - .offset:         3072
        .size:           2
        .value_kind:     hidden_group_size_z
      - .offset:         3074
        .size:           2
        .value_kind:     hidden_remainder_x
      - .offset:         3076
        .size:           2
        .value_kind:     hidden_remainder_y
      - .offset:         3078
        .size:           2
        .value_kind:     hidden_remainder_z
      - .offset:         3096
        .size:           8
        .value_kind:     hidden_global_offset_x
      - .offset:         3104
        .size:           8
        .value_kind:     hidden_global_offset_y
      - .offset:         3112
        .size:           8
        .value_kind:     hidden_global_offset_z
      - .offset:         3120
        .size:           2
        .value_kind:     hidden_grid_dims
    .group_segment_fixed_size: 0
    .kernarg_segment_align: 8
    .kernarg_segment_size: 3312
    .language:       OpenCL C
    .language_version:
      - 2
      - 0
    .max_flat_workgroup_size: 512
    .name:           _ZN2at6native12_GLOBAL__N_125multi_tensor_apply_kernelINS1_18TensorListMetadataILi4EEENS1_24PointwiseOpScalarFunctorIsLi4ELi3ELi3EEEJSt7dividesIsEsEEEvT_T0_DpT1_
    .private_segment_fixed_size: 0
    .sgpr_count:     36
    .sgpr_spill_count: 0
    .symbol:         _ZN2at6native12_GLOBAL__N_125multi_tensor_apply_kernelINS1_18TensorListMetadataILi4EEENS1_24PointwiseOpScalarFunctorIsLi4ELi3ELi3EEEJSt7dividesIsEsEEEvT_T0_DpT1_.kd
    .uniform_work_group_size: 1
    .uses_dynamic_stack: false
    .vgpr_count:     55
    .vgpr_spill_count: 0
    .wavefront_size: 64
  - .agpr_count:     0
    .args:
      - .offset:         0
        .size:           3048
        .value_kind:     by_value
      - .offset:         3048
        .size:           1
        .value_kind:     by_value
      - .offset:         3049
        .size:           1
        .value_kind:     by_value
      - .offset:         3056
        .size:           8
        .value_kind:     by_value
      - .offset:         3064
        .size:           4
        .value_kind:     hidden_block_count_x
      - .offset:         3068
        .size:           4
        .value_kind:     hidden_block_count_y
      - .offset:         3072
        .size:           4
        .value_kind:     hidden_block_count_z
      - .offset:         3076
        .size:           2
        .value_kind:     hidden_group_size_x
      - .offset:         3078
        .size:           2
        .value_kind:     hidden_group_size_y
      - .offset:         3080
        .size:           2
        .value_kind:     hidden_group_size_z
      - .offset:         3082
        .size:           2
        .value_kind:     hidden_remainder_x
      - .offset:         3084
        .size:           2
        .value_kind:     hidden_remainder_y
      - .offset:         3086
        .size:           2
        .value_kind:     hidden_remainder_z
      - .offset:         3104
        .size:           8
        .value_kind:     hidden_global_offset_x
      - .offset:         3112
        .size:           8
        .value_kind:     hidden_global_offset_y
      - .offset:         3120
        .size:           8
        .value_kind:     hidden_global_offset_z
      - .offset:         3128
        .size:           2
        .value_kind:     hidden_grid_dims
    .group_segment_fixed_size: 0
    .kernarg_segment_align: 8
    .kernarg_segment_size: 3320
    .language:       OpenCL C
    .language_version:
      - 2
      - 0
    .max_flat_workgroup_size: 512
    .name:           _ZN2at6native12_GLOBAL__N_125multi_tensor_apply_kernelINS1_18TensorListMetadataILi4EEENS1_24PointwiseOpScalarFunctorIdLi4ELi3ELi3EEEJSt7dividesIdEdEEEvT_T0_DpT1_
    .private_segment_fixed_size: 0
    .sgpr_count:     41
    .sgpr_spill_count: 0
    .symbol:         _ZN2at6native12_GLOBAL__N_125multi_tensor_apply_kernelINS1_18TensorListMetadataILi4EEENS1_24PointwiseOpScalarFunctorIdLi4ELi3ELi3EEEJSt7dividesIdEdEEEvT_T0_DpT1_.kd
    .uniform_work_group_size: 1
    .uses_dynamic_stack: false
    .vgpr_count:     74
    .vgpr_spill_count: 0
    .wavefront_size: 64
  - .agpr_count:     0
    .args:
      - .offset:         0
        .size:           3048
        .value_kind:     by_value
      - .offset:         3048
        .size:           1
        .value_kind:     by_value
      - .offset:         3049
        .size:           1
        .value_kind:     by_value
      - .offset:         3052
        .size:           4
        .value_kind:     by_value
      - .offset:         3056
        .size:           4
        .value_kind:     hidden_block_count_x
      - .offset:         3060
        .size:           4
        .value_kind:     hidden_block_count_y
      - .offset:         3064
        .size:           4
        .value_kind:     hidden_block_count_z
      - .offset:         3068
        .size:           2
        .value_kind:     hidden_group_size_x
      - .offset:         3070
        .size:           2
        .value_kind:     hidden_group_size_y
      - .offset:         3072
        .size:           2
        .value_kind:     hidden_group_size_z
      - .offset:         3074
        .size:           2
        .value_kind:     hidden_remainder_x
      - .offset:         3076
        .size:           2
        .value_kind:     hidden_remainder_y
      - .offset:         3078
        .size:           2
        .value_kind:     hidden_remainder_z
      - .offset:         3096
        .size:           8
        .value_kind:     hidden_global_offset_x
      - .offset:         3104
        .size:           8
        .value_kind:     hidden_global_offset_y
      - .offset:         3112
        .size:           8
        .value_kind:     hidden_global_offset_z
      - .offset:         3120
        .size:           2
        .value_kind:     hidden_grid_dims
    .group_segment_fixed_size: 0
    .kernarg_segment_align: 8
    .kernarg_segment_size: 3312
    .language:       OpenCL C
    .language_version:
      - 2
      - 0
    .max_flat_workgroup_size: 512
    .name:           _ZN2at6native12_GLOBAL__N_125multi_tensor_apply_kernelINS1_18TensorListMetadataILi4EEENS1_24PointwiseOpScalarFunctorIfLi4ELi3ELi3EEEJSt7dividesIfEfEEEvT_T0_DpT1_
    .private_segment_fixed_size: 0
    .sgpr_count:     39
    .sgpr_spill_count: 0
    .symbol:         _ZN2at6native12_GLOBAL__N_125multi_tensor_apply_kernelINS1_18TensorListMetadataILi4EEENS1_24PointwiseOpScalarFunctorIfLi4ELi3ELi3EEEJSt7dividesIfEfEEEvT_T0_DpT1_.kd
    .uniform_work_group_size: 1
    .uses_dynamic_stack: false
    .vgpr_count:     58
    .vgpr_spill_count: 0
    .wavefront_size: 64
  - .agpr_count:     0
    .args:
      - .offset:         0
        .size:           3048
        .value_kind:     by_value
      - .offset:         3048
        .size:           1
        .value_kind:     by_value
      - .offset:         3049
        .size:           1
        .value_kind:     by_value
      - .offset:         3056
        .size:           16
        .value_kind:     by_value
      - .offset:         3072
        .size:           4
        .value_kind:     hidden_block_count_x
      - .offset:         3076
        .size:           4
        .value_kind:     hidden_block_count_y
      - .offset:         3080
        .size:           4
        .value_kind:     hidden_block_count_z
      - .offset:         3084
        .size:           2
        .value_kind:     hidden_group_size_x
      - .offset:         3086
        .size:           2
        .value_kind:     hidden_group_size_y
      - .offset:         3088
        .size:           2
        .value_kind:     hidden_group_size_z
      - .offset:         3090
        .size:           2
        .value_kind:     hidden_remainder_x
      - .offset:         3092
        .size:           2
        .value_kind:     hidden_remainder_y
      - .offset:         3094
        .size:           2
        .value_kind:     hidden_remainder_z
      - .offset:         3112
        .size:           8
        .value_kind:     hidden_global_offset_x
      - .offset:         3120
        .size:           8
        .value_kind:     hidden_global_offset_y
      - .offset:         3128
        .size:           8
        .value_kind:     hidden_global_offset_z
      - .offset:         3136
        .size:           2
        .value_kind:     hidden_grid_dims
    .group_segment_fixed_size: 0
    .kernarg_segment_align: 16
    .kernarg_segment_size: 3328
    .language:       OpenCL C
    .language_version:
      - 2
      - 0
    .max_flat_workgroup_size: 512
    .name:           _ZN2at6native12_GLOBAL__N_125multi_tensor_apply_kernelINS1_18TensorListMetadataILi4EEENS1_24PointwiseOpScalarFunctorIN3c107complexIdEELi4ELi3ELi3EEEJSt7dividesIS8_ES8_EEEvT_T0_DpT1_
    .private_segment_fixed_size: 0
    .sgpr_count:     58
    .sgpr_spill_count: 0
    .symbol:         _ZN2at6native12_GLOBAL__N_125multi_tensor_apply_kernelINS1_18TensorListMetadataILi4EEENS1_24PointwiseOpScalarFunctorIN3c107complexIdEELi4ELi3ELi3EEEJSt7dividesIS8_ES8_EEEvT_T0_DpT1_.kd
    .uniform_work_group_size: 1
    .uses_dynamic_stack: false
    .vgpr_count:     100
    .vgpr_spill_count: 0
    .wavefront_size: 64
  - .agpr_count:     0
    .args:
      - .offset:         0
        .size:           3048
        .value_kind:     by_value
      - .offset:         3048
        .size:           1
        .value_kind:     by_value
      - .offset:         3049
        .size:           1
        .value_kind:     by_value
      - .offset:         3056
        .size:           8
        .value_kind:     by_value
      - .offset:         3064
        .size:           4
        .value_kind:     hidden_block_count_x
      - .offset:         3068
        .size:           4
        .value_kind:     hidden_block_count_y
      - .offset:         3072
        .size:           4
        .value_kind:     hidden_block_count_z
      - .offset:         3076
        .size:           2
        .value_kind:     hidden_group_size_x
      - .offset:         3078
        .size:           2
        .value_kind:     hidden_group_size_y
      - .offset:         3080
        .size:           2
        .value_kind:     hidden_group_size_z
      - .offset:         3082
        .size:           2
        .value_kind:     hidden_remainder_x
      - .offset:         3084
        .size:           2
        .value_kind:     hidden_remainder_y
      - .offset:         3086
        .size:           2
        .value_kind:     hidden_remainder_z
      - .offset:         3104
        .size:           8
        .value_kind:     hidden_global_offset_x
      - .offset:         3112
        .size:           8
        .value_kind:     hidden_global_offset_y
      - .offset:         3120
        .size:           8
        .value_kind:     hidden_global_offset_z
      - .offset:         3128
        .size:           2
        .value_kind:     hidden_grid_dims
    .group_segment_fixed_size: 0
    .kernarg_segment_align: 8
    .kernarg_segment_size: 3320
    .language:       OpenCL C
    .language_version:
      - 2
      - 0
    .max_flat_workgroup_size: 512
    .name:           _ZN2at6native12_GLOBAL__N_125multi_tensor_apply_kernelINS1_18TensorListMetadataILi4EEENS1_24PointwiseOpScalarFunctorIN3c107complexIfEELi4ELi3ELi3EEEJSt7dividesIS8_ES8_EEEvT_T0_DpT1_
    .private_segment_fixed_size: 0
    .sgpr_count:     58
    .sgpr_spill_count: 0
    .symbol:         _ZN2at6native12_GLOBAL__N_125multi_tensor_apply_kernelINS1_18TensorListMetadataILi4EEENS1_24PointwiseOpScalarFunctorIN3c107complexIfEELi4ELi3ELi3EEEJSt7dividesIS8_ES8_EEEvT_T0_DpT1_.kd
    .uniform_work_group_size: 1
    .uses_dynamic_stack: false
    .vgpr_count:     68
    .vgpr_spill_count: 0
    .wavefront_size: 64
  - .agpr_count:     0
    .args:
      - .offset:         0
        .size:           3048
        .value_kind:     by_value
      - .offset:         3048
        .size:           1
        .value_kind:     by_value
      - .offset:         3049
        .size:           1
        .value_kind:     by_value
      - .offset:         3052
        .size:           4
        .value_kind:     by_value
      - .offset:         3056
        .size:           4
        .value_kind:     hidden_block_count_x
      - .offset:         3060
        .size:           4
        .value_kind:     hidden_block_count_y
      - .offset:         3064
        .size:           4
        .value_kind:     hidden_block_count_z
      - .offset:         3068
        .size:           2
        .value_kind:     hidden_group_size_x
      - .offset:         3070
        .size:           2
        .value_kind:     hidden_group_size_y
      - .offset:         3072
        .size:           2
        .value_kind:     hidden_group_size_z
      - .offset:         3074
        .size:           2
        .value_kind:     hidden_remainder_x
      - .offset:         3076
        .size:           2
        .value_kind:     hidden_remainder_y
      - .offset:         3078
        .size:           2
        .value_kind:     hidden_remainder_z
      - .offset:         3096
        .size:           8
        .value_kind:     hidden_global_offset_x
      - .offset:         3104
        .size:           8
        .value_kind:     hidden_global_offset_y
      - .offset:         3112
        .size:           8
        .value_kind:     hidden_global_offset_z
      - .offset:         3120
        .size:           2
        .value_kind:     hidden_grid_dims
    .group_segment_fixed_size: 0
    .kernarg_segment_align: 8
    .kernarg_segment_size: 3312
    .language:       OpenCL C
    .language_version:
      - 2
      - 0
    .max_flat_workgroup_size: 512
    .name:           _ZN2at6native12_GLOBAL__N_125multi_tensor_apply_kernelINS1_18TensorListMetadataILi4EEENS1_24PointwiseOpScalarFunctorIN3c104HalfELi4ELi3ELi3EEEJSt7dividesIfEfEEEvT_T0_DpT1_
    .private_segment_fixed_size: 0
    .sgpr_count:     39
    .sgpr_spill_count: 0
    .symbol:         _ZN2at6native12_GLOBAL__N_125multi_tensor_apply_kernelINS1_18TensorListMetadataILi4EEENS1_24PointwiseOpScalarFunctorIN3c104HalfELi4ELi3ELi3EEEJSt7dividesIfEfEEEvT_T0_DpT1_.kd
    .uniform_work_group_size: 1
    .uses_dynamic_stack: false
    .vgpr_count:     58
    .vgpr_spill_count: 0
    .wavefront_size: 64
  - .agpr_count:     0
    .args:
      - .offset:         0
        .size:           3048
        .value_kind:     by_value
      - .offset:         3048
        .size:           1
        .value_kind:     by_value
      - .offset:         3049
        .size:           1
        .value_kind:     by_value
      - .offset:         3052
        .size:           4
        .value_kind:     by_value
      - .offset:         3056
        .size:           4
        .value_kind:     hidden_block_count_x
      - .offset:         3060
        .size:           4
        .value_kind:     hidden_block_count_y
      - .offset:         3064
        .size:           4
        .value_kind:     hidden_block_count_z
      - .offset:         3068
        .size:           2
        .value_kind:     hidden_group_size_x
      - .offset:         3070
        .size:           2
        .value_kind:     hidden_group_size_y
      - .offset:         3072
        .size:           2
        .value_kind:     hidden_group_size_z
      - .offset:         3074
        .size:           2
        .value_kind:     hidden_remainder_x
      - .offset:         3076
        .size:           2
        .value_kind:     hidden_remainder_y
      - .offset:         3078
        .size:           2
        .value_kind:     hidden_remainder_z
      - .offset:         3096
        .size:           8
        .value_kind:     hidden_global_offset_x
      - .offset:         3104
        .size:           8
        .value_kind:     hidden_global_offset_y
      - .offset:         3112
        .size:           8
        .value_kind:     hidden_global_offset_z
      - .offset:         3120
        .size:           2
        .value_kind:     hidden_grid_dims
    .group_segment_fixed_size: 0
    .kernarg_segment_align: 8
    .kernarg_segment_size: 3312
    .language:       OpenCL C
    .language_version:
      - 2
      - 0
    .max_flat_workgroup_size: 512
    .name:           _ZN2at6native12_GLOBAL__N_125multi_tensor_apply_kernelINS1_18TensorListMetadataILi4EEENS1_24PointwiseOpScalarFunctorIN3c108BFloat16ELi4ELi3ELi3EEEJSt7dividesIfEfEEEvT_T0_DpT1_
    .private_segment_fixed_size: 0
    .sgpr_count:     40
    .sgpr_spill_count: 0
    .symbol:         _ZN2at6native12_GLOBAL__N_125multi_tensor_apply_kernelINS1_18TensorListMetadataILi4EEENS1_24PointwiseOpScalarFunctorIN3c108BFloat16ELi4ELi3ELi3EEEJSt7dividesIfEfEEEvT_T0_DpT1_.kd
    .uniform_work_group_size: 1
    .uses_dynamic_stack: false
    .vgpr_count:     57
    .vgpr_spill_count: 0
    .wavefront_size: 64
  - .agpr_count:     0
    .args:
      - .offset:         0
        .size:           3048
        .value_kind:     by_value
      - .offset:         3048
        .size:           1
        .value_kind:     by_value
      - .offset:         3049
        .size:           1
        .value_kind:     by_value
      - .offset:         3050
        .size:           1
        .value_kind:     by_value
      - .offset:         3056
        .size:           4
        .value_kind:     hidden_block_count_x
      - .offset:         3060
        .size:           4
        .value_kind:     hidden_block_count_y
      - .offset:         3064
        .size:           4
        .value_kind:     hidden_block_count_z
      - .offset:         3068
        .size:           2
        .value_kind:     hidden_group_size_x
      - .offset:         3070
        .size:           2
        .value_kind:     hidden_group_size_y
      - .offset:         3072
        .size:           2
        .value_kind:     hidden_group_size_z
      - .offset:         3074
        .size:           2
        .value_kind:     hidden_remainder_x
      - .offset:         3076
        .size:           2
        .value_kind:     hidden_remainder_y
      - .offset:         3078
        .size:           2
        .value_kind:     hidden_remainder_z
      - .offset:         3096
        .size:           8
        .value_kind:     hidden_global_offset_x
      - .offset:         3104
        .size:           8
        .value_kind:     hidden_global_offset_y
      - .offset:         3112
        .size:           8
        .value_kind:     hidden_global_offset_z
      - .offset:         3120
        .size:           2
        .value_kind:     hidden_grid_dims
    .group_segment_fixed_size: 0
    .kernarg_segment_align: 8
    .kernarg_segment_size: 3312
    .language:       OpenCL C
    .language_version:
      - 2
      - 0
    .max_flat_workgroup_size: 512
    .name:           _ZN2at6native12_GLOBAL__N_125multi_tensor_apply_kernelINS1_18TensorListMetadataILi4EEENS1_32PointwiseOpScalar0dTensorFunctorIhLi4ELi2ELi3EEEJSt7dividesIhEhEEEvT_T0_DpT1_
    .private_segment_fixed_size: 0
    .sgpr_count:     35
    .sgpr_spill_count: 0
    .symbol:         _ZN2at6native12_GLOBAL__N_125multi_tensor_apply_kernelINS1_18TensorListMetadataILi4EEENS1_32PointwiseOpScalar0dTensorFunctorIhLi4ELi2ELi3EEEJSt7dividesIhEhEEEvT_T0_DpT1_.kd
    .uniform_work_group_size: 1
    .uses_dynamic_stack: false
    .vgpr_count:     48
    .vgpr_spill_count: 0
    .wavefront_size: 64
  - .agpr_count:     0
    .args:
      - .offset:         0
        .size:           3048
        .value_kind:     by_value
      - .offset:         3048
        .size:           1
        .value_kind:     by_value
      - .offset:         3049
        .size:           1
        .value_kind:     by_value
      - .offset:         3050
        .size:           1
        .value_kind:     by_value
      - .offset:         3056
        .size:           4
        .value_kind:     hidden_block_count_x
      - .offset:         3060
        .size:           4
        .value_kind:     hidden_block_count_y
      - .offset:         3064
        .size:           4
        .value_kind:     hidden_block_count_z
      - .offset:         3068
        .size:           2
        .value_kind:     hidden_group_size_x
      - .offset:         3070
        .size:           2
        .value_kind:     hidden_group_size_y
      - .offset:         3072
        .size:           2
        .value_kind:     hidden_group_size_z
      - .offset:         3074
        .size:           2
        .value_kind:     hidden_remainder_x
      - .offset:         3076
        .size:           2
        .value_kind:     hidden_remainder_y
      - .offset:         3078
        .size:           2
        .value_kind:     hidden_remainder_z
      - .offset:         3096
        .size:           8
        .value_kind:     hidden_global_offset_x
      - .offset:         3104
        .size:           8
        .value_kind:     hidden_global_offset_y
      - .offset:         3112
        .size:           8
        .value_kind:     hidden_global_offset_z
      - .offset:         3120
        .size:           2
        .value_kind:     hidden_grid_dims
    .group_segment_fixed_size: 0
    .kernarg_segment_align: 8
    .kernarg_segment_size: 3312
    .language:       OpenCL C
    .language_version:
      - 2
      - 0
    .max_flat_workgroup_size: 512
    .name:           _ZN2at6native12_GLOBAL__N_125multi_tensor_apply_kernelINS1_18TensorListMetadataILi4EEENS1_32PointwiseOpScalar0dTensorFunctorIaLi4ELi2ELi3EEEJSt7dividesIaEaEEEvT_T0_DpT1_
    .private_segment_fixed_size: 0
    .sgpr_count:     31
    .sgpr_spill_count: 0
    .symbol:         _ZN2at6native12_GLOBAL__N_125multi_tensor_apply_kernelINS1_18TensorListMetadataILi4EEENS1_32PointwiseOpScalar0dTensorFunctorIaLi4ELi2ELi3EEEJSt7dividesIaEaEEEvT_T0_DpT1_.kd
    .uniform_work_group_size: 1
    .uses_dynamic_stack: false
    .vgpr_count:     49
    .vgpr_spill_count: 0
    .wavefront_size: 64
  - .agpr_count:     0
    .args:
      - .offset:         0
        .size:           3048
        .value_kind:     by_value
      - .offset:         3048
        .size:           1
        .value_kind:     by_value
      - .offset:         3049
        .size:           1
        .value_kind:     by_value
      - .offset:         3052
        .size:           4
        .value_kind:     by_value
      - .offset:         3056
        .size:           4
        .value_kind:     hidden_block_count_x
      - .offset:         3060
        .size:           4
        .value_kind:     hidden_block_count_y
      - .offset:         3064
        .size:           4
        .value_kind:     hidden_block_count_z
      - .offset:         3068
        .size:           2
        .value_kind:     hidden_group_size_x
      - .offset:         3070
        .size:           2
        .value_kind:     hidden_group_size_y
      - .offset:         3072
        .size:           2
        .value_kind:     hidden_group_size_z
      - .offset:         3074
        .size:           2
        .value_kind:     hidden_remainder_x
      - .offset:         3076
        .size:           2
        .value_kind:     hidden_remainder_y
      - .offset:         3078
        .size:           2
        .value_kind:     hidden_remainder_z
      - .offset:         3096
        .size:           8
        .value_kind:     hidden_global_offset_x
      - .offset:         3104
        .size:           8
        .value_kind:     hidden_global_offset_y
      - .offset:         3112
        .size:           8
        .value_kind:     hidden_global_offset_z
      - .offset:         3120
        .size:           2
        .value_kind:     hidden_grid_dims
    .group_segment_fixed_size: 0
    .kernarg_segment_align: 8
    .kernarg_segment_size: 3312
    .language:       OpenCL C
    .language_version:
      - 2
      - 0
    .max_flat_workgroup_size: 512
    .name:           _ZN2at6native12_GLOBAL__N_125multi_tensor_apply_kernelINS1_18TensorListMetadataILi4EEENS1_32PointwiseOpScalar0dTensorFunctorIiLi4ELi2ELi3EEEJSt7dividesIiEiEEEvT_T0_DpT1_
    .private_segment_fixed_size: 0
    .sgpr_count:     38
    .sgpr_spill_count: 0
    .symbol:         _ZN2at6native12_GLOBAL__N_125multi_tensor_apply_kernelINS1_18TensorListMetadataILi4EEENS1_32PointwiseOpScalar0dTensorFunctorIiLi4ELi2ELi3EEEJSt7dividesIiEiEEEvT_T0_DpT1_.kd
    .uniform_work_group_size: 1
    .uses_dynamic_stack: false
    .vgpr_count:     46
    .vgpr_spill_count: 0
    .wavefront_size: 64
  - .agpr_count:     0
    .args:
      - .offset:         0
        .size:           3048
        .value_kind:     by_value
      - .offset:         3048
        .size:           1
        .value_kind:     by_value
      - .offset:         3049
        .size:           1
        .value_kind:     by_value
      - .offset:         3056
        .size:           8
        .value_kind:     by_value
      - .offset:         3064
        .size:           4
        .value_kind:     hidden_block_count_x
      - .offset:         3068
        .size:           4
        .value_kind:     hidden_block_count_y
      - .offset:         3072
        .size:           4
        .value_kind:     hidden_block_count_z
      - .offset:         3076
        .size:           2
        .value_kind:     hidden_group_size_x
      - .offset:         3078
        .size:           2
        .value_kind:     hidden_group_size_y
      - .offset:         3080
        .size:           2
        .value_kind:     hidden_group_size_z
      - .offset:         3082
        .size:           2
        .value_kind:     hidden_remainder_x
      - .offset:         3084
        .size:           2
        .value_kind:     hidden_remainder_y
      - .offset:         3086
        .size:           2
        .value_kind:     hidden_remainder_z
      - .offset:         3104
        .size:           8
        .value_kind:     hidden_global_offset_x
      - .offset:         3112
        .size:           8
        .value_kind:     hidden_global_offset_y
      - .offset:         3120
        .size:           8
        .value_kind:     hidden_global_offset_z
      - .offset:         3128
        .size:           2
        .value_kind:     hidden_grid_dims
    .group_segment_fixed_size: 0
    .kernarg_segment_align: 8
    .kernarg_segment_size: 3320
    .language:       OpenCL C
    .language_version:
      - 2
      - 0
    .max_flat_workgroup_size: 512
    .name:           _ZN2at6native12_GLOBAL__N_125multi_tensor_apply_kernelINS1_18TensorListMetadataILi4EEENS1_32PointwiseOpScalar0dTensorFunctorIlLi4ELi2ELi3EEEJSt7dividesIlElEEEvT_T0_DpT1_
    .private_segment_fixed_size: 0
    .sgpr_count:     44
    .sgpr_spill_count: 0
    .symbol:         _ZN2at6native12_GLOBAL__N_125multi_tensor_apply_kernelINS1_18TensorListMetadataILi4EEENS1_32PointwiseOpScalar0dTensorFunctorIlLi4ELi2ELi3EEEJSt7dividesIlElEEEvT_T0_DpT1_.kd
    .uniform_work_group_size: 1
    .uses_dynamic_stack: false
    .vgpr_count:     60
    .vgpr_spill_count: 0
    .wavefront_size: 64
  - .agpr_count:     0
    .args:
      - .offset:         0
        .size:           3048
        .value_kind:     by_value
      - .offset:         3048
        .size:           1
        .value_kind:     by_value
      - .offset:         3049
        .size:           1
        .value_kind:     by_value
      - .offset:         3050
        .size:           2
        .value_kind:     by_value
      - .offset:         3056
        .size:           4
        .value_kind:     hidden_block_count_x
      - .offset:         3060
        .size:           4
        .value_kind:     hidden_block_count_y
      - .offset:         3064
        .size:           4
        .value_kind:     hidden_block_count_z
      - .offset:         3068
        .size:           2
        .value_kind:     hidden_group_size_x
      - .offset:         3070
        .size:           2
        .value_kind:     hidden_group_size_y
      - .offset:         3072
        .size:           2
        .value_kind:     hidden_group_size_z
      - .offset:         3074
        .size:           2
        .value_kind:     hidden_remainder_x
      - .offset:         3076
        .size:           2
        .value_kind:     hidden_remainder_y
      - .offset:         3078
        .size:           2
        .value_kind:     hidden_remainder_z
      - .offset:         3096
        .size:           8
        .value_kind:     hidden_global_offset_x
      - .offset:         3104
        .size:           8
        .value_kind:     hidden_global_offset_y
      - .offset:         3112
        .size:           8
        .value_kind:     hidden_global_offset_z
      - .offset:         3120
        .size:           2
        .value_kind:     hidden_grid_dims
    .group_segment_fixed_size: 0
    .kernarg_segment_align: 8
    .kernarg_segment_size: 3312
    .language:       OpenCL C
    .language_version:
      - 2
      - 0
    .max_flat_workgroup_size: 512
    .name:           _ZN2at6native12_GLOBAL__N_125multi_tensor_apply_kernelINS1_18TensorListMetadataILi4EEENS1_32PointwiseOpScalar0dTensorFunctorIsLi4ELi2ELi3EEEJSt7dividesIsEsEEEvT_T0_DpT1_
    .private_segment_fixed_size: 0
    .sgpr_count:     30
    .sgpr_spill_count: 0
    .symbol:         _ZN2at6native12_GLOBAL__N_125multi_tensor_apply_kernelINS1_18TensorListMetadataILi4EEENS1_32PointwiseOpScalar0dTensorFunctorIsLi4ELi2ELi3EEEJSt7dividesIsEsEEEvT_T0_DpT1_.kd
    .uniform_work_group_size: 1
    .uses_dynamic_stack: false
    .vgpr_count:     44
    .vgpr_spill_count: 0
    .wavefront_size: 64
  - .agpr_count:     0
    .args:
      - .offset:         0
        .size:           3048
        .value_kind:     by_value
      - .offset:         3048
        .size:           1
        .value_kind:     by_value
      - .offset:         3049
        .size:           1
        .value_kind:     by_value
      - .offset:         3056
        .size:           8
        .value_kind:     by_value
      - .offset:         3064
        .size:           4
        .value_kind:     hidden_block_count_x
      - .offset:         3068
        .size:           4
        .value_kind:     hidden_block_count_y
      - .offset:         3072
        .size:           4
        .value_kind:     hidden_block_count_z
      - .offset:         3076
        .size:           2
        .value_kind:     hidden_group_size_x
      - .offset:         3078
        .size:           2
        .value_kind:     hidden_group_size_y
      - .offset:         3080
        .size:           2
        .value_kind:     hidden_group_size_z
      - .offset:         3082
        .size:           2
        .value_kind:     hidden_remainder_x
      - .offset:         3084
        .size:           2
        .value_kind:     hidden_remainder_y
      - .offset:         3086
        .size:           2
        .value_kind:     hidden_remainder_z
      - .offset:         3104
        .size:           8
        .value_kind:     hidden_global_offset_x
      - .offset:         3112
        .size:           8
        .value_kind:     hidden_global_offset_y
      - .offset:         3120
        .size:           8
        .value_kind:     hidden_global_offset_z
      - .offset:         3128
        .size:           2
        .value_kind:     hidden_grid_dims
    .group_segment_fixed_size: 0
    .kernarg_segment_align: 8
    .kernarg_segment_size: 3320
    .language:       OpenCL C
    .language_version:
      - 2
      - 0
    .max_flat_workgroup_size: 512
    .name:           _ZN2at6native12_GLOBAL__N_125multi_tensor_apply_kernelINS1_18TensorListMetadataILi4EEENS1_32PointwiseOpScalar0dTensorFunctorIdLi4ELi2ELi3EEEJSt7dividesIdEdEEEvT_T0_DpT1_
    .private_segment_fixed_size: 0
    .sgpr_count:     45
    .sgpr_spill_count: 0
    .symbol:         _ZN2at6native12_GLOBAL__N_125multi_tensor_apply_kernelINS1_18TensorListMetadataILi4EEENS1_32PointwiseOpScalar0dTensorFunctorIdLi4ELi2ELi3EEEJSt7dividesIdEdEEEvT_T0_DpT1_.kd
    .uniform_work_group_size: 1
    .uses_dynamic_stack: false
    .vgpr_count:     56
    .vgpr_spill_count: 0
    .wavefront_size: 64
  - .agpr_count:     0
    .args:
      - .offset:         0
        .size:           3048
        .value_kind:     by_value
      - .offset:         3048
        .size:           1
        .value_kind:     by_value
      - .offset:         3049
        .size:           1
        .value_kind:     by_value
      - .offset:         3052
        .size:           4
        .value_kind:     by_value
      - .offset:         3056
        .size:           4
        .value_kind:     hidden_block_count_x
      - .offset:         3060
        .size:           4
        .value_kind:     hidden_block_count_y
      - .offset:         3064
        .size:           4
        .value_kind:     hidden_block_count_z
      - .offset:         3068
        .size:           2
        .value_kind:     hidden_group_size_x
      - .offset:         3070
        .size:           2
        .value_kind:     hidden_group_size_y
      - .offset:         3072
        .size:           2
        .value_kind:     hidden_group_size_z
      - .offset:         3074
        .size:           2
        .value_kind:     hidden_remainder_x
      - .offset:         3076
        .size:           2
        .value_kind:     hidden_remainder_y
      - .offset:         3078
        .size:           2
        .value_kind:     hidden_remainder_z
      - .offset:         3096
        .size:           8
        .value_kind:     hidden_global_offset_x
      - .offset:         3104
        .size:           8
        .value_kind:     hidden_global_offset_y
      - .offset:         3112
        .size:           8
        .value_kind:     hidden_global_offset_z
      - .offset:         3120
        .size:           2
        .value_kind:     hidden_grid_dims
    .group_segment_fixed_size: 0
    .kernarg_segment_align: 8
    .kernarg_segment_size: 3312
    .language:       OpenCL C
    .language_version:
      - 2
      - 0
    .max_flat_workgroup_size: 512
    .name:           _ZN2at6native12_GLOBAL__N_125multi_tensor_apply_kernelINS1_18TensorListMetadataILi4EEENS1_32PointwiseOpScalar0dTensorFunctorIfLi4ELi2ELi3EEEJSt7dividesIfEfEEEvT_T0_DpT1_
    .private_segment_fixed_size: 0
    .sgpr_count:     39
    .sgpr_spill_count: 0
    .symbol:         _ZN2at6native12_GLOBAL__N_125multi_tensor_apply_kernelINS1_18TensorListMetadataILi4EEENS1_32PointwiseOpScalar0dTensorFunctorIfLi4ELi2ELi3EEEJSt7dividesIfEfEEEvT_T0_DpT1_.kd
    .uniform_work_group_size: 1
    .uses_dynamic_stack: false
    .vgpr_count:     45
    .vgpr_spill_count: 0
    .wavefront_size: 64
  - .agpr_count:     0
    .args:
      - .offset:         0
        .size:           3048
        .value_kind:     by_value
      - .offset:         3048
        .size:           1
        .value_kind:     by_value
      - .offset:         3049
        .size:           1
        .value_kind:     by_value
      - .offset:         3056
        .size:           16
        .value_kind:     by_value
      - .offset:         3072
        .size:           4
        .value_kind:     hidden_block_count_x
      - .offset:         3076
        .size:           4
        .value_kind:     hidden_block_count_y
      - .offset:         3080
        .size:           4
        .value_kind:     hidden_block_count_z
      - .offset:         3084
        .size:           2
        .value_kind:     hidden_group_size_x
      - .offset:         3086
        .size:           2
        .value_kind:     hidden_group_size_y
      - .offset:         3088
        .size:           2
        .value_kind:     hidden_group_size_z
      - .offset:         3090
        .size:           2
        .value_kind:     hidden_remainder_x
      - .offset:         3092
        .size:           2
        .value_kind:     hidden_remainder_y
      - .offset:         3094
        .size:           2
        .value_kind:     hidden_remainder_z
      - .offset:         3112
        .size:           8
        .value_kind:     hidden_global_offset_x
      - .offset:         3120
        .size:           8
        .value_kind:     hidden_global_offset_y
      - .offset:         3128
        .size:           8
        .value_kind:     hidden_global_offset_z
      - .offset:         3136
        .size:           2
        .value_kind:     hidden_grid_dims
    .group_segment_fixed_size: 0
    .kernarg_segment_align: 16
    .kernarg_segment_size: 3328
    .language:       OpenCL C
    .language_version:
      - 2
      - 0
    .max_flat_workgroup_size: 512
    .name:           _ZN2at6native12_GLOBAL__N_125multi_tensor_apply_kernelINS1_18TensorListMetadataILi4EEENS1_32PointwiseOpScalar0dTensorFunctorIN3c107complexIdEELi4ELi2ELi3EEEJSt7dividesIS8_ES8_EEEvT_T0_DpT1_
    .private_segment_fixed_size: 0
    .sgpr_count:     52
    .sgpr_spill_count: 0
    .symbol:         _ZN2at6native12_GLOBAL__N_125multi_tensor_apply_kernelINS1_18TensorListMetadataILi4EEENS1_32PointwiseOpScalar0dTensorFunctorIN3c107complexIdEELi4ELi2ELi3EEEJSt7dividesIS8_ES8_EEEvT_T0_DpT1_.kd
    .uniform_work_group_size: 1
    .uses_dynamic_stack: false
    .vgpr_count:     80
    .vgpr_spill_count: 0
    .wavefront_size: 64
  - .agpr_count:     0
    .args:
      - .offset:         0
        .size:           3048
        .value_kind:     by_value
      - .offset:         3048
        .size:           1
        .value_kind:     by_value
      - .offset:         3049
        .size:           1
        .value_kind:     by_value
      - .offset:         3056
        .size:           8
        .value_kind:     by_value
      - .offset:         3064
        .size:           4
        .value_kind:     hidden_block_count_x
      - .offset:         3068
        .size:           4
        .value_kind:     hidden_block_count_y
      - .offset:         3072
        .size:           4
        .value_kind:     hidden_block_count_z
      - .offset:         3076
        .size:           2
        .value_kind:     hidden_group_size_x
      - .offset:         3078
        .size:           2
        .value_kind:     hidden_group_size_y
      - .offset:         3080
        .size:           2
        .value_kind:     hidden_group_size_z
      - .offset:         3082
        .size:           2
        .value_kind:     hidden_remainder_x
      - .offset:         3084
        .size:           2
        .value_kind:     hidden_remainder_y
      - .offset:         3086
        .size:           2
        .value_kind:     hidden_remainder_z
      - .offset:         3104
        .size:           8
        .value_kind:     hidden_global_offset_x
      - .offset:         3112
        .size:           8
        .value_kind:     hidden_global_offset_y
      - .offset:         3120
        .size:           8
        .value_kind:     hidden_global_offset_z
      - .offset:         3128
        .size:           2
        .value_kind:     hidden_grid_dims
    .group_segment_fixed_size: 0
    .kernarg_segment_align: 8
    .kernarg_segment_size: 3320
    .language:       OpenCL C
    .language_version:
      - 2
      - 0
    .max_flat_workgroup_size: 512
    .name:           _ZN2at6native12_GLOBAL__N_125multi_tensor_apply_kernelINS1_18TensorListMetadataILi4EEENS1_32PointwiseOpScalar0dTensorFunctorIN3c107complexIfEELi4ELi2ELi3EEEJSt7dividesIS8_ES8_EEEvT_T0_DpT1_
    .private_segment_fixed_size: 0
    .sgpr_count:     50
    .sgpr_spill_count: 0
    .symbol:         _ZN2at6native12_GLOBAL__N_125multi_tensor_apply_kernelINS1_18TensorListMetadataILi4EEENS1_32PointwiseOpScalar0dTensorFunctorIN3c107complexIfEELi4ELi2ELi3EEEJSt7dividesIS8_ES8_EEEvT_T0_DpT1_.kd
    .uniform_work_group_size: 1
    .uses_dynamic_stack: false
    .vgpr_count:     58
    .vgpr_spill_count: 0
    .wavefront_size: 64
  - .agpr_count:     0
    .args:
      - .offset:         0
        .size:           3048
        .value_kind:     by_value
      - .offset:         3048
        .size:           1
        .value_kind:     by_value
      - .offset:         3049
        .size:           1
        .value_kind:     by_value
      - .offset:         3052
        .size:           4
        .value_kind:     by_value
      - .offset:         3056
        .size:           4
        .value_kind:     hidden_block_count_x
      - .offset:         3060
        .size:           4
        .value_kind:     hidden_block_count_y
      - .offset:         3064
        .size:           4
        .value_kind:     hidden_block_count_z
      - .offset:         3068
        .size:           2
        .value_kind:     hidden_group_size_x
      - .offset:         3070
        .size:           2
        .value_kind:     hidden_group_size_y
      - .offset:         3072
        .size:           2
        .value_kind:     hidden_group_size_z
      - .offset:         3074
        .size:           2
        .value_kind:     hidden_remainder_x
      - .offset:         3076
        .size:           2
        .value_kind:     hidden_remainder_y
      - .offset:         3078
        .size:           2
        .value_kind:     hidden_remainder_z
      - .offset:         3096
        .size:           8
        .value_kind:     hidden_global_offset_x
      - .offset:         3104
        .size:           8
        .value_kind:     hidden_global_offset_y
      - .offset:         3112
        .size:           8
        .value_kind:     hidden_global_offset_z
      - .offset:         3120
        .size:           2
        .value_kind:     hidden_grid_dims
    .group_segment_fixed_size: 0
    .kernarg_segment_align: 8
    .kernarg_segment_size: 3312
    .language:       OpenCL C
    .language_version:
      - 2
      - 0
    .max_flat_workgroup_size: 512
    .name:           _ZN2at6native12_GLOBAL__N_125multi_tensor_apply_kernelINS1_18TensorListMetadataILi4EEENS1_32PointwiseOpScalar0dTensorFunctorIN3c104HalfELi4ELi2ELi3EEEJSt7dividesIfEfEEEvT_T0_DpT1_
    .private_segment_fixed_size: 0
    .sgpr_count:     40
    .sgpr_spill_count: 0
    .symbol:         _ZN2at6native12_GLOBAL__N_125multi_tensor_apply_kernelINS1_18TensorListMetadataILi4EEENS1_32PointwiseOpScalar0dTensorFunctorIN3c104HalfELi4ELi2ELi3EEEJSt7dividesIfEfEEEvT_T0_DpT1_.kd
    .uniform_work_group_size: 1
    .uses_dynamic_stack: false
    .vgpr_count:     47
    .vgpr_spill_count: 0
    .wavefront_size: 64
  - .agpr_count:     0
    .args:
      - .offset:         0
        .size:           3048
        .value_kind:     by_value
      - .offset:         3048
        .size:           1
        .value_kind:     by_value
      - .offset:         3049
        .size:           1
        .value_kind:     by_value
      - .offset:         3052
        .size:           4
        .value_kind:     by_value
      - .offset:         3056
        .size:           4
        .value_kind:     hidden_block_count_x
      - .offset:         3060
        .size:           4
        .value_kind:     hidden_block_count_y
      - .offset:         3064
        .size:           4
        .value_kind:     hidden_block_count_z
      - .offset:         3068
        .size:           2
        .value_kind:     hidden_group_size_x
      - .offset:         3070
        .size:           2
        .value_kind:     hidden_group_size_y
      - .offset:         3072
        .size:           2
        .value_kind:     hidden_group_size_z
      - .offset:         3074
        .size:           2
        .value_kind:     hidden_remainder_x
      - .offset:         3076
        .size:           2
        .value_kind:     hidden_remainder_y
      - .offset:         3078
        .size:           2
        .value_kind:     hidden_remainder_z
      - .offset:         3096
        .size:           8
        .value_kind:     hidden_global_offset_x
      - .offset:         3104
        .size:           8
        .value_kind:     hidden_global_offset_y
      - .offset:         3112
        .size:           8
        .value_kind:     hidden_global_offset_z
      - .offset:         3120
        .size:           2
        .value_kind:     hidden_grid_dims
    .group_segment_fixed_size: 0
    .kernarg_segment_align: 8
    .kernarg_segment_size: 3312
    .language:       OpenCL C
    .language_version:
      - 2
      - 0
    .max_flat_workgroup_size: 512
    .name:           _ZN2at6native12_GLOBAL__N_125multi_tensor_apply_kernelINS1_18TensorListMetadataILi4EEENS1_32PointwiseOpScalar0dTensorFunctorIN3c108BFloat16ELi4ELi2ELi3EEEJSt7dividesIfEfEEEvT_T0_DpT1_
    .private_segment_fixed_size: 0
    .sgpr_count:     34
    .sgpr_spill_count: 0
    .symbol:         _ZN2at6native12_GLOBAL__N_125multi_tensor_apply_kernelINS1_18TensorListMetadataILi4EEENS1_32PointwiseOpScalar0dTensorFunctorIN3c108BFloat16ELi4ELi2ELi3EEEJSt7dividesIfEfEEEvT_T0_DpT1_.kd
    .uniform_work_group_size: 1
    .uses_dynamic_stack: false
    .vgpr_count:     44
    .vgpr_spill_count: 0
    .wavefront_size: 64
  - .agpr_count:     0
    .args:
      - .offset:         0
        .size:           3144
        .value_kind:     by_value
      - .offset:         3144
        .size:           1
        .value_kind:     by_value
      - .offset:         3145
        .size:           1
        .value_kind:     by_value
      - .offset:         3146
        .size:           1
        .value_kind:     by_value
      - .offset:         3152
        .size:           4
        .value_kind:     hidden_block_count_x
      - .offset:         3156
        .size:           4
        .value_kind:     hidden_block_count_y
      - .offset:         3160
        .size:           4
        .value_kind:     hidden_block_count_z
      - .offset:         3164
        .size:           2
        .value_kind:     hidden_group_size_x
      - .offset:         3166
        .size:           2
        .value_kind:     hidden_group_size_y
      - .offset:         3168
        .size:           2
        .value_kind:     hidden_group_size_z
      - .offset:         3170
        .size:           2
        .value_kind:     hidden_remainder_x
      - .offset:         3172
        .size:           2
        .value_kind:     hidden_remainder_y
      - .offset:         3174
        .size:           2
        .value_kind:     hidden_remainder_z
      - .offset:         3192
        .size:           8
        .value_kind:     hidden_global_offset_x
      - .offset:         3200
        .size:           8
        .value_kind:     hidden_global_offset_y
      - .offset:         3208
        .size:           8
        .value_kind:     hidden_global_offset_z
      - .offset:         3216
        .size:           2
        .value_kind:     hidden_grid_dims
    .group_segment_fixed_size: 0
    .kernarg_segment_align: 8
    .kernarg_segment_size: 3408
    .language:       OpenCL C
    .language_version:
      - 2
      - 0
    .max_flat_workgroup_size: 512
    .name:           _ZN2at6native12_GLOBAL__N_125multi_tensor_apply_kernelINS1_18TensorListMetadataILi3EEENS1_24PointwiseOpScalarFunctorIhLi3ELi3ELi0EEEJSt7dividesIhEhEEEvT_T0_DpT1_
    .private_segment_fixed_size: 0
    .sgpr_count:     31
    .sgpr_spill_count: 0
    .symbol:         _ZN2at6native12_GLOBAL__N_125multi_tensor_apply_kernelINS1_18TensorListMetadataILi3EEENS1_24PointwiseOpScalarFunctorIhLi3ELi3ELi0EEEJSt7dividesIhEhEEEvT_T0_DpT1_.kd
    .uniform_work_group_size: 1
    .uses_dynamic_stack: false
    .vgpr_count:     47
    .vgpr_spill_count: 0
    .wavefront_size: 64
  - .agpr_count:     0
    .args:
      - .offset:         0
        .size:           3144
        .value_kind:     by_value
      - .offset:         3144
        .size:           1
        .value_kind:     by_value
      - .offset:         3145
        .size:           1
        .value_kind:     by_value
      - .offset:         3146
        .size:           1
        .value_kind:     by_value
      - .offset:         3152
        .size:           4
        .value_kind:     hidden_block_count_x
      - .offset:         3156
        .size:           4
        .value_kind:     hidden_block_count_y
      - .offset:         3160
        .size:           4
        .value_kind:     hidden_block_count_z
      - .offset:         3164
        .size:           2
        .value_kind:     hidden_group_size_x
      - .offset:         3166
        .size:           2
        .value_kind:     hidden_group_size_y
      - .offset:         3168
        .size:           2
        .value_kind:     hidden_group_size_z
      - .offset:         3170
        .size:           2
        .value_kind:     hidden_remainder_x
      - .offset:         3172
        .size:           2
        .value_kind:     hidden_remainder_y
      - .offset:         3174
        .size:           2
        .value_kind:     hidden_remainder_z
      - .offset:         3192
        .size:           8
        .value_kind:     hidden_global_offset_x
      - .offset:         3200
        .size:           8
        .value_kind:     hidden_global_offset_y
      - .offset:         3208
        .size:           8
        .value_kind:     hidden_global_offset_z
      - .offset:         3216
        .size:           2
        .value_kind:     hidden_grid_dims
    .group_segment_fixed_size: 0
    .kernarg_segment_align: 8
    .kernarg_segment_size: 3408
    .language:       OpenCL C
    .language_version:
      - 2
      - 0
    .max_flat_workgroup_size: 512
    .name:           _ZN2at6native12_GLOBAL__N_125multi_tensor_apply_kernelINS1_18TensorListMetadataILi3EEENS1_24PointwiseOpScalarFunctorIaLi3ELi3ELi0EEEJSt7dividesIaEaEEEvT_T0_DpT1_
    .private_segment_fixed_size: 0
    .sgpr_count:     31
    .sgpr_spill_count: 0
    .symbol:         _ZN2at6native12_GLOBAL__N_125multi_tensor_apply_kernelINS1_18TensorListMetadataILi3EEENS1_24PointwiseOpScalarFunctorIaLi3ELi3ELi0EEEJSt7dividesIaEaEEEvT_T0_DpT1_.kd
    .uniform_work_group_size: 1
    .uses_dynamic_stack: false
    .vgpr_count:     47
    .vgpr_spill_count: 0
    .wavefront_size: 64
  - .agpr_count:     0
    .args:
      - .offset:         0
        .size:           3144
        .value_kind:     by_value
      - .offset:         3144
        .size:           1
        .value_kind:     by_value
      - .offset:         3145
        .size:           1
        .value_kind:     by_value
      - .offset:         3148
        .size:           4
        .value_kind:     by_value
      - .offset:         3152
        .size:           4
        .value_kind:     hidden_block_count_x
      - .offset:         3156
        .size:           4
        .value_kind:     hidden_block_count_y
      - .offset:         3160
        .size:           4
        .value_kind:     hidden_block_count_z
      - .offset:         3164
        .size:           2
        .value_kind:     hidden_group_size_x
      - .offset:         3166
        .size:           2
        .value_kind:     hidden_group_size_y
      - .offset:         3168
        .size:           2
        .value_kind:     hidden_group_size_z
      - .offset:         3170
        .size:           2
        .value_kind:     hidden_remainder_x
      - .offset:         3172
        .size:           2
        .value_kind:     hidden_remainder_y
      - .offset:         3174
        .size:           2
        .value_kind:     hidden_remainder_z
      - .offset:         3192
        .size:           8
        .value_kind:     hidden_global_offset_x
      - .offset:         3200
        .size:           8
        .value_kind:     hidden_global_offset_y
      - .offset:         3208
        .size:           8
        .value_kind:     hidden_global_offset_z
      - .offset:         3216
        .size:           2
        .value_kind:     hidden_grid_dims
    .group_segment_fixed_size: 0
    .kernarg_segment_align: 8
    .kernarg_segment_size: 3408
    .language:       OpenCL C
    .language_version:
      - 2
      - 0
    .max_flat_workgroup_size: 512
    .name:           _ZN2at6native12_GLOBAL__N_125multi_tensor_apply_kernelINS1_18TensorListMetadataILi3EEENS1_24PointwiseOpScalarFunctorIiLi3ELi3ELi0EEEJSt7dividesIiEiEEEvT_T0_DpT1_
    .private_segment_fixed_size: 0
    .sgpr_count:     34
    .sgpr_spill_count: 0
    .symbol:         _ZN2at6native12_GLOBAL__N_125multi_tensor_apply_kernelINS1_18TensorListMetadataILi3EEENS1_24PointwiseOpScalarFunctorIiLi3ELi3ELi0EEEJSt7dividesIiEiEEEvT_T0_DpT1_.kd
    .uniform_work_group_size: 1
    .uses_dynamic_stack: false
    .vgpr_count:     48
    .vgpr_spill_count: 0
    .wavefront_size: 64
  - .agpr_count:     0
    .args:
      - .offset:         0
        .size:           3144
        .value_kind:     by_value
      - .offset:         3144
        .size:           1
        .value_kind:     by_value
      - .offset:         3145
        .size:           1
        .value_kind:     by_value
      - .offset:         3152
        .size:           8
        .value_kind:     by_value
      - .offset:         3160
        .size:           4
        .value_kind:     hidden_block_count_x
      - .offset:         3164
        .size:           4
        .value_kind:     hidden_block_count_y
      - .offset:         3168
        .size:           4
        .value_kind:     hidden_block_count_z
      - .offset:         3172
        .size:           2
        .value_kind:     hidden_group_size_x
      - .offset:         3174
        .size:           2
        .value_kind:     hidden_group_size_y
      - .offset:         3176
        .size:           2
        .value_kind:     hidden_group_size_z
      - .offset:         3178
        .size:           2
        .value_kind:     hidden_remainder_x
      - .offset:         3180
        .size:           2
        .value_kind:     hidden_remainder_y
      - .offset:         3182
        .size:           2
        .value_kind:     hidden_remainder_z
      - .offset:         3200
        .size:           8
        .value_kind:     hidden_global_offset_x
      - .offset:         3208
        .size:           8
        .value_kind:     hidden_global_offset_y
      - .offset:         3216
        .size:           8
        .value_kind:     hidden_global_offset_z
      - .offset:         3224
        .size:           2
        .value_kind:     hidden_grid_dims
    .group_segment_fixed_size: 0
    .kernarg_segment_align: 8
    .kernarg_segment_size: 3416
    .language:       OpenCL C
    .language_version:
      - 2
      - 0
    .max_flat_workgroup_size: 512
    .name:           _ZN2at6native12_GLOBAL__N_125multi_tensor_apply_kernelINS1_18TensorListMetadataILi3EEENS1_24PointwiseOpScalarFunctorIlLi3ELi3ELi0EEEJSt7dividesIlElEEEvT_T0_DpT1_
    .private_segment_fixed_size: 0
    .sgpr_count:     38
    .sgpr_spill_count: 0
    .symbol:         _ZN2at6native12_GLOBAL__N_125multi_tensor_apply_kernelINS1_18TensorListMetadataILi3EEENS1_24PointwiseOpScalarFunctorIlLi3ELi3ELi0EEEJSt7dividesIlElEEEvT_T0_DpT1_.kd
    .uniform_work_group_size: 1
    .uses_dynamic_stack: false
    .vgpr_count:     67
    .vgpr_spill_count: 0
    .wavefront_size: 64
  - .agpr_count:     0
    .args:
      - .offset:         0
        .size:           3144
        .value_kind:     by_value
      - .offset:         3144
        .size:           1
        .value_kind:     by_value
      - .offset:         3145
        .size:           1
        .value_kind:     by_value
      - .offset:         3146
        .size:           2
        .value_kind:     by_value
      - .offset:         3152
        .size:           4
        .value_kind:     hidden_block_count_x
      - .offset:         3156
        .size:           4
        .value_kind:     hidden_block_count_y
      - .offset:         3160
        .size:           4
        .value_kind:     hidden_block_count_z
      - .offset:         3164
        .size:           2
        .value_kind:     hidden_group_size_x
      - .offset:         3166
        .size:           2
        .value_kind:     hidden_group_size_y
      - .offset:         3168
        .size:           2
        .value_kind:     hidden_group_size_z
      - .offset:         3170
        .size:           2
        .value_kind:     hidden_remainder_x
      - .offset:         3172
        .size:           2
        .value_kind:     hidden_remainder_y
      - .offset:         3174
        .size:           2
        .value_kind:     hidden_remainder_z
      - .offset:         3192
        .size:           8
        .value_kind:     hidden_global_offset_x
      - .offset:         3200
        .size:           8
        .value_kind:     hidden_global_offset_y
      - .offset:         3208
        .size:           8
        .value_kind:     hidden_global_offset_z
      - .offset:         3216
        .size:           2
        .value_kind:     hidden_grid_dims
    .group_segment_fixed_size: 0
    .kernarg_segment_align: 8
    .kernarg_segment_size: 3408
    .language:       OpenCL C
    .language_version:
      - 2
      - 0
    .max_flat_workgroup_size: 512
    .name:           _ZN2at6native12_GLOBAL__N_125multi_tensor_apply_kernelINS1_18TensorListMetadataILi3EEENS1_24PointwiseOpScalarFunctorIsLi3ELi3ELi0EEEJSt7dividesIsEsEEEvT_T0_DpT1_
    .private_segment_fixed_size: 0
    .sgpr_count:     34
    .sgpr_spill_count: 0
    .symbol:         _ZN2at6native12_GLOBAL__N_125multi_tensor_apply_kernelINS1_18TensorListMetadataILi3EEENS1_24PointwiseOpScalarFunctorIsLi3ELi3ELi0EEEJSt7dividesIsEsEEEvT_T0_DpT1_.kd
    .uniform_work_group_size: 1
    .uses_dynamic_stack: false
    .vgpr_count:     47
    .vgpr_spill_count: 0
    .wavefront_size: 64
  - .agpr_count:     0
    .args:
      - .offset:         0
        .size:           3144
        .value_kind:     by_value
      - .offset:         3144
        .size:           1
        .value_kind:     by_value
      - .offset:         3145
        .size:           1
        .value_kind:     by_value
      - .offset:         3152
        .size:           8
        .value_kind:     by_value
      - .offset:         3160
        .size:           4
        .value_kind:     hidden_block_count_x
      - .offset:         3164
        .size:           4
        .value_kind:     hidden_block_count_y
      - .offset:         3168
        .size:           4
        .value_kind:     hidden_block_count_z
      - .offset:         3172
        .size:           2
        .value_kind:     hidden_group_size_x
      - .offset:         3174
        .size:           2
        .value_kind:     hidden_group_size_y
      - .offset:         3176
        .size:           2
        .value_kind:     hidden_group_size_z
      - .offset:         3178
        .size:           2
        .value_kind:     hidden_remainder_x
      - .offset:         3180
        .size:           2
        .value_kind:     hidden_remainder_y
      - .offset:         3182
        .size:           2
        .value_kind:     hidden_remainder_z
      - .offset:         3200
        .size:           8
        .value_kind:     hidden_global_offset_x
      - .offset:         3208
        .size:           8
        .value_kind:     hidden_global_offset_y
      - .offset:         3216
        .size:           8
        .value_kind:     hidden_global_offset_z
      - .offset:         3224
        .size:           2
        .value_kind:     hidden_grid_dims
    .group_segment_fixed_size: 0
    .kernarg_segment_align: 8
    .kernarg_segment_size: 3416
    .language:       OpenCL C
    .language_version:
      - 2
      - 0
    .max_flat_workgroup_size: 512
    .name:           _ZN2at6native12_GLOBAL__N_125multi_tensor_apply_kernelINS1_18TensorListMetadataILi3EEENS1_24PointwiseOpScalarFunctorIdLi3ELi3ELi0EEEJSt7dividesIdEdEEEvT_T0_DpT1_
    .private_segment_fixed_size: 0
    .sgpr_count:     38
    .sgpr_spill_count: 0
    .symbol:         _ZN2at6native12_GLOBAL__N_125multi_tensor_apply_kernelINS1_18TensorListMetadataILi3EEENS1_24PointwiseOpScalarFunctorIdLi3ELi3ELi0EEEJSt7dividesIdEdEEEvT_T0_DpT1_.kd
    .uniform_work_group_size: 1
    .uses_dynamic_stack: false
    .vgpr_count:     66
    .vgpr_spill_count: 0
    .wavefront_size: 64
  - .agpr_count:     0
    .args:
      - .offset:         0
        .size:           3144
        .value_kind:     by_value
      - .offset:         3144
        .size:           1
        .value_kind:     by_value
      - .offset:         3145
        .size:           1
        .value_kind:     by_value
      - .offset:         3148
        .size:           4
        .value_kind:     by_value
      - .offset:         3152
        .size:           4
        .value_kind:     hidden_block_count_x
      - .offset:         3156
        .size:           4
        .value_kind:     hidden_block_count_y
      - .offset:         3160
        .size:           4
        .value_kind:     hidden_block_count_z
      - .offset:         3164
        .size:           2
        .value_kind:     hidden_group_size_x
      - .offset:         3166
        .size:           2
        .value_kind:     hidden_group_size_y
      - .offset:         3168
        .size:           2
        .value_kind:     hidden_group_size_z
      - .offset:         3170
        .size:           2
        .value_kind:     hidden_remainder_x
      - .offset:         3172
        .size:           2
        .value_kind:     hidden_remainder_y
      - .offset:         3174
        .size:           2
        .value_kind:     hidden_remainder_z
      - .offset:         3192
        .size:           8
        .value_kind:     hidden_global_offset_x
      - .offset:         3200
        .size:           8
        .value_kind:     hidden_global_offset_y
      - .offset:         3208
        .size:           8
        .value_kind:     hidden_global_offset_z
      - .offset:         3216
        .size:           2
        .value_kind:     hidden_grid_dims
    .group_segment_fixed_size: 0
    .kernarg_segment_align: 8
    .kernarg_segment_size: 3408
    .language:       OpenCL C
    .language_version:
      - 2
      - 0
    .max_flat_workgroup_size: 512
    .name:           _ZN2at6native12_GLOBAL__N_125multi_tensor_apply_kernelINS1_18TensorListMetadataILi3EEENS1_24PointwiseOpScalarFunctorIfLi3ELi3ELi0EEEJSt7dividesIfEfEEEvT_T0_DpT1_
    .private_segment_fixed_size: 0
    .sgpr_count:     36
    .sgpr_spill_count: 0
    .symbol:         _ZN2at6native12_GLOBAL__N_125multi_tensor_apply_kernelINS1_18TensorListMetadataILi3EEENS1_24PointwiseOpScalarFunctorIfLi3ELi3ELi0EEEJSt7dividesIfEfEEEvT_T0_DpT1_.kd
    .uniform_work_group_size: 1
    .uses_dynamic_stack: false
    .vgpr_count:     50
    .vgpr_spill_count: 0
    .wavefront_size: 64
  - .agpr_count:     0
    .args:
      - .offset:         0
        .size:           3144
        .value_kind:     by_value
      - .offset:         3144
        .size:           1
        .value_kind:     by_value
      - .offset:         3145
        .size:           1
        .value_kind:     by_value
      - .offset:         3152
        .size:           16
        .value_kind:     by_value
      - .offset:         3168
        .size:           4
        .value_kind:     hidden_block_count_x
      - .offset:         3172
        .size:           4
        .value_kind:     hidden_block_count_y
      - .offset:         3176
        .size:           4
        .value_kind:     hidden_block_count_z
      - .offset:         3180
        .size:           2
        .value_kind:     hidden_group_size_x
      - .offset:         3182
        .size:           2
        .value_kind:     hidden_group_size_y
      - .offset:         3184
        .size:           2
        .value_kind:     hidden_group_size_z
      - .offset:         3186
        .size:           2
        .value_kind:     hidden_remainder_x
      - .offset:         3188
        .size:           2
        .value_kind:     hidden_remainder_y
      - .offset:         3190
        .size:           2
        .value_kind:     hidden_remainder_z
      - .offset:         3208
        .size:           8
        .value_kind:     hidden_global_offset_x
      - .offset:         3216
        .size:           8
        .value_kind:     hidden_global_offset_y
      - .offset:         3224
        .size:           8
        .value_kind:     hidden_global_offset_z
      - .offset:         3232
        .size:           2
        .value_kind:     hidden_grid_dims
    .group_segment_fixed_size: 0
    .kernarg_segment_align: 16
    .kernarg_segment_size: 3424
    .language:       OpenCL C
    .language_version:
      - 2
      - 0
    .max_flat_workgroup_size: 512
    .name:           _ZN2at6native12_GLOBAL__N_125multi_tensor_apply_kernelINS1_18TensorListMetadataILi3EEENS1_24PointwiseOpScalarFunctorIN3c107complexIdEELi3ELi3ELi0EEEJSt7dividesIS8_ES8_EEEvT_T0_DpT1_
    .private_segment_fixed_size: 0
    .sgpr_count:     56
    .sgpr_spill_count: 0
    .symbol:         _ZN2at6native12_GLOBAL__N_125multi_tensor_apply_kernelINS1_18TensorListMetadataILi3EEENS1_24PointwiseOpScalarFunctorIN3c107complexIdEELi3ELi3ELi0EEEJSt7dividesIS8_ES8_EEEvT_T0_DpT1_.kd
    .uniform_work_group_size: 1
    .uses_dynamic_stack: false
    .vgpr_count:     92
    .vgpr_spill_count: 0
    .wavefront_size: 64
  - .agpr_count:     0
    .args:
      - .offset:         0
        .size:           3144
        .value_kind:     by_value
      - .offset:         3144
        .size:           1
        .value_kind:     by_value
      - .offset:         3145
        .size:           1
        .value_kind:     by_value
      - .offset:         3152
        .size:           8
        .value_kind:     by_value
      - .offset:         3160
        .size:           4
        .value_kind:     hidden_block_count_x
      - .offset:         3164
        .size:           4
        .value_kind:     hidden_block_count_y
      - .offset:         3168
        .size:           4
        .value_kind:     hidden_block_count_z
      - .offset:         3172
        .size:           2
        .value_kind:     hidden_group_size_x
      - .offset:         3174
        .size:           2
        .value_kind:     hidden_group_size_y
      - .offset:         3176
        .size:           2
        .value_kind:     hidden_group_size_z
      - .offset:         3178
        .size:           2
        .value_kind:     hidden_remainder_x
      - .offset:         3180
        .size:           2
        .value_kind:     hidden_remainder_y
      - .offset:         3182
        .size:           2
        .value_kind:     hidden_remainder_z
      - .offset:         3200
        .size:           8
        .value_kind:     hidden_global_offset_x
      - .offset:         3208
        .size:           8
        .value_kind:     hidden_global_offset_y
      - .offset:         3216
        .size:           8
        .value_kind:     hidden_global_offset_z
      - .offset:         3224
        .size:           2
        .value_kind:     hidden_grid_dims
    .group_segment_fixed_size: 0
    .kernarg_segment_align: 8
    .kernarg_segment_size: 3416
    .language:       OpenCL C
    .language_version:
      - 2
      - 0
    .max_flat_workgroup_size: 512
    .name:           _ZN2at6native12_GLOBAL__N_125multi_tensor_apply_kernelINS1_18TensorListMetadataILi3EEENS1_24PointwiseOpScalarFunctorIN3c107complexIfEELi3ELi3ELi0EEEJSt7dividesIS8_ES8_EEEvT_T0_DpT1_
    .private_segment_fixed_size: 0
    .sgpr_count:     48
    .sgpr_spill_count: 0
    .symbol:         _ZN2at6native12_GLOBAL__N_125multi_tensor_apply_kernelINS1_18TensorListMetadataILi3EEENS1_24PointwiseOpScalarFunctorIN3c107complexIfEELi3ELi3ELi0EEEJSt7dividesIS8_ES8_EEEvT_T0_DpT1_.kd
    .uniform_work_group_size: 1
    .uses_dynamic_stack: false
    .vgpr_count:     64
    .vgpr_spill_count: 0
    .wavefront_size: 64
  - .agpr_count:     0
    .args:
      - .offset:         0
        .size:           3144
        .value_kind:     by_value
      - .offset:         3144
        .size:           1
        .value_kind:     by_value
      - .offset:         3145
        .size:           1
        .value_kind:     by_value
      - .offset:         3148
        .size:           4
        .value_kind:     by_value
      - .offset:         3152
        .size:           4
        .value_kind:     hidden_block_count_x
      - .offset:         3156
        .size:           4
        .value_kind:     hidden_block_count_y
      - .offset:         3160
        .size:           4
        .value_kind:     hidden_block_count_z
      - .offset:         3164
        .size:           2
        .value_kind:     hidden_group_size_x
      - .offset:         3166
        .size:           2
        .value_kind:     hidden_group_size_y
      - .offset:         3168
        .size:           2
        .value_kind:     hidden_group_size_z
      - .offset:         3170
        .size:           2
        .value_kind:     hidden_remainder_x
      - .offset:         3172
        .size:           2
        .value_kind:     hidden_remainder_y
      - .offset:         3174
        .size:           2
        .value_kind:     hidden_remainder_z
      - .offset:         3192
        .size:           8
        .value_kind:     hidden_global_offset_x
      - .offset:         3200
        .size:           8
        .value_kind:     hidden_global_offset_y
      - .offset:         3208
        .size:           8
        .value_kind:     hidden_global_offset_z
      - .offset:         3216
        .size:           2
        .value_kind:     hidden_grid_dims
    .group_segment_fixed_size: 0
    .kernarg_segment_align: 8
    .kernarg_segment_size: 3408
    .language:       OpenCL C
    .language_version:
      - 2
      - 0
    .max_flat_workgroup_size: 512
    .name:           _ZN2at6native12_GLOBAL__N_125multi_tensor_apply_kernelINS1_18TensorListMetadataILi3EEENS1_24PointwiseOpScalarFunctorIN3c104HalfELi3ELi3ELi0EEEJSt7dividesIfEfEEEvT_T0_DpT1_
    .private_segment_fixed_size: 0
    .sgpr_count:     36
    .sgpr_spill_count: 0
    .symbol:         _ZN2at6native12_GLOBAL__N_125multi_tensor_apply_kernelINS1_18TensorListMetadataILi3EEENS1_24PointwiseOpScalarFunctorIN3c104HalfELi3ELi3ELi0EEEJSt7dividesIfEfEEEvT_T0_DpT1_.kd
    .uniform_work_group_size: 1
    .uses_dynamic_stack: false
    .vgpr_count:     50
    .vgpr_spill_count: 0
    .wavefront_size: 64
  - .agpr_count:     0
    .args:
      - .offset:         0
        .size:           3144
        .value_kind:     by_value
      - .offset:         3144
        .size:           1
        .value_kind:     by_value
      - .offset:         3145
        .size:           1
        .value_kind:     by_value
      - .offset:         3148
        .size:           4
        .value_kind:     by_value
      - .offset:         3152
        .size:           4
        .value_kind:     hidden_block_count_x
      - .offset:         3156
        .size:           4
        .value_kind:     hidden_block_count_y
      - .offset:         3160
        .size:           4
        .value_kind:     hidden_block_count_z
      - .offset:         3164
        .size:           2
        .value_kind:     hidden_group_size_x
      - .offset:         3166
        .size:           2
        .value_kind:     hidden_group_size_y
      - .offset:         3168
        .size:           2
        .value_kind:     hidden_group_size_z
      - .offset:         3170
        .size:           2
        .value_kind:     hidden_remainder_x
      - .offset:         3172
        .size:           2
        .value_kind:     hidden_remainder_y
      - .offset:         3174
        .size:           2
        .value_kind:     hidden_remainder_z
      - .offset:         3192
        .size:           8
        .value_kind:     hidden_global_offset_x
      - .offset:         3200
        .size:           8
        .value_kind:     hidden_global_offset_y
      - .offset:         3208
        .size:           8
        .value_kind:     hidden_global_offset_z
      - .offset:         3216
        .size:           2
        .value_kind:     hidden_grid_dims
    .group_segment_fixed_size: 0
    .kernarg_segment_align: 8
    .kernarg_segment_size: 3408
    .language:       OpenCL C
    .language_version:
      - 2
      - 0
    .max_flat_workgroup_size: 512
    .name:           _ZN2at6native12_GLOBAL__N_125multi_tensor_apply_kernelINS1_18TensorListMetadataILi3EEENS1_24PointwiseOpScalarFunctorIN3c108BFloat16ELi3ELi3ELi0EEEJSt7dividesIfEfEEEvT_T0_DpT1_
    .private_segment_fixed_size: 0
    .sgpr_count:     38
    .sgpr_spill_count: 0
    .symbol:         _ZN2at6native12_GLOBAL__N_125multi_tensor_apply_kernelINS1_18TensorListMetadataILi3EEENS1_24PointwiseOpScalarFunctorIN3c108BFloat16ELi3ELi3ELi0EEEJSt7dividesIfEfEEEvT_T0_DpT1_.kd
    .uniform_work_group_size: 1
    .uses_dynamic_stack: false
    .vgpr_count:     49
    .vgpr_spill_count: 0
    .wavefront_size: 64
  - .agpr_count:     0
    .args:
      - .offset:         0
        .size:           3144
        .value_kind:     by_value
      - .offset:         3144
        .size:           1
        .value_kind:     by_value
      - .offset:         3145
        .size:           1
        .value_kind:     by_value
      - .offset:         3146
        .size:           1
        .value_kind:     by_value
      - .offset:         3152
        .size:           4
        .value_kind:     hidden_block_count_x
      - .offset:         3156
        .size:           4
        .value_kind:     hidden_block_count_y
      - .offset:         3160
        .size:           4
        .value_kind:     hidden_block_count_z
      - .offset:         3164
        .size:           2
        .value_kind:     hidden_group_size_x
      - .offset:         3166
        .size:           2
        .value_kind:     hidden_group_size_y
      - .offset:         3168
        .size:           2
        .value_kind:     hidden_group_size_z
      - .offset:         3170
        .size:           2
        .value_kind:     hidden_remainder_x
      - .offset:         3172
        .size:           2
        .value_kind:     hidden_remainder_y
      - .offset:         3174
        .size:           2
        .value_kind:     hidden_remainder_z
      - .offset:         3192
        .size:           8
        .value_kind:     hidden_global_offset_x
      - .offset:         3200
        .size:           8
        .value_kind:     hidden_global_offset_y
      - .offset:         3208
        .size:           8
        .value_kind:     hidden_global_offset_z
      - .offset:         3216
        .size:           2
        .value_kind:     hidden_grid_dims
    .group_segment_fixed_size: 0
    .kernarg_segment_align: 8
    .kernarg_segment_size: 3408
    .language:       OpenCL C
    .language_version:
      - 2
      - 0
    .max_flat_workgroup_size: 512
    .name:           _ZN2at6native12_GLOBAL__N_125multi_tensor_apply_kernelINS1_18TensorListMetadataILi3EEENS1_32PointwiseOpScalar0dTensorFunctorIhLi3ELi2ELi0EEEJSt7dividesIhEhEEEvT_T0_DpT1_
    .private_segment_fixed_size: 0
    .sgpr_count:     32
    .sgpr_spill_count: 0
    .symbol:         _ZN2at6native12_GLOBAL__N_125multi_tensor_apply_kernelINS1_18TensorListMetadataILi3EEENS1_32PointwiseOpScalar0dTensorFunctorIhLi3ELi2ELi0EEEJSt7dividesIhEhEEEvT_T0_DpT1_.kd
    .uniform_work_group_size: 1
    .uses_dynamic_stack: false
    .vgpr_count:     40
    .vgpr_spill_count: 0
    .wavefront_size: 64
  - .agpr_count:     0
    .args:
      - .offset:         0
        .size:           3144
        .value_kind:     by_value
      - .offset:         3144
        .size:           1
        .value_kind:     by_value
      - .offset:         3145
        .size:           1
        .value_kind:     by_value
      - .offset:         3146
        .size:           1
        .value_kind:     by_value
      - .offset:         3152
        .size:           4
        .value_kind:     hidden_block_count_x
      - .offset:         3156
        .size:           4
        .value_kind:     hidden_block_count_y
      - .offset:         3160
        .size:           4
        .value_kind:     hidden_block_count_z
      - .offset:         3164
        .size:           2
        .value_kind:     hidden_group_size_x
      - .offset:         3166
        .size:           2
        .value_kind:     hidden_group_size_y
      - .offset:         3168
        .size:           2
        .value_kind:     hidden_group_size_z
      - .offset:         3170
        .size:           2
        .value_kind:     hidden_remainder_x
      - .offset:         3172
        .size:           2
        .value_kind:     hidden_remainder_y
      - .offset:         3174
        .size:           2
        .value_kind:     hidden_remainder_z
      - .offset:         3192
        .size:           8
        .value_kind:     hidden_global_offset_x
      - .offset:         3200
        .size:           8
        .value_kind:     hidden_global_offset_y
      - .offset:         3208
        .size:           8
        .value_kind:     hidden_global_offset_z
      - .offset:         3216
        .size:           2
        .value_kind:     hidden_grid_dims
    .group_segment_fixed_size: 0
    .kernarg_segment_align: 8
    .kernarg_segment_size: 3408
    .language:       OpenCL C
    .language_version:
      - 2
      - 0
    .max_flat_workgroup_size: 512
    .name:           _ZN2at6native12_GLOBAL__N_125multi_tensor_apply_kernelINS1_18TensorListMetadataILi3EEENS1_32PointwiseOpScalar0dTensorFunctorIaLi3ELi2ELi0EEEJSt7dividesIaEaEEEvT_T0_DpT1_
    .private_segment_fixed_size: 0
    .sgpr_count:     28
    .sgpr_spill_count: 0
    .symbol:         _ZN2at6native12_GLOBAL__N_125multi_tensor_apply_kernelINS1_18TensorListMetadataILi3EEENS1_32PointwiseOpScalar0dTensorFunctorIaLi3ELi2ELi0EEEJSt7dividesIaEaEEEvT_T0_DpT1_.kd
    .uniform_work_group_size: 1
    .uses_dynamic_stack: false
    .vgpr_count:     41
    .vgpr_spill_count: 0
    .wavefront_size: 64
  - .agpr_count:     0
    .args:
      - .offset:         0
        .size:           3144
        .value_kind:     by_value
      - .offset:         3144
        .size:           1
        .value_kind:     by_value
      - .offset:         3145
        .size:           1
        .value_kind:     by_value
      - .offset:         3148
        .size:           4
        .value_kind:     by_value
      - .offset:         3152
        .size:           4
        .value_kind:     hidden_block_count_x
      - .offset:         3156
        .size:           4
        .value_kind:     hidden_block_count_y
      - .offset:         3160
        .size:           4
        .value_kind:     hidden_block_count_z
      - .offset:         3164
        .size:           2
        .value_kind:     hidden_group_size_x
      - .offset:         3166
        .size:           2
        .value_kind:     hidden_group_size_y
      - .offset:         3168
        .size:           2
        .value_kind:     hidden_group_size_z
      - .offset:         3170
        .size:           2
        .value_kind:     hidden_remainder_x
      - .offset:         3172
        .size:           2
        .value_kind:     hidden_remainder_y
      - .offset:         3174
        .size:           2
        .value_kind:     hidden_remainder_z
      - .offset:         3192
        .size:           8
        .value_kind:     hidden_global_offset_x
      - .offset:         3200
        .size:           8
        .value_kind:     hidden_global_offset_y
      - .offset:         3208
        .size:           8
        .value_kind:     hidden_global_offset_z
      - .offset:         3216
        .size:           2
        .value_kind:     hidden_grid_dims
    .group_segment_fixed_size: 0
    .kernarg_segment_align: 8
    .kernarg_segment_size: 3408
    .language:       OpenCL C
    .language_version:
      - 2
      - 0
    .max_flat_workgroup_size: 512
    .name:           _ZN2at6native12_GLOBAL__N_125multi_tensor_apply_kernelINS1_18TensorListMetadataILi3EEENS1_32PointwiseOpScalar0dTensorFunctorIiLi3ELi2ELi0EEEJSt7dividesIiEiEEEvT_T0_DpT1_
    .private_segment_fixed_size: 0
    .sgpr_count:     33
    .sgpr_spill_count: 0
    .symbol:         _ZN2at6native12_GLOBAL__N_125multi_tensor_apply_kernelINS1_18TensorListMetadataILi3EEENS1_32PointwiseOpScalar0dTensorFunctorIiLi3ELi2ELi0EEEJSt7dividesIiEiEEEvT_T0_DpT1_.kd
    .uniform_work_group_size: 1
    .uses_dynamic_stack: false
    .vgpr_count:     39
    .vgpr_spill_count: 0
    .wavefront_size: 64
  - .agpr_count:     0
    .args:
      - .offset:         0
        .size:           3144
        .value_kind:     by_value
      - .offset:         3144
        .size:           1
        .value_kind:     by_value
      - .offset:         3145
        .size:           1
        .value_kind:     by_value
      - .offset:         3152
        .size:           8
        .value_kind:     by_value
      - .offset:         3160
        .size:           4
        .value_kind:     hidden_block_count_x
      - .offset:         3164
        .size:           4
        .value_kind:     hidden_block_count_y
      - .offset:         3168
        .size:           4
        .value_kind:     hidden_block_count_z
      - .offset:         3172
        .size:           2
        .value_kind:     hidden_group_size_x
      - .offset:         3174
        .size:           2
        .value_kind:     hidden_group_size_y
      - .offset:         3176
        .size:           2
        .value_kind:     hidden_group_size_z
      - .offset:         3178
        .size:           2
        .value_kind:     hidden_remainder_x
      - .offset:         3180
        .size:           2
        .value_kind:     hidden_remainder_y
      - .offset:         3182
        .size:           2
        .value_kind:     hidden_remainder_z
      - .offset:         3200
        .size:           8
        .value_kind:     hidden_global_offset_x
      - .offset:         3208
        .size:           8
        .value_kind:     hidden_global_offset_y
      - .offset:         3216
        .size:           8
        .value_kind:     hidden_global_offset_z
      - .offset:         3224
        .size:           2
        .value_kind:     hidden_grid_dims
    .group_segment_fixed_size: 0
    .kernarg_segment_align: 8
    .kernarg_segment_size: 3416
    .language:       OpenCL C
    .language_version:
      - 2
      - 0
    .max_flat_workgroup_size: 512
    .name:           _ZN2at6native12_GLOBAL__N_125multi_tensor_apply_kernelINS1_18TensorListMetadataILi3EEENS1_32PointwiseOpScalar0dTensorFunctorIlLi3ELi2ELi0EEEJSt7dividesIlElEEEvT_T0_DpT1_
    .private_segment_fixed_size: 0
    .sgpr_count:     40
    .sgpr_spill_count: 0
    .symbol:         _ZN2at6native12_GLOBAL__N_125multi_tensor_apply_kernelINS1_18TensorListMetadataILi3EEENS1_32PointwiseOpScalar0dTensorFunctorIlLi3ELi2ELi0EEEJSt7dividesIlElEEEvT_T0_DpT1_.kd
    .uniform_work_group_size: 1
    .uses_dynamic_stack: false
    .vgpr_count:     52
    .vgpr_spill_count: 0
    .wavefront_size: 64
  - .agpr_count:     0
    .args:
      - .offset:         0
        .size:           3144
        .value_kind:     by_value
      - .offset:         3144
        .size:           1
        .value_kind:     by_value
      - .offset:         3145
        .size:           1
        .value_kind:     by_value
      - .offset:         3146
        .size:           2
        .value_kind:     by_value
      - .offset:         3152
        .size:           4
        .value_kind:     hidden_block_count_x
      - .offset:         3156
        .size:           4
        .value_kind:     hidden_block_count_y
      - .offset:         3160
        .size:           4
        .value_kind:     hidden_block_count_z
      - .offset:         3164
        .size:           2
        .value_kind:     hidden_group_size_x
      - .offset:         3166
        .size:           2
        .value_kind:     hidden_group_size_y
      - .offset:         3168
        .size:           2
        .value_kind:     hidden_group_size_z
      - .offset:         3170
        .size:           2
        .value_kind:     hidden_remainder_x
      - .offset:         3172
        .size:           2
        .value_kind:     hidden_remainder_y
      - .offset:         3174
        .size:           2
        .value_kind:     hidden_remainder_z
      - .offset:         3192
        .size:           8
        .value_kind:     hidden_global_offset_x
      - .offset:         3200
        .size:           8
        .value_kind:     hidden_global_offset_y
      - .offset:         3208
        .size:           8
        .value_kind:     hidden_global_offset_z
      - .offset:         3216
        .size:           2
        .value_kind:     hidden_grid_dims
    .group_segment_fixed_size: 0
    .kernarg_segment_align: 8
    .kernarg_segment_size: 3408
    .language:       OpenCL C
    .language_version:
      - 2
      - 0
    .max_flat_workgroup_size: 512
    .name:           _ZN2at6native12_GLOBAL__N_125multi_tensor_apply_kernelINS1_18TensorListMetadataILi3EEENS1_32PointwiseOpScalar0dTensorFunctorIsLi3ELi2ELi0EEEJSt7dividesIsEsEEEvT_T0_DpT1_
    .private_segment_fixed_size: 0
    .sgpr_count:     30
    .sgpr_spill_count: 0
    .symbol:         _ZN2at6native12_GLOBAL__N_125multi_tensor_apply_kernelINS1_18TensorListMetadataILi3EEENS1_32PointwiseOpScalar0dTensorFunctorIsLi3ELi2ELi0EEEJSt7dividesIsEsEEEvT_T0_DpT1_.kd
    .uniform_work_group_size: 1
    .uses_dynamic_stack: false
    .vgpr_count:     36
    .vgpr_spill_count: 0
    .wavefront_size: 64
  - .agpr_count:     0
    .args:
      - .offset:         0
        .size:           3144
        .value_kind:     by_value
      - .offset:         3144
        .size:           1
        .value_kind:     by_value
      - .offset:         3145
        .size:           1
        .value_kind:     by_value
      - .offset:         3152
        .size:           8
        .value_kind:     by_value
      - .offset:         3160
        .size:           4
        .value_kind:     hidden_block_count_x
      - .offset:         3164
        .size:           4
        .value_kind:     hidden_block_count_y
      - .offset:         3168
        .size:           4
        .value_kind:     hidden_block_count_z
      - .offset:         3172
        .size:           2
        .value_kind:     hidden_group_size_x
      - .offset:         3174
        .size:           2
        .value_kind:     hidden_group_size_y
      - .offset:         3176
        .size:           2
        .value_kind:     hidden_group_size_z
      - .offset:         3178
        .size:           2
        .value_kind:     hidden_remainder_x
      - .offset:         3180
        .size:           2
        .value_kind:     hidden_remainder_y
      - .offset:         3182
        .size:           2
        .value_kind:     hidden_remainder_z
      - .offset:         3200
        .size:           8
        .value_kind:     hidden_global_offset_x
      - .offset:         3208
        .size:           8
        .value_kind:     hidden_global_offset_y
      - .offset:         3216
        .size:           8
        .value_kind:     hidden_global_offset_z
      - .offset:         3224
        .size:           2
        .value_kind:     hidden_grid_dims
    .group_segment_fixed_size: 0
    .kernarg_segment_align: 8
    .kernarg_segment_size: 3416
    .language:       OpenCL C
    .language_version:
      - 2
      - 0
    .max_flat_workgroup_size: 512
    .name:           _ZN2at6native12_GLOBAL__N_125multi_tensor_apply_kernelINS1_18TensorListMetadataILi3EEENS1_32PointwiseOpScalar0dTensorFunctorIdLi3ELi2ELi0EEEJSt7dividesIdEdEEEvT_T0_DpT1_
    .private_segment_fixed_size: 0
    .sgpr_count:     41
    .sgpr_spill_count: 0
    .symbol:         _ZN2at6native12_GLOBAL__N_125multi_tensor_apply_kernelINS1_18TensorListMetadataILi3EEENS1_32PointwiseOpScalar0dTensorFunctorIdLi3ELi2ELi0EEEJSt7dividesIdEdEEEvT_T0_DpT1_.kd
    .uniform_work_group_size: 1
    .uses_dynamic_stack: false
    .vgpr_count:     56
    .vgpr_spill_count: 0
    .wavefront_size: 64
  - .agpr_count:     0
    .args:
      - .offset:         0
        .size:           3144
        .value_kind:     by_value
      - .offset:         3144
        .size:           1
        .value_kind:     by_value
      - .offset:         3145
        .size:           1
        .value_kind:     by_value
      - .offset:         3148
        .size:           4
        .value_kind:     by_value
      - .offset:         3152
        .size:           4
        .value_kind:     hidden_block_count_x
      - .offset:         3156
        .size:           4
        .value_kind:     hidden_block_count_y
      - .offset:         3160
        .size:           4
        .value_kind:     hidden_block_count_z
      - .offset:         3164
        .size:           2
        .value_kind:     hidden_group_size_x
      - .offset:         3166
        .size:           2
        .value_kind:     hidden_group_size_y
      - .offset:         3168
        .size:           2
        .value_kind:     hidden_group_size_z
      - .offset:         3170
        .size:           2
        .value_kind:     hidden_remainder_x
      - .offset:         3172
        .size:           2
        .value_kind:     hidden_remainder_y
      - .offset:         3174
        .size:           2
        .value_kind:     hidden_remainder_z
      - .offset:         3192
        .size:           8
        .value_kind:     hidden_global_offset_x
      - .offset:         3200
        .size:           8
        .value_kind:     hidden_global_offset_y
      - .offset:         3208
        .size:           8
        .value_kind:     hidden_global_offset_z
      - .offset:         3216
        .size:           2
        .value_kind:     hidden_grid_dims
    .group_segment_fixed_size: 0
    .kernarg_segment_align: 8
    .kernarg_segment_size: 3408
    .language:       OpenCL C
    .language_version:
      - 2
      - 0
    .max_flat_workgroup_size: 512
    .name:           _ZN2at6native12_GLOBAL__N_125multi_tensor_apply_kernelINS1_18TensorListMetadataILi3EEENS1_32PointwiseOpScalar0dTensorFunctorIfLi3ELi2ELi0EEEJSt7dividesIfEfEEEvT_T0_DpT1_
    .private_segment_fixed_size: 0
    .sgpr_count:     34
    .sgpr_spill_count: 0
    .symbol:         _ZN2at6native12_GLOBAL__N_125multi_tensor_apply_kernelINS1_18TensorListMetadataILi3EEENS1_32PointwiseOpScalar0dTensorFunctorIfLi3ELi2ELi0EEEJSt7dividesIfEfEEEvT_T0_DpT1_.kd
    .uniform_work_group_size: 1
    .uses_dynamic_stack: false
    .vgpr_count:     39
    .vgpr_spill_count: 0
    .wavefront_size: 64
  - .agpr_count:     0
    .args:
      - .offset:         0
        .size:           3144
        .value_kind:     by_value
      - .offset:         3144
        .size:           1
        .value_kind:     by_value
      - .offset:         3145
        .size:           1
        .value_kind:     by_value
      - .offset:         3152
        .size:           16
        .value_kind:     by_value
      - .offset:         3168
        .size:           4
        .value_kind:     hidden_block_count_x
      - .offset:         3172
        .size:           4
        .value_kind:     hidden_block_count_y
      - .offset:         3176
        .size:           4
        .value_kind:     hidden_block_count_z
      - .offset:         3180
        .size:           2
        .value_kind:     hidden_group_size_x
      - .offset:         3182
        .size:           2
        .value_kind:     hidden_group_size_y
      - .offset:         3184
        .size:           2
        .value_kind:     hidden_group_size_z
      - .offset:         3186
        .size:           2
        .value_kind:     hidden_remainder_x
      - .offset:         3188
        .size:           2
        .value_kind:     hidden_remainder_y
      - .offset:         3190
        .size:           2
        .value_kind:     hidden_remainder_z
      - .offset:         3208
        .size:           8
        .value_kind:     hidden_global_offset_x
      - .offset:         3216
        .size:           8
        .value_kind:     hidden_global_offset_y
      - .offset:         3224
        .size:           8
        .value_kind:     hidden_global_offset_z
      - .offset:         3232
        .size:           2
        .value_kind:     hidden_grid_dims
    .group_segment_fixed_size: 0
    .kernarg_segment_align: 16
    .kernarg_segment_size: 3424
    .language:       OpenCL C
    .language_version:
      - 2
      - 0
    .max_flat_workgroup_size: 512
    .name:           _ZN2at6native12_GLOBAL__N_125multi_tensor_apply_kernelINS1_18TensorListMetadataILi3EEENS1_32PointwiseOpScalar0dTensorFunctorIN3c107complexIdEELi3ELi2ELi0EEEJSt7dividesIS8_ES8_EEEvT_T0_DpT1_
    .private_segment_fixed_size: 0
    .sgpr_count:     48
    .sgpr_spill_count: 0
    .symbol:         _ZN2at6native12_GLOBAL__N_125multi_tensor_apply_kernelINS1_18TensorListMetadataILi3EEENS1_32PointwiseOpScalar0dTensorFunctorIN3c107complexIdEELi3ELi2ELi0EEEJSt7dividesIS8_ES8_EEEvT_T0_DpT1_.kd
    .uniform_work_group_size: 1
    .uses_dynamic_stack: false
    .vgpr_count:     72
    .vgpr_spill_count: 0
    .wavefront_size: 64
  - .agpr_count:     0
    .args:
      - .offset:         0
        .size:           3144
        .value_kind:     by_value
      - .offset:         3144
        .size:           1
        .value_kind:     by_value
      - .offset:         3145
        .size:           1
        .value_kind:     by_value
      - .offset:         3152
        .size:           8
        .value_kind:     by_value
      - .offset:         3160
        .size:           4
        .value_kind:     hidden_block_count_x
      - .offset:         3164
        .size:           4
        .value_kind:     hidden_block_count_y
      - .offset:         3168
        .size:           4
        .value_kind:     hidden_block_count_z
      - .offset:         3172
        .size:           2
        .value_kind:     hidden_group_size_x
      - .offset:         3174
        .size:           2
        .value_kind:     hidden_group_size_y
      - .offset:         3176
        .size:           2
        .value_kind:     hidden_group_size_z
      - .offset:         3178
        .size:           2
        .value_kind:     hidden_remainder_x
      - .offset:         3180
        .size:           2
        .value_kind:     hidden_remainder_y
      - .offset:         3182
        .size:           2
        .value_kind:     hidden_remainder_z
      - .offset:         3200
        .size:           8
        .value_kind:     hidden_global_offset_x
      - .offset:         3208
        .size:           8
        .value_kind:     hidden_global_offset_y
      - .offset:         3216
        .size:           8
        .value_kind:     hidden_global_offset_z
      - .offset:         3224
        .size:           2
        .value_kind:     hidden_grid_dims
    .group_segment_fixed_size: 0
    .kernarg_segment_align: 8
    .kernarg_segment_size: 3416
    .language:       OpenCL C
    .language_version:
      - 2
      - 0
    .max_flat_workgroup_size: 512
    .name:           _ZN2at6native12_GLOBAL__N_125multi_tensor_apply_kernelINS1_18TensorListMetadataILi3EEENS1_32PointwiseOpScalar0dTensorFunctorIN3c107complexIfEELi3ELi2ELi0EEEJSt7dividesIS8_ES8_EEEvT_T0_DpT1_
    .private_segment_fixed_size: 0
    .sgpr_count:     46
    .sgpr_spill_count: 0
    .symbol:         _ZN2at6native12_GLOBAL__N_125multi_tensor_apply_kernelINS1_18TensorListMetadataILi3EEENS1_32PointwiseOpScalar0dTensorFunctorIN3c107complexIfEELi3ELi2ELi0EEEJSt7dividesIS8_ES8_EEEvT_T0_DpT1_.kd
    .uniform_work_group_size: 1
    .uses_dynamic_stack: false
    .vgpr_count:     50
    .vgpr_spill_count: 0
    .wavefront_size: 64
  - .agpr_count:     0
    .args:
      - .offset:         0
        .size:           3144
        .value_kind:     by_value
      - .offset:         3144
        .size:           1
        .value_kind:     by_value
      - .offset:         3145
        .size:           1
        .value_kind:     by_value
      - .offset:         3148
        .size:           4
        .value_kind:     by_value
      - .offset:         3152
        .size:           4
        .value_kind:     hidden_block_count_x
      - .offset:         3156
        .size:           4
        .value_kind:     hidden_block_count_y
      - .offset:         3160
        .size:           4
        .value_kind:     hidden_block_count_z
      - .offset:         3164
        .size:           2
        .value_kind:     hidden_group_size_x
      - .offset:         3166
        .size:           2
        .value_kind:     hidden_group_size_y
      - .offset:         3168
        .size:           2
        .value_kind:     hidden_group_size_z
      - .offset:         3170
        .size:           2
        .value_kind:     hidden_remainder_x
      - .offset:         3172
        .size:           2
        .value_kind:     hidden_remainder_y
      - .offset:         3174
        .size:           2
        .value_kind:     hidden_remainder_z
      - .offset:         3192
        .size:           8
        .value_kind:     hidden_global_offset_x
      - .offset:         3200
        .size:           8
        .value_kind:     hidden_global_offset_y
      - .offset:         3208
        .size:           8
        .value_kind:     hidden_global_offset_z
      - .offset:         3216
        .size:           2
        .value_kind:     hidden_grid_dims
    .group_segment_fixed_size: 0
    .kernarg_segment_align: 8
    .kernarg_segment_size: 3408
    .language:       OpenCL C
    .language_version:
      - 2
      - 0
    .max_flat_workgroup_size: 512
    .name:           _ZN2at6native12_GLOBAL__N_125multi_tensor_apply_kernelINS1_18TensorListMetadataILi3EEENS1_32PointwiseOpScalar0dTensorFunctorIN3c104HalfELi3ELi2ELi0EEEJSt7dividesIfEfEEEvT_T0_DpT1_
    .private_segment_fixed_size: 0
    .sgpr_count:     36
    .sgpr_spill_count: 0
    .symbol:         _ZN2at6native12_GLOBAL__N_125multi_tensor_apply_kernelINS1_18TensorListMetadataILi3EEENS1_32PointwiseOpScalar0dTensorFunctorIN3c104HalfELi3ELi2ELi0EEEJSt7dividesIfEfEEEvT_T0_DpT1_.kd
    .uniform_work_group_size: 1
    .uses_dynamic_stack: false
    .vgpr_count:     40
    .vgpr_spill_count: 0
    .wavefront_size: 64
  - .agpr_count:     0
    .args:
      - .offset:         0
        .size:           3144
        .value_kind:     by_value
      - .offset:         3144
        .size:           1
        .value_kind:     by_value
      - .offset:         3145
        .size:           1
        .value_kind:     by_value
      - .offset:         3148
        .size:           4
        .value_kind:     by_value
      - .offset:         3152
        .size:           4
        .value_kind:     hidden_block_count_x
      - .offset:         3156
        .size:           4
        .value_kind:     hidden_block_count_y
      - .offset:         3160
        .size:           4
        .value_kind:     hidden_block_count_z
      - .offset:         3164
        .size:           2
        .value_kind:     hidden_group_size_x
      - .offset:         3166
        .size:           2
        .value_kind:     hidden_group_size_y
      - .offset:         3168
        .size:           2
        .value_kind:     hidden_group_size_z
      - .offset:         3170
        .size:           2
        .value_kind:     hidden_remainder_x
      - .offset:         3172
        .size:           2
        .value_kind:     hidden_remainder_y
      - .offset:         3174
        .size:           2
        .value_kind:     hidden_remainder_z
      - .offset:         3192
        .size:           8
        .value_kind:     hidden_global_offset_x
      - .offset:         3200
        .size:           8
        .value_kind:     hidden_global_offset_y
      - .offset:         3208
        .size:           8
        .value_kind:     hidden_global_offset_z
      - .offset:         3216
        .size:           2
        .value_kind:     hidden_grid_dims
    .group_segment_fixed_size: 0
    .kernarg_segment_align: 8
    .kernarg_segment_size: 3408
    .language:       OpenCL C
    .language_version:
      - 2
      - 0
    .max_flat_workgroup_size: 512
    .name:           _ZN2at6native12_GLOBAL__N_125multi_tensor_apply_kernelINS1_18TensorListMetadataILi3EEENS1_32PointwiseOpScalar0dTensorFunctorIN3c108BFloat16ELi3ELi2ELi0EEEJSt7dividesIfEfEEEvT_T0_DpT1_
    .private_segment_fixed_size: 0
    .sgpr_count:     32
    .sgpr_spill_count: 0
    .symbol:         _ZN2at6native12_GLOBAL__N_125multi_tensor_apply_kernelINS1_18TensorListMetadataILi3EEENS1_32PointwiseOpScalar0dTensorFunctorIN3c108BFloat16ELi3ELi2ELi0EEEJSt7dividesIfEfEEEvT_T0_DpT1_.kd
    .uniform_work_group_size: 1
    .uses_dynamic_stack: false
    .vgpr_count:     41
    .vgpr_spill_count: 0
    .wavefront_size: 64
  - .agpr_count:     0
    .args:
      - .offset:         0
        .size:           3080
        .value_kind:     by_value
      - .offset:         3080
        .size:           1
        .value_kind:     by_value
      - .offset:         3081
        .size:           1
        .value_kind:     by_value
      - .offset:         3088
        .size:           4
        .value_kind:     hidden_block_count_x
      - .offset:         3092
        .size:           4
        .value_kind:     hidden_block_count_y
      - .offset:         3096
        .size:           4
        .value_kind:     hidden_block_count_z
      - .offset:         3100
        .size:           2
        .value_kind:     hidden_group_size_x
      - .offset:         3102
        .size:           2
        .value_kind:     hidden_group_size_y
      - .offset:         3104
        .size:           2
        .value_kind:     hidden_group_size_z
      - .offset:         3106
        .size:           2
        .value_kind:     hidden_remainder_x
      - .offset:         3108
        .size:           2
        .value_kind:     hidden_remainder_y
      - .offset:         3110
        .size:           2
        .value_kind:     hidden_remainder_z
      - .offset:         3128
        .size:           8
        .value_kind:     hidden_global_offset_x
      - .offset:         3136
        .size:           8
        .value_kind:     hidden_global_offset_y
      - .offset:         3144
        .size:           8
        .value_kind:     hidden_global_offset_z
      - .offset:         3152
        .size:           2
        .value_kind:     hidden_grid_dims
    .group_segment_fixed_size: 0
    .kernarg_segment_align: 8
    .kernarg_segment_size: 3344
    .language:       OpenCL C
    .language_version:
      - 2
      - 0
    .max_flat_workgroup_size: 512
    .name:           _ZN2at6native12_GLOBAL__N_125multi_tensor_apply_kernelINS1_28TensorListScalarListMetadataIhLi4EEENS1_28PointwiseOpScalarListFunctorIhLi4ELi3ELi3EEEJSt10multipliesIhEEEEvT_T0_DpT1_
    .private_segment_fixed_size: 0
    .sgpr_count:     33
    .sgpr_spill_count: 0
    .symbol:         _ZN2at6native12_GLOBAL__N_125multi_tensor_apply_kernelINS1_28TensorListScalarListMetadataIhLi4EEENS1_28PointwiseOpScalarListFunctorIhLi4ELi3ELi3EEEJSt10multipliesIhEEEEvT_T0_DpT1_.kd
    .uniform_work_group_size: 1
    .uses_dynamic_stack: false
    .vgpr_count:     56
    .vgpr_spill_count: 0
    .wavefront_size: 64
  - .agpr_count:     0
    .args:
      - .offset:         0
        .size:           3080
        .value_kind:     by_value
      - .offset:         3080
        .size:           1
        .value_kind:     by_value
      - .offset:         3081
        .size:           1
        .value_kind:     by_value
      - .offset:         3088
        .size:           4
        .value_kind:     hidden_block_count_x
      - .offset:         3092
        .size:           4
        .value_kind:     hidden_block_count_y
      - .offset:         3096
        .size:           4
        .value_kind:     hidden_block_count_z
      - .offset:         3100
        .size:           2
        .value_kind:     hidden_group_size_x
      - .offset:         3102
        .size:           2
        .value_kind:     hidden_group_size_y
      - .offset:         3104
        .size:           2
        .value_kind:     hidden_group_size_z
      - .offset:         3106
        .size:           2
        .value_kind:     hidden_remainder_x
      - .offset:         3108
        .size:           2
        .value_kind:     hidden_remainder_y
      - .offset:         3110
        .size:           2
        .value_kind:     hidden_remainder_z
      - .offset:         3128
        .size:           8
        .value_kind:     hidden_global_offset_x
      - .offset:         3136
        .size:           8
        .value_kind:     hidden_global_offset_y
      - .offset:         3144
        .size:           8
        .value_kind:     hidden_global_offset_z
      - .offset:         3152
        .size:           2
        .value_kind:     hidden_grid_dims
    .group_segment_fixed_size: 0
    .kernarg_segment_align: 8
    .kernarg_segment_size: 3344
    .language:       OpenCL C
    .language_version:
      - 2
      - 0
    .max_flat_workgroup_size: 512
    .name:           _ZN2at6native12_GLOBAL__N_125multi_tensor_apply_kernelINS1_28TensorListScalarListMetadataIaLi4EEENS1_28PointwiseOpScalarListFunctorIaLi4ELi3ELi3EEEJSt10multipliesIaEEEEvT_T0_DpT1_
    .private_segment_fixed_size: 0
    .sgpr_count:     33
    .sgpr_spill_count: 0
    .symbol:         _ZN2at6native12_GLOBAL__N_125multi_tensor_apply_kernelINS1_28TensorListScalarListMetadataIaLi4EEENS1_28PointwiseOpScalarListFunctorIaLi4ELi3ELi3EEEJSt10multipliesIaEEEEvT_T0_DpT1_.kd
    .uniform_work_group_size: 1
    .uses_dynamic_stack: false
    .vgpr_count:     56
    .vgpr_spill_count: 0
    .wavefront_size: 64
  - .agpr_count:     0
    .args:
      - .offset:         0
        .size:           3184
        .value_kind:     by_value
      - .offset:         3184
        .size:           1
        .value_kind:     by_value
      - .offset:         3185
        .size:           1
        .value_kind:     by_value
      - .offset:         3192
        .size:           4
        .value_kind:     hidden_block_count_x
      - .offset:         3196
        .size:           4
        .value_kind:     hidden_block_count_y
      - .offset:         3200
        .size:           4
        .value_kind:     hidden_block_count_z
      - .offset:         3204
        .size:           2
        .value_kind:     hidden_group_size_x
      - .offset:         3206
        .size:           2
        .value_kind:     hidden_group_size_y
      - .offset:         3208
        .size:           2
        .value_kind:     hidden_group_size_z
      - .offset:         3210
        .size:           2
        .value_kind:     hidden_remainder_x
      - .offset:         3212
        .size:           2
        .value_kind:     hidden_remainder_y
      - .offset:         3214
        .size:           2
        .value_kind:     hidden_remainder_z
      - .offset:         3232
        .size:           8
        .value_kind:     hidden_global_offset_x
      - .offset:         3240
        .size:           8
        .value_kind:     hidden_global_offset_y
      - .offset:         3248
        .size:           8
        .value_kind:     hidden_global_offset_z
      - .offset:         3256
        .size:           2
        .value_kind:     hidden_grid_dims
    .group_segment_fixed_size: 0
    .kernarg_segment_align: 8
    .kernarg_segment_size: 3448
    .language:       OpenCL C
    .language_version:
      - 2
      - 0
    .max_flat_workgroup_size: 512
    .name:           _ZN2at6native12_GLOBAL__N_125multi_tensor_apply_kernelINS1_28TensorListScalarListMetadataIiLi4EEENS1_28PointwiseOpScalarListFunctorIiLi4ELi3ELi3EEEJSt10multipliesIiEEEEvT_T0_DpT1_
    .private_segment_fixed_size: 0
    .sgpr_count:     36
    .sgpr_spill_count: 0
    .symbol:         _ZN2at6native12_GLOBAL__N_125multi_tensor_apply_kernelINS1_28TensorListScalarListMetadataIiLi4EEENS1_28PointwiseOpScalarListFunctorIiLi4ELi3ELi3EEEJSt10multipliesIiEEEEvT_T0_DpT1_.kd
    .uniform_work_group_size: 1
    .uses_dynamic_stack: false
    .vgpr_count:     56
    .vgpr_spill_count: 0
    .wavefront_size: 64
  - .agpr_count:     0
    .args:
      - .offset:         0
        .size:           3328
        .value_kind:     by_value
      - .offset:         3328
        .size:           1
        .value_kind:     by_value
      - .offset:         3329
        .size:           1
        .value_kind:     by_value
      - .offset:         3336
        .size:           4
        .value_kind:     hidden_block_count_x
      - .offset:         3340
        .size:           4
        .value_kind:     hidden_block_count_y
      - .offset:         3344
        .size:           4
        .value_kind:     hidden_block_count_z
      - .offset:         3348
        .size:           2
        .value_kind:     hidden_group_size_x
      - .offset:         3350
        .size:           2
        .value_kind:     hidden_group_size_y
      - .offset:         3352
        .size:           2
        .value_kind:     hidden_group_size_z
      - .offset:         3354
        .size:           2
        .value_kind:     hidden_remainder_x
      - .offset:         3356
        .size:           2
        .value_kind:     hidden_remainder_y
      - .offset:         3358
        .size:           2
        .value_kind:     hidden_remainder_z
      - .offset:         3376
        .size:           8
        .value_kind:     hidden_global_offset_x
      - .offset:         3384
        .size:           8
        .value_kind:     hidden_global_offset_y
      - .offset:         3392
        .size:           8
        .value_kind:     hidden_global_offset_z
      - .offset:         3400
        .size:           2
        .value_kind:     hidden_grid_dims
    .group_segment_fixed_size: 0
    .kernarg_segment_align: 8
    .kernarg_segment_size: 3592
    .language:       OpenCL C
    .language_version:
      - 2
      - 0
    .max_flat_workgroup_size: 512
    .name:           _ZN2at6native12_GLOBAL__N_125multi_tensor_apply_kernelINS1_28TensorListScalarListMetadataIlLi4EEENS1_28PointwiseOpScalarListFunctorIlLi4ELi3ELi3EEEJSt10multipliesIlEEEEvT_T0_DpT1_
    .private_segment_fixed_size: 0
    .sgpr_count:     40
    .sgpr_spill_count: 0
    .symbol:         _ZN2at6native12_GLOBAL__N_125multi_tensor_apply_kernelINS1_28TensorListScalarListMetadataIlLi4EEENS1_28PointwiseOpScalarListFunctorIlLi4ELi3ELi3EEEJSt10multipliesIlEEEEvT_T0_DpT1_.kd
    .uniform_work_group_size: 1
    .uses_dynamic_stack: false
    .vgpr_count:     68
    .vgpr_spill_count: 0
    .wavefront_size: 64
  - .agpr_count:     0
    .args:
      - .offset:         0
        .size:           3112
        .value_kind:     by_value
      - .offset:         3112
        .size:           1
        .value_kind:     by_value
      - .offset:         3113
        .size:           1
        .value_kind:     by_value
      - .offset:         3120
        .size:           4
        .value_kind:     hidden_block_count_x
      - .offset:         3124
        .size:           4
        .value_kind:     hidden_block_count_y
      - .offset:         3128
        .size:           4
        .value_kind:     hidden_block_count_z
      - .offset:         3132
        .size:           2
        .value_kind:     hidden_group_size_x
      - .offset:         3134
        .size:           2
        .value_kind:     hidden_group_size_y
      - .offset:         3136
        .size:           2
        .value_kind:     hidden_group_size_z
      - .offset:         3138
        .size:           2
        .value_kind:     hidden_remainder_x
      - .offset:         3140
        .size:           2
        .value_kind:     hidden_remainder_y
      - .offset:         3142
        .size:           2
        .value_kind:     hidden_remainder_z
      - .offset:         3160
        .size:           8
        .value_kind:     hidden_global_offset_x
      - .offset:         3168
        .size:           8
        .value_kind:     hidden_global_offset_y
      - .offset:         3176
        .size:           8
        .value_kind:     hidden_global_offset_z
      - .offset:         3184
        .size:           2
        .value_kind:     hidden_grid_dims
    .group_segment_fixed_size: 0
    .kernarg_segment_align: 8
    .kernarg_segment_size: 3376
    .language:       OpenCL C
    .language_version:
      - 2
      - 0
    .max_flat_workgroup_size: 512
    .name:           _ZN2at6native12_GLOBAL__N_125multi_tensor_apply_kernelINS1_28TensorListScalarListMetadataIsLi4EEENS1_28PointwiseOpScalarListFunctorIsLi4ELi3ELi3EEEJSt10multipliesIsEEEEvT_T0_DpT1_
    .private_segment_fixed_size: 0
    .sgpr_count:     35
    .sgpr_spill_count: 0
    .symbol:         _ZN2at6native12_GLOBAL__N_125multi_tensor_apply_kernelINS1_28TensorListScalarListMetadataIsLi4EEENS1_28PointwiseOpScalarListFunctorIsLi4ELi3ELi3EEEJSt10multipliesIsEEEEvT_T0_DpT1_.kd
    .uniform_work_group_size: 1
    .uses_dynamic_stack: false
    .vgpr_count:     56
    .vgpr_spill_count: 0
    .wavefront_size: 64
  - .agpr_count:     0
    .args:
      - .offset:         0
        .size:           3328
        .value_kind:     by_value
      - .offset:         3328
        .size:           1
        .value_kind:     by_value
      - .offset:         3329
        .size:           1
        .value_kind:     by_value
      - .offset:         3336
        .size:           4
        .value_kind:     hidden_block_count_x
      - .offset:         3340
        .size:           4
        .value_kind:     hidden_block_count_y
      - .offset:         3344
        .size:           4
        .value_kind:     hidden_block_count_z
      - .offset:         3348
        .size:           2
        .value_kind:     hidden_group_size_x
      - .offset:         3350
        .size:           2
        .value_kind:     hidden_group_size_y
      - .offset:         3352
        .size:           2
        .value_kind:     hidden_group_size_z
      - .offset:         3354
        .size:           2
        .value_kind:     hidden_remainder_x
      - .offset:         3356
        .size:           2
        .value_kind:     hidden_remainder_y
      - .offset:         3358
        .size:           2
        .value_kind:     hidden_remainder_z
      - .offset:         3376
        .size:           8
        .value_kind:     hidden_global_offset_x
      - .offset:         3384
        .size:           8
        .value_kind:     hidden_global_offset_y
      - .offset:         3392
        .size:           8
        .value_kind:     hidden_global_offset_z
      - .offset:         3400
        .size:           2
        .value_kind:     hidden_grid_dims
    .group_segment_fixed_size: 0
    .kernarg_segment_align: 8
    .kernarg_segment_size: 3592
    .language:       OpenCL C
    .language_version:
      - 2
      - 0
    .max_flat_workgroup_size: 512
    .name:           _ZN2at6native12_GLOBAL__N_125multi_tensor_apply_kernelINS1_28TensorListScalarListMetadataIdLi4EEENS1_28PointwiseOpScalarListFunctorIdLi4ELi3ELi3EEEJSt10multipliesIdEEEEvT_T0_DpT1_
    .private_segment_fixed_size: 0
    .sgpr_count:     41
    .sgpr_spill_count: 0
    .symbol:         _ZN2at6native12_GLOBAL__N_125multi_tensor_apply_kernelINS1_28TensorListScalarListMetadataIdLi4EEENS1_28PointwiseOpScalarListFunctorIdLi4ELi3ELi3EEEJSt10multipliesIdEEEEvT_T0_DpT1_.kd
    .uniform_work_group_size: 1
    .uses_dynamic_stack: false
    .vgpr_count:     68
    .vgpr_spill_count: 0
    .wavefront_size: 64
  - .agpr_count:     0
    .args:
      - .offset:         0
        .size:           3184
        .value_kind:     by_value
      - .offset:         3184
        .size:           1
        .value_kind:     by_value
      - .offset:         3185
        .size:           1
        .value_kind:     by_value
      - .offset:         3192
        .size:           4
        .value_kind:     hidden_block_count_x
      - .offset:         3196
        .size:           4
        .value_kind:     hidden_block_count_y
      - .offset:         3200
        .size:           4
        .value_kind:     hidden_block_count_z
      - .offset:         3204
        .size:           2
        .value_kind:     hidden_group_size_x
      - .offset:         3206
        .size:           2
        .value_kind:     hidden_group_size_y
      - .offset:         3208
        .size:           2
        .value_kind:     hidden_group_size_z
      - .offset:         3210
        .size:           2
        .value_kind:     hidden_remainder_x
      - .offset:         3212
        .size:           2
        .value_kind:     hidden_remainder_y
      - .offset:         3214
        .size:           2
        .value_kind:     hidden_remainder_z
      - .offset:         3232
        .size:           8
        .value_kind:     hidden_global_offset_x
      - .offset:         3240
        .size:           8
        .value_kind:     hidden_global_offset_y
      - .offset:         3248
        .size:           8
        .value_kind:     hidden_global_offset_z
      - .offset:         3256
        .size:           2
        .value_kind:     hidden_grid_dims
    .group_segment_fixed_size: 0
    .kernarg_segment_align: 8
    .kernarg_segment_size: 3448
    .language:       OpenCL C
    .language_version:
      - 2
      - 0
    .max_flat_workgroup_size: 512
    .name:           _ZN2at6native12_GLOBAL__N_125multi_tensor_apply_kernelINS1_28TensorListScalarListMetadataIfLi4EEENS1_28PointwiseOpScalarListFunctorIfLi4ELi3ELi3EEEJSt10multipliesIfEEEEvT_T0_DpT1_
    .private_segment_fixed_size: 0
    .sgpr_count:     42
    .sgpr_spill_count: 0
    .symbol:         _ZN2at6native12_GLOBAL__N_125multi_tensor_apply_kernelINS1_28TensorListScalarListMetadataIfLi4EEENS1_28PointwiseOpScalarListFunctorIfLi4ELi3ELi3EEEJSt10multipliesIfEEEEvT_T0_DpT1_.kd
    .uniform_work_group_size: 1
    .uses_dynamic_stack: false
    .vgpr_count:     54
    .vgpr_spill_count: 0
    .wavefront_size: 64
  - .agpr_count:     0
    .args:
      - .offset:         0
        .size:           3616
        .value_kind:     by_value
      - .offset:         3616
        .size:           1
        .value_kind:     by_value
      - .offset:         3617
        .size:           1
        .value_kind:     by_value
      - .offset:         3624
        .size:           4
        .value_kind:     hidden_block_count_x
      - .offset:         3628
        .size:           4
        .value_kind:     hidden_block_count_y
      - .offset:         3632
        .size:           4
        .value_kind:     hidden_block_count_z
      - .offset:         3636
        .size:           2
        .value_kind:     hidden_group_size_x
      - .offset:         3638
        .size:           2
        .value_kind:     hidden_group_size_y
      - .offset:         3640
        .size:           2
        .value_kind:     hidden_group_size_z
      - .offset:         3642
        .size:           2
        .value_kind:     hidden_remainder_x
      - .offset:         3644
        .size:           2
        .value_kind:     hidden_remainder_y
      - .offset:         3646
        .size:           2
        .value_kind:     hidden_remainder_z
      - .offset:         3664
        .size:           8
        .value_kind:     hidden_global_offset_x
      - .offset:         3672
        .size:           8
        .value_kind:     hidden_global_offset_y
      - .offset:         3680
        .size:           8
        .value_kind:     hidden_global_offset_z
      - .offset:         3688
        .size:           2
        .value_kind:     hidden_grid_dims
    .group_segment_fixed_size: 0
    .kernarg_segment_align: 16
    .kernarg_segment_size: 3880
    .language:       OpenCL C
    .language_version:
      - 2
      - 0
    .max_flat_workgroup_size: 512
    .name:           _ZN2at6native12_GLOBAL__N_125multi_tensor_apply_kernelINS1_28TensorListScalarListMetadataIN3c107complexIdEELi4EEENS1_28PointwiseOpScalarListFunctorIS6_Li4ELi3ELi3EEEJSt10multipliesIS6_EEEEvT_T0_DpT1_
    .private_segment_fixed_size: 0
    .sgpr_count:     49
    .sgpr_spill_count: 0
    .symbol:         _ZN2at6native12_GLOBAL__N_125multi_tensor_apply_kernelINS1_28TensorListScalarListMetadataIN3c107complexIdEELi4EEENS1_28PointwiseOpScalarListFunctorIS6_Li4ELi3ELi3EEEJSt10multipliesIS6_EEEEvT_T0_DpT1_.kd
    .uniform_work_group_size: 1
    .uses_dynamic_stack: false
    .vgpr_count:     86
    .vgpr_spill_count: 0
    .wavefront_size: 64
  - .agpr_count:     0
    .args:
      - .offset:         0
        .size:           3328
        .value_kind:     by_value
      - .offset:         3328
        .size:           1
        .value_kind:     by_value
      - .offset:         3329
        .size:           1
        .value_kind:     by_value
      - .offset:         3336
        .size:           4
        .value_kind:     hidden_block_count_x
      - .offset:         3340
        .size:           4
        .value_kind:     hidden_block_count_y
      - .offset:         3344
        .size:           4
        .value_kind:     hidden_block_count_z
      - .offset:         3348
        .size:           2
        .value_kind:     hidden_group_size_x
      - .offset:         3350
        .size:           2
        .value_kind:     hidden_group_size_y
      - .offset:         3352
        .size:           2
        .value_kind:     hidden_group_size_z
      - .offset:         3354
        .size:           2
        .value_kind:     hidden_remainder_x
      - .offset:         3356
        .size:           2
        .value_kind:     hidden_remainder_y
      - .offset:         3358
        .size:           2
        .value_kind:     hidden_remainder_z
      - .offset:         3376
        .size:           8
        .value_kind:     hidden_global_offset_x
      - .offset:         3384
        .size:           8
        .value_kind:     hidden_global_offset_y
      - .offset:         3392
        .size:           8
        .value_kind:     hidden_global_offset_z
      - .offset:         3400
        .size:           2
        .value_kind:     hidden_grid_dims
    .group_segment_fixed_size: 0
    .kernarg_segment_align: 8
    .kernarg_segment_size: 3592
    .language:       OpenCL C
    .language_version:
      - 2
      - 0
    .max_flat_workgroup_size: 512
    .name:           _ZN2at6native12_GLOBAL__N_125multi_tensor_apply_kernelINS1_28TensorListScalarListMetadataIN3c107complexIfEELi4EEENS1_28PointwiseOpScalarListFunctorIS6_Li4ELi3ELi3EEEJSt10multipliesIS6_EEEEvT_T0_DpT1_
    .private_segment_fixed_size: 0
    .sgpr_count:     47
    .sgpr_spill_count: 0
    .symbol:         _ZN2at6native12_GLOBAL__N_125multi_tensor_apply_kernelINS1_28TensorListScalarListMetadataIN3c107complexIfEELi4EEENS1_28PointwiseOpScalarListFunctorIS6_Li4ELi3ELi3EEEJSt10multipliesIS6_EEEEvT_T0_DpT1_.kd
    .uniform_work_group_size: 1
    .uses_dynamic_stack: false
    .vgpr_count:     60
    .vgpr_spill_count: 0
    .wavefront_size: 64
  - .agpr_count:     0
    .args:
      - .offset:         0
        .size:           3184
        .value_kind:     by_value
      - .offset:         3184
        .size:           1
        .value_kind:     by_value
      - .offset:         3185
        .size:           1
        .value_kind:     by_value
      - .offset:         3192
        .size:           4
        .value_kind:     hidden_block_count_x
      - .offset:         3196
        .size:           4
        .value_kind:     hidden_block_count_y
      - .offset:         3200
        .size:           4
        .value_kind:     hidden_block_count_z
      - .offset:         3204
        .size:           2
        .value_kind:     hidden_group_size_x
      - .offset:         3206
        .size:           2
        .value_kind:     hidden_group_size_y
      - .offset:         3208
        .size:           2
        .value_kind:     hidden_group_size_z
      - .offset:         3210
        .size:           2
        .value_kind:     hidden_remainder_x
      - .offset:         3212
        .size:           2
        .value_kind:     hidden_remainder_y
      - .offset:         3214
        .size:           2
        .value_kind:     hidden_remainder_z
      - .offset:         3232
        .size:           8
        .value_kind:     hidden_global_offset_x
      - .offset:         3240
        .size:           8
        .value_kind:     hidden_global_offset_y
      - .offset:         3248
        .size:           8
        .value_kind:     hidden_global_offset_z
      - .offset:         3256
        .size:           2
        .value_kind:     hidden_grid_dims
    .group_segment_fixed_size: 0
    .kernarg_segment_align: 8
    .kernarg_segment_size: 3448
    .language:       OpenCL C
    .language_version:
      - 2
      - 0
    .max_flat_workgroup_size: 512
    .name:           _ZN2at6native12_GLOBAL__N_125multi_tensor_apply_kernelINS1_28TensorListScalarListMetadataIfLi4EEENS1_28PointwiseOpScalarListFunctorIN3c104HalfELi4ELi3ELi3EEEJSt10multipliesIfEEEEvT_T0_DpT1_
    .private_segment_fixed_size: 0
    .sgpr_count:     42
    .sgpr_spill_count: 0
    .symbol:         _ZN2at6native12_GLOBAL__N_125multi_tensor_apply_kernelINS1_28TensorListScalarListMetadataIfLi4EEENS1_28PointwiseOpScalarListFunctorIN3c104HalfELi4ELi3ELi3EEEJSt10multipliesIfEEEEvT_T0_DpT1_.kd
    .uniform_work_group_size: 1
    .uses_dynamic_stack: false
    .vgpr_count:     54
    .vgpr_spill_count: 0
    .wavefront_size: 64
  - .agpr_count:     0
    .args:
      - .offset:         0
        .size:           3184
        .value_kind:     by_value
      - .offset:         3184
        .size:           1
        .value_kind:     by_value
      - .offset:         3185
        .size:           1
        .value_kind:     by_value
      - .offset:         3192
        .size:           4
        .value_kind:     hidden_block_count_x
      - .offset:         3196
        .size:           4
        .value_kind:     hidden_block_count_y
      - .offset:         3200
        .size:           4
        .value_kind:     hidden_block_count_z
      - .offset:         3204
        .size:           2
        .value_kind:     hidden_group_size_x
      - .offset:         3206
        .size:           2
        .value_kind:     hidden_group_size_y
      - .offset:         3208
        .size:           2
        .value_kind:     hidden_group_size_z
      - .offset:         3210
        .size:           2
        .value_kind:     hidden_remainder_x
      - .offset:         3212
        .size:           2
        .value_kind:     hidden_remainder_y
      - .offset:         3214
        .size:           2
        .value_kind:     hidden_remainder_z
      - .offset:         3232
        .size:           8
        .value_kind:     hidden_global_offset_x
      - .offset:         3240
        .size:           8
        .value_kind:     hidden_global_offset_y
      - .offset:         3248
        .size:           8
        .value_kind:     hidden_global_offset_z
      - .offset:         3256
        .size:           2
        .value_kind:     hidden_grid_dims
    .group_segment_fixed_size: 0
    .kernarg_segment_align: 8
    .kernarg_segment_size: 3448
    .language:       OpenCL C
    .language_version:
      - 2
      - 0
    .max_flat_workgroup_size: 512
    .name:           _ZN2at6native12_GLOBAL__N_125multi_tensor_apply_kernelINS1_28TensorListScalarListMetadataIfLi4EEENS1_28PointwiseOpScalarListFunctorIN3c108BFloat16ELi4ELi3ELi3EEEJSt10multipliesIfEEEEvT_T0_DpT1_
    .private_segment_fixed_size: 0
    .sgpr_count:     42
    .sgpr_spill_count: 0
    .symbol:         _ZN2at6native12_GLOBAL__N_125multi_tensor_apply_kernelINS1_28TensorListScalarListMetadataIfLi4EEENS1_28PointwiseOpScalarListFunctorIN3c108BFloat16ELi4ELi3ELi3EEEJSt10multipliesIfEEEEvT_T0_DpT1_.kd
    .uniform_work_group_size: 1
    .uses_dynamic_stack: false
    .vgpr_count:     56
    .vgpr_spill_count: 0
    .wavefront_size: 64
  - .agpr_count:     0
    .args:
      - .offset:         0
        .size:           3184
        .value_kind:     by_value
      - .offset:         3184
        .size:           1
        .value_kind:     by_value
      - .offset:         3185
        .size:           1
        .value_kind:     by_value
      - .offset:         3192
        .size:           4
        .value_kind:     hidden_block_count_x
      - .offset:         3196
        .size:           4
        .value_kind:     hidden_block_count_y
      - .offset:         3200
        .size:           4
        .value_kind:     hidden_block_count_z
      - .offset:         3204
        .size:           2
        .value_kind:     hidden_group_size_x
      - .offset:         3206
        .size:           2
        .value_kind:     hidden_group_size_y
      - .offset:         3208
        .size:           2
        .value_kind:     hidden_group_size_z
      - .offset:         3210
        .size:           2
        .value_kind:     hidden_remainder_x
      - .offset:         3212
        .size:           2
        .value_kind:     hidden_remainder_y
      - .offset:         3214
        .size:           2
        .value_kind:     hidden_remainder_z
      - .offset:         3232
        .size:           8
        .value_kind:     hidden_global_offset_x
      - .offset:         3240
        .size:           8
        .value_kind:     hidden_global_offset_y
      - .offset:         3248
        .size:           8
        .value_kind:     hidden_global_offset_z
      - .offset:         3256
        .size:           2
        .value_kind:     hidden_grid_dims
    .group_segment_fixed_size: 0
    .kernarg_segment_align: 8
    .kernarg_segment_size: 3448
    .language:       OpenCL C
    .language_version:
      - 2
      - 0
    .max_flat_workgroup_size: 512
    .name:           _ZN2at6native12_GLOBAL__N_125multi_tensor_apply_kernelINS1_28TensorListScalarListMetadataIhLi3EEENS1_28PointwiseOpScalarListFunctorIhLi3ELi3ELi0EEEJSt10multipliesIhEEEEvT_T0_DpT1_
    .private_segment_fixed_size: 0
    .sgpr_count:     29
    .sgpr_spill_count: 0
    .symbol:         _ZN2at6native12_GLOBAL__N_125multi_tensor_apply_kernelINS1_28TensorListScalarListMetadataIhLi3EEENS1_28PointwiseOpScalarListFunctorIhLi3ELi3ELi0EEEJSt10multipliesIhEEEEvT_T0_DpT1_.kd
    .uniform_work_group_size: 1
    .uses_dynamic_stack: false
    .vgpr_count:     48
    .vgpr_spill_count: 0
    .wavefront_size: 64
  - .agpr_count:     0
    .args:
      - .offset:         0
        .size:           3184
        .value_kind:     by_value
      - .offset:         3184
        .size:           1
        .value_kind:     by_value
      - .offset:         3185
        .size:           1
        .value_kind:     by_value
      - .offset:         3192
        .size:           4
        .value_kind:     hidden_block_count_x
      - .offset:         3196
        .size:           4
        .value_kind:     hidden_block_count_y
      - .offset:         3200
        .size:           4
        .value_kind:     hidden_block_count_z
      - .offset:         3204
        .size:           2
        .value_kind:     hidden_group_size_x
      - .offset:         3206
        .size:           2
        .value_kind:     hidden_group_size_y
      - .offset:         3208
        .size:           2
        .value_kind:     hidden_group_size_z
      - .offset:         3210
        .size:           2
        .value_kind:     hidden_remainder_x
      - .offset:         3212
        .size:           2
        .value_kind:     hidden_remainder_y
      - .offset:         3214
        .size:           2
        .value_kind:     hidden_remainder_z
      - .offset:         3232
        .size:           8
        .value_kind:     hidden_global_offset_x
      - .offset:         3240
        .size:           8
        .value_kind:     hidden_global_offset_y
      - .offset:         3248
        .size:           8
        .value_kind:     hidden_global_offset_z
      - .offset:         3256
        .size:           2
        .value_kind:     hidden_grid_dims
    .group_segment_fixed_size: 0
    .kernarg_segment_align: 8
    .kernarg_segment_size: 3448
    .language:       OpenCL C
    .language_version:
      - 2
      - 0
    .max_flat_workgroup_size: 512
    .name:           _ZN2at6native12_GLOBAL__N_125multi_tensor_apply_kernelINS1_28TensorListScalarListMetadataIaLi3EEENS1_28PointwiseOpScalarListFunctorIaLi3ELi3ELi0EEEJSt10multipliesIaEEEEvT_T0_DpT1_
    .private_segment_fixed_size: 0
    .sgpr_count:     29
    .sgpr_spill_count: 0
    .symbol:         _ZN2at6native12_GLOBAL__N_125multi_tensor_apply_kernelINS1_28TensorListScalarListMetadataIaLi3EEENS1_28PointwiseOpScalarListFunctorIaLi3ELi3ELi0EEEJSt10multipliesIaEEEEvT_T0_DpT1_.kd
    .uniform_work_group_size: 1
    .uses_dynamic_stack: false
    .vgpr_count:     48
    .vgpr_spill_count: 0
    .wavefront_size: 64
  - .agpr_count:     0
    .args:
      - .offset:         0
        .size:           3328
        .value_kind:     by_value
      - .offset:         3328
        .size:           1
        .value_kind:     by_value
      - .offset:         3329
        .size:           1
        .value_kind:     by_value
      - .offset:         3336
        .size:           4
        .value_kind:     hidden_block_count_x
      - .offset:         3340
        .size:           4
        .value_kind:     hidden_block_count_y
      - .offset:         3344
        .size:           4
        .value_kind:     hidden_block_count_z
      - .offset:         3348
        .size:           2
        .value_kind:     hidden_group_size_x
      - .offset:         3350
        .size:           2
        .value_kind:     hidden_group_size_y
      - .offset:         3352
        .size:           2
        .value_kind:     hidden_group_size_z
      - .offset:         3354
        .size:           2
        .value_kind:     hidden_remainder_x
      - .offset:         3356
        .size:           2
        .value_kind:     hidden_remainder_y
      - .offset:         3358
        .size:           2
        .value_kind:     hidden_remainder_z
      - .offset:         3376
        .size:           8
        .value_kind:     hidden_global_offset_x
      - .offset:         3384
        .size:           8
        .value_kind:     hidden_global_offset_y
      - .offset:         3392
        .size:           8
        .value_kind:     hidden_global_offset_z
      - .offset:         3400
        .size:           2
        .value_kind:     hidden_grid_dims
    .group_segment_fixed_size: 0
    .kernarg_segment_align: 8
    .kernarg_segment_size: 3592
    .language:       OpenCL C
    .language_version:
      - 2
      - 0
    .max_flat_workgroup_size: 512
    .name:           _ZN2at6native12_GLOBAL__N_125multi_tensor_apply_kernelINS1_28TensorListScalarListMetadataIiLi3EEENS1_28PointwiseOpScalarListFunctorIiLi3ELi3ELi0EEEJSt10multipliesIiEEEEvT_T0_DpT1_
    .private_segment_fixed_size: 0
    .sgpr_count:     34
    .sgpr_spill_count: 0
    .symbol:         _ZN2at6native12_GLOBAL__N_125multi_tensor_apply_kernelINS1_28TensorListScalarListMetadataIiLi3EEENS1_28PointwiseOpScalarListFunctorIiLi3ELi3ELi0EEEJSt10multipliesIiEEEEvT_T0_DpT1_.kd
    .uniform_work_group_size: 1
    .uses_dynamic_stack: false
    .vgpr_count:     48
    .vgpr_spill_count: 0
    .wavefront_size: 64
  - .agpr_count:     0
    .args:
      - .offset:         0
        .size:           3520
        .value_kind:     by_value
      - .offset:         3520
        .size:           1
        .value_kind:     by_value
      - .offset:         3521
        .size:           1
        .value_kind:     by_value
      - .offset:         3528
        .size:           4
        .value_kind:     hidden_block_count_x
      - .offset:         3532
        .size:           4
        .value_kind:     hidden_block_count_y
      - .offset:         3536
        .size:           4
        .value_kind:     hidden_block_count_z
      - .offset:         3540
        .size:           2
        .value_kind:     hidden_group_size_x
      - .offset:         3542
        .size:           2
        .value_kind:     hidden_group_size_y
      - .offset:         3544
        .size:           2
        .value_kind:     hidden_group_size_z
      - .offset:         3546
        .size:           2
        .value_kind:     hidden_remainder_x
      - .offset:         3548
        .size:           2
        .value_kind:     hidden_remainder_y
      - .offset:         3550
        .size:           2
        .value_kind:     hidden_remainder_z
      - .offset:         3568
        .size:           8
        .value_kind:     hidden_global_offset_x
      - .offset:         3576
        .size:           8
        .value_kind:     hidden_global_offset_y
      - .offset:         3584
        .size:           8
        .value_kind:     hidden_global_offset_z
      - .offset:         3592
        .size:           2
        .value_kind:     hidden_grid_dims
    .group_segment_fixed_size: 0
    .kernarg_segment_align: 8
    .kernarg_segment_size: 3784
    .language:       OpenCL C
    .language_version:
      - 2
      - 0
    .max_flat_workgroup_size: 512
    .name:           _ZN2at6native12_GLOBAL__N_125multi_tensor_apply_kernelINS1_28TensorListScalarListMetadataIlLi3EEENS1_28PointwiseOpScalarListFunctorIlLi3ELi3ELi0EEEJSt10multipliesIlEEEEvT_T0_DpT1_
    .private_segment_fixed_size: 0
    .sgpr_count:     35
    .sgpr_spill_count: 0
    .symbol:         _ZN2at6native12_GLOBAL__N_125multi_tensor_apply_kernelINS1_28TensorListScalarListMetadataIlLi3EEENS1_28PointwiseOpScalarListFunctorIlLi3ELi3ELi0EEEJSt10multipliesIlEEEEvT_T0_DpT1_.kd
    .uniform_work_group_size: 1
    .uses_dynamic_stack: false
    .vgpr_count:     60
    .vgpr_spill_count: 0
    .wavefront_size: 64
  - .agpr_count:     0
    .args:
      - .offset:         0
        .size:           3232
        .value_kind:     by_value
      - .offset:         3232
        .size:           1
        .value_kind:     by_value
      - .offset:         3233
        .size:           1
        .value_kind:     by_value
      - .offset:         3240
        .size:           4
        .value_kind:     hidden_block_count_x
      - .offset:         3244
        .size:           4
        .value_kind:     hidden_block_count_y
      - .offset:         3248
        .size:           4
        .value_kind:     hidden_block_count_z
      - .offset:         3252
        .size:           2
        .value_kind:     hidden_group_size_x
      - .offset:         3254
        .size:           2
        .value_kind:     hidden_group_size_y
      - .offset:         3256
        .size:           2
        .value_kind:     hidden_group_size_z
      - .offset:         3258
        .size:           2
        .value_kind:     hidden_remainder_x
      - .offset:         3260
        .size:           2
        .value_kind:     hidden_remainder_y
      - .offset:         3262
        .size:           2
        .value_kind:     hidden_remainder_z
      - .offset:         3280
        .size:           8
        .value_kind:     hidden_global_offset_x
      - .offset:         3288
        .size:           8
        .value_kind:     hidden_global_offset_y
      - .offset:         3296
        .size:           8
        .value_kind:     hidden_global_offset_z
      - .offset:         3304
        .size:           2
        .value_kind:     hidden_grid_dims
    .group_segment_fixed_size: 0
    .kernarg_segment_align: 8
    .kernarg_segment_size: 3496
    .language:       OpenCL C
    .language_version:
      - 2
      - 0
    .max_flat_workgroup_size: 512
    .name:           _ZN2at6native12_GLOBAL__N_125multi_tensor_apply_kernelINS1_28TensorListScalarListMetadataIsLi3EEENS1_28PointwiseOpScalarListFunctorIsLi3ELi3ELi0EEEJSt10multipliesIsEEEEvT_T0_DpT1_
    .private_segment_fixed_size: 0
    .sgpr_count:     33
    .sgpr_spill_count: 0
    .symbol:         _ZN2at6native12_GLOBAL__N_125multi_tensor_apply_kernelINS1_28TensorListScalarListMetadataIsLi3EEENS1_28PointwiseOpScalarListFunctorIsLi3ELi3ELi0EEEJSt10multipliesIsEEEEvT_T0_DpT1_.kd
    .uniform_work_group_size: 1
    .uses_dynamic_stack: false
    .vgpr_count:     48
    .vgpr_spill_count: 0
    .wavefront_size: 64
  - .agpr_count:     0
    .args:
      - .offset:         0
        .size:           3520
        .value_kind:     by_value
      - .offset:         3520
        .size:           1
        .value_kind:     by_value
      - .offset:         3521
        .size:           1
        .value_kind:     by_value
      - .offset:         3528
        .size:           4
        .value_kind:     hidden_block_count_x
      - .offset:         3532
        .size:           4
        .value_kind:     hidden_block_count_y
      - .offset:         3536
        .size:           4
        .value_kind:     hidden_block_count_z
      - .offset:         3540
        .size:           2
        .value_kind:     hidden_group_size_x
      - .offset:         3542
        .size:           2
        .value_kind:     hidden_group_size_y
      - .offset:         3544
        .size:           2
        .value_kind:     hidden_group_size_z
      - .offset:         3546
        .size:           2
        .value_kind:     hidden_remainder_x
      - .offset:         3548
        .size:           2
        .value_kind:     hidden_remainder_y
      - .offset:         3550
        .size:           2
        .value_kind:     hidden_remainder_z
      - .offset:         3568
        .size:           8
        .value_kind:     hidden_global_offset_x
      - .offset:         3576
        .size:           8
        .value_kind:     hidden_global_offset_y
      - .offset:         3584
        .size:           8
        .value_kind:     hidden_global_offset_z
      - .offset:         3592
        .size:           2
        .value_kind:     hidden_grid_dims
    .group_segment_fixed_size: 0
    .kernarg_segment_align: 8
    .kernarg_segment_size: 3784
    .language:       OpenCL C
    .language_version:
      - 2
      - 0
    .max_flat_workgroup_size: 512
    .name:           _ZN2at6native12_GLOBAL__N_125multi_tensor_apply_kernelINS1_28TensorListScalarListMetadataIdLi3EEENS1_28PointwiseOpScalarListFunctorIdLi3ELi3ELi0EEEJSt10multipliesIdEEEEvT_T0_DpT1_
    .private_segment_fixed_size: 0
    .sgpr_count:     38
    .sgpr_spill_count: 0
    .symbol:         _ZN2at6native12_GLOBAL__N_125multi_tensor_apply_kernelINS1_28TensorListScalarListMetadataIdLi3EEENS1_28PointwiseOpScalarListFunctorIdLi3ELi3ELi0EEEJSt10multipliesIdEEEEvT_T0_DpT1_.kd
    .uniform_work_group_size: 1
    .uses_dynamic_stack: false
    .vgpr_count:     60
    .vgpr_spill_count: 0
    .wavefront_size: 64
  - .agpr_count:     0
    .args:
      - .offset:         0
        .size:           3328
        .value_kind:     by_value
      - .offset:         3328
        .size:           1
        .value_kind:     by_value
      - .offset:         3329
        .size:           1
        .value_kind:     by_value
      - .offset:         3336
        .size:           4
        .value_kind:     hidden_block_count_x
      - .offset:         3340
        .size:           4
        .value_kind:     hidden_block_count_y
      - .offset:         3344
        .size:           4
        .value_kind:     hidden_block_count_z
      - .offset:         3348
        .size:           2
        .value_kind:     hidden_group_size_x
      - .offset:         3350
        .size:           2
        .value_kind:     hidden_group_size_y
      - .offset:         3352
        .size:           2
        .value_kind:     hidden_group_size_z
      - .offset:         3354
        .size:           2
        .value_kind:     hidden_remainder_x
      - .offset:         3356
        .size:           2
        .value_kind:     hidden_remainder_y
      - .offset:         3358
        .size:           2
        .value_kind:     hidden_remainder_z
      - .offset:         3376
        .size:           8
        .value_kind:     hidden_global_offset_x
      - .offset:         3384
        .size:           8
        .value_kind:     hidden_global_offset_y
      - .offset:         3392
        .size:           8
        .value_kind:     hidden_global_offset_z
      - .offset:         3400
        .size:           2
        .value_kind:     hidden_grid_dims
    .group_segment_fixed_size: 0
    .kernarg_segment_align: 8
    .kernarg_segment_size: 3592
    .language:       OpenCL C
    .language_version:
      - 2
      - 0
    .max_flat_workgroup_size: 512
    .name:           _ZN2at6native12_GLOBAL__N_125multi_tensor_apply_kernelINS1_28TensorListScalarListMetadataIfLi3EEENS1_28PointwiseOpScalarListFunctorIfLi3ELi3ELi0EEEJSt10multipliesIfEEEEvT_T0_DpT1_
    .private_segment_fixed_size: 0
    .sgpr_count:     39
    .sgpr_spill_count: 0
    .symbol:         _ZN2at6native12_GLOBAL__N_125multi_tensor_apply_kernelINS1_28TensorListScalarListMetadataIfLi3EEENS1_28PointwiseOpScalarListFunctorIfLi3ELi3ELi0EEEJSt10multipliesIfEEEEvT_T0_DpT1_.kd
    .uniform_work_group_size: 1
    .uses_dynamic_stack: false
    .vgpr_count:     46
    .vgpr_spill_count: 0
    .wavefront_size: 64
  - .agpr_count:     0
    .args:
      - .offset:         0
        .size:           3904
        .value_kind:     by_value
      - .offset:         3904
        .size:           1
        .value_kind:     by_value
      - .offset:         3905
        .size:           1
        .value_kind:     by_value
      - .offset:         3912
        .size:           4
        .value_kind:     hidden_block_count_x
      - .offset:         3916
        .size:           4
        .value_kind:     hidden_block_count_y
      - .offset:         3920
        .size:           4
        .value_kind:     hidden_block_count_z
      - .offset:         3924
        .size:           2
        .value_kind:     hidden_group_size_x
      - .offset:         3926
        .size:           2
        .value_kind:     hidden_group_size_y
      - .offset:         3928
        .size:           2
        .value_kind:     hidden_group_size_z
      - .offset:         3930
        .size:           2
        .value_kind:     hidden_remainder_x
      - .offset:         3932
        .size:           2
        .value_kind:     hidden_remainder_y
      - .offset:         3934
        .size:           2
        .value_kind:     hidden_remainder_z
      - .offset:         3952
        .size:           8
        .value_kind:     hidden_global_offset_x
      - .offset:         3960
        .size:           8
        .value_kind:     hidden_global_offset_y
      - .offset:         3968
        .size:           8
        .value_kind:     hidden_global_offset_z
      - .offset:         3976
        .size:           2
        .value_kind:     hidden_grid_dims
    .group_segment_fixed_size: 0
    .kernarg_segment_align: 16
    .kernarg_segment_size: 4168
    .language:       OpenCL C
    .language_version:
      - 2
      - 0
    .max_flat_workgroup_size: 512
    .name:           _ZN2at6native12_GLOBAL__N_125multi_tensor_apply_kernelINS1_28TensorListScalarListMetadataIN3c107complexIdEELi3EEENS1_28PointwiseOpScalarListFunctorIS6_Li3ELi3ELi0EEEJSt10multipliesIS6_EEEEvT_T0_DpT1_
    .private_segment_fixed_size: 0
    .sgpr_count:     47
    .sgpr_spill_count: 0
    .symbol:         _ZN2at6native12_GLOBAL__N_125multi_tensor_apply_kernelINS1_28TensorListScalarListMetadataIN3c107complexIdEELi3EEENS1_28PointwiseOpScalarListFunctorIS6_Li3ELi3ELi0EEEJSt10multipliesIS6_EEEEvT_T0_DpT1_.kd
    .uniform_work_group_size: 1
    .uses_dynamic_stack: false
    .vgpr_count:     78
    .vgpr_spill_count: 0
    .wavefront_size: 64
  - .agpr_count:     0
    .args:
      - .offset:         0
        .size:           3520
        .value_kind:     by_value
      - .offset:         3520
        .size:           1
        .value_kind:     by_value
      - .offset:         3521
        .size:           1
        .value_kind:     by_value
      - .offset:         3528
        .size:           4
        .value_kind:     hidden_block_count_x
      - .offset:         3532
        .size:           4
        .value_kind:     hidden_block_count_y
      - .offset:         3536
        .size:           4
        .value_kind:     hidden_block_count_z
      - .offset:         3540
        .size:           2
        .value_kind:     hidden_group_size_x
      - .offset:         3542
        .size:           2
        .value_kind:     hidden_group_size_y
      - .offset:         3544
        .size:           2
        .value_kind:     hidden_group_size_z
      - .offset:         3546
        .size:           2
        .value_kind:     hidden_remainder_x
      - .offset:         3548
        .size:           2
        .value_kind:     hidden_remainder_y
      - .offset:         3550
        .size:           2
        .value_kind:     hidden_remainder_z
      - .offset:         3568
        .size:           8
        .value_kind:     hidden_global_offset_x
      - .offset:         3576
        .size:           8
        .value_kind:     hidden_global_offset_y
      - .offset:         3584
        .size:           8
        .value_kind:     hidden_global_offset_z
      - .offset:         3592
        .size:           2
        .value_kind:     hidden_grid_dims
    .group_segment_fixed_size: 0
    .kernarg_segment_align: 8
    .kernarg_segment_size: 3784
    .language:       OpenCL C
    .language_version:
      - 2
      - 0
    .max_flat_workgroup_size: 512
    .name:           _ZN2at6native12_GLOBAL__N_125multi_tensor_apply_kernelINS1_28TensorListScalarListMetadataIN3c107complexIfEELi3EEENS1_28PointwiseOpScalarListFunctorIS6_Li3ELi3ELi0EEEJSt10multipliesIS6_EEEEvT_T0_DpT1_
    .private_segment_fixed_size: 0
    .sgpr_count:     38
    .sgpr_spill_count: 0
    .symbol:         _ZN2at6native12_GLOBAL__N_125multi_tensor_apply_kernelINS1_28TensorListScalarListMetadataIN3c107complexIfEELi3EEENS1_28PointwiseOpScalarListFunctorIS6_Li3ELi3ELi0EEEJSt10multipliesIS6_EEEEvT_T0_DpT1_.kd
    .uniform_work_group_size: 1
    .uses_dynamic_stack: false
    .vgpr_count:     56
    .vgpr_spill_count: 0
    .wavefront_size: 64
  - .agpr_count:     0
    .args:
      - .offset:         0
        .size:           3328
        .value_kind:     by_value
      - .offset:         3328
        .size:           1
        .value_kind:     by_value
      - .offset:         3329
        .size:           1
        .value_kind:     by_value
      - .offset:         3336
        .size:           4
        .value_kind:     hidden_block_count_x
      - .offset:         3340
        .size:           4
        .value_kind:     hidden_block_count_y
      - .offset:         3344
        .size:           4
        .value_kind:     hidden_block_count_z
      - .offset:         3348
        .size:           2
        .value_kind:     hidden_group_size_x
      - .offset:         3350
        .size:           2
        .value_kind:     hidden_group_size_y
      - .offset:         3352
        .size:           2
        .value_kind:     hidden_group_size_z
      - .offset:         3354
        .size:           2
        .value_kind:     hidden_remainder_x
      - .offset:         3356
        .size:           2
        .value_kind:     hidden_remainder_y
      - .offset:         3358
        .size:           2
        .value_kind:     hidden_remainder_z
      - .offset:         3376
        .size:           8
        .value_kind:     hidden_global_offset_x
      - .offset:         3384
        .size:           8
        .value_kind:     hidden_global_offset_y
      - .offset:         3392
        .size:           8
        .value_kind:     hidden_global_offset_z
      - .offset:         3400
        .size:           2
        .value_kind:     hidden_grid_dims
    .group_segment_fixed_size: 0
    .kernarg_segment_align: 8
    .kernarg_segment_size: 3592
    .language:       OpenCL C
    .language_version:
      - 2
      - 0
    .max_flat_workgroup_size: 512
    .name:           _ZN2at6native12_GLOBAL__N_125multi_tensor_apply_kernelINS1_28TensorListScalarListMetadataIfLi3EEENS1_28PointwiseOpScalarListFunctorIN3c104HalfELi3ELi3ELi0EEEJSt10multipliesIfEEEEvT_T0_DpT1_
    .private_segment_fixed_size: 0
    .sgpr_count:     39
    .sgpr_spill_count: 0
    .symbol:         _ZN2at6native12_GLOBAL__N_125multi_tensor_apply_kernelINS1_28TensorListScalarListMetadataIfLi3EEENS1_28PointwiseOpScalarListFunctorIN3c104HalfELi3ELi3ELi0EEEJSt10multipliesIfEEEEvT_T0_DpT1_.kd
    .uniform_work_group_size: 1
    .uses_dynamic_stack: false
    .vgpr_count:     46
    .vgpr_spill_count: 0
    .wavefront_size: 64
  - .agpr_count:     0
    .args:
      - .offset:         0
        .size:           3328
        .value_kind:     by_value
      - .offset:         3328
        .size:           1
        .value_kind:     by_value
      - .offset:         3329
        .size:           1
        .value_kind:     by_value
      - .offset:         3336
        .size:           4
        .value_kind:     hidden_block_count_x
      - .offset:         3340
        .size:           4
        .value_kind:     hidden_block_count_y
      - .offset:         3344
        .size:           4
        .value_kind:     hidden_block_count_z
      - .offset:         3348
        .size:           2
        .value_kind:     hidden_group_size_x
      - .offset:         3350
        .size:           2
        .value_kind:     hidden_group_size_y
      - .offset:         3352
        .size:           2
        .value_kind:     hidden_group_size_z
      - .offset:         3354
        .size:           2
        .value_kind:     hidden_remainder_x
      - .offset:         3356
        .size:           2
        .value_kind:     hidden_remainder_y
      - .offset:         3358
        .size:           2
        .value_kind:     hidden_remainder_z
      - .offset:         3376
        .size:           8
        .value_kind:     hidden_global_offset_x
      - .offset:         3384
        .size:           8
        .value_kind:     hidden_global_offset_y
      - .offset:         3392
        .size:           8
        .value_kind:     hidden_global_offset_z
      - .offset:         3400
        .size:           2
        .value_kind:     hidden_grid_dims
    .group_segment_fixed_size: 0
    .kernarg_segment_align: 8
    .kernarg_segment_size: 3592
    .language:       OpenCL C
    .language_version:
      - 2
      - 0
    .max_flat_workgroup_size: 512
    .name:           _ZN2at6native12_GLOBAL__N_125multi_tensor_apply_kernelINS1_28TensorListScalarListMetadataIfLi3EEENS1_28PointwiseOpScalarListFunctorIN3c108BFloat16ELi3ELi3ELi0EEEJSt10multipliesIfEEEEvT_T0_DpT1_
    .private_segment_fixed_size: 0
    .sgpr_count:     40
    .sgpr_spill_count: 0
    .symbol:         _ZN2at6native12_GLOBAL__N_125multi_tensor_apply_kernelINS1_28TensorListScalarListMetadataIfLi3EEENS1_28PointwiseOpScalarListFunctorIN3c108BFloat16ELi3ELi3ELi0EEEJSt10multipliesIfEEEEvT_T0_DpT1_.kd
    .uniform_work_group_size: 1
    .uses_dynamic_stack: false
    .vgpr_count:     48
    .vgpr_spill_count: 0
    .wavefront_size: 64
  - .agpr_count:     0
    .args:
      - .offset:         0
        .size:           3080
        .value_kind:     by_value
      - .offset:         3080
        .size:           1
        .value_kind:     by_value
      - .offset:         3081
        .size:           1
        .value_kind:     by_value
      - .offset:         3088
        .size:           4
        .value_kind:     hidden_block_count_x
      - .offset:         3092
        .size:           4
        .value_kind:     hidden_block_count_y
      - .offset:         3096
        .size:           4
        .value_kind:     hidden_block_count_z
      - .offset:         3100
        .size:           2
        .value_kind:     hidden_group_size_x
      - .offset:         3102
        .size:           2
        .value_kind:     hidden_group_size_y
      - .offset:         3104
        .size:           2
        .value_kind:     hidden_group_size_z
      - .offset:         3106
        .size:           2
        .value_kind:     hidden_remainder_x
      - .offset:         3108
        .size:           2
        .value_kind:     hidden_remainder_y
      - .offset:         3110
        .size:           2
        .value_kind:     hidden_remainder_z
      - .offset:         3128
        .size:           8
        .value_kind:     hidden_global_offset_x
      - .offset:         3136
        .size:           8
        .value_kind:     hidden_global_offset_y
      - .offset:         3144
        .size:           8
        .value_kind:     hidden_global_offset_z
      - .offset:         3152
        .size:           2
        .value_kind:     hidden_grid_dims
    .group_segment_fixed_size: 0
    .kernarg_segment_align: 8
    .kernarg_segment_size: 3344
    .language:       OpenCL C
    .language_version:
      - 2
      - 0
    .max_flat_workgroup_size: 512
    .name:           _ZN2at6native12_GLOBAL__N_125multi_tensor_apply_kernelINS1_28TensorListScalarListMetadataIhLi4EEENS1_28PointwiseOpScalarListFunctorIhLi4ELi3ELi3EEEJSt7dividesIhEEEEvT_T0_DpT1_
    .private_segment_fixed_size: 0
    .sgpr_count:     33
    .sgpr_spill_count: 0
    .symbol:         _ZN2at6native12_GLOBAL__N_125multi_tensor_apply_kernelINS1_28TensorListScalarListMetadataIhLi4EEENS1_28PointwiseOpScalarListFunctorIhLi4ELi3ELi3EEEJSt7dividesIhEEEEvT_T0_DpT1_.kd
    .uniform_work_group_size: 1
    .uses_dynamic_stack: false
    .vgpr_count:     56
    .vgpr_spill_count: 0
    .wavefront_size: 64
  - .agpr_count:     0
    .args:
      - .offset:         0
        .size:           3080
        .value_kind:     by_value
      - .offset:         3080
        .size:           1
        .value_kind:     by_value
      - .offset:         3081
        .size:           1
        .value_kind:     by_value
      - .offset:         3088
        .size:           4
        .value_kind:     hidden_block_count_x
      - .offset:         3092
        .size:           4
        .value_kind:     hidden_block_count_y
      - .offset:         3096
        .size:           4
        .value_kind:     hidden_block_count_z
      - .offset:         3100
        .size:           2
        .value_kind:     hidden_group_size_x
      - .offset:         3102
        .size:           2
        .value_kind:     hidden_group_size_y
      - .offset:         3104
        .size:           2
        .value_kind:     hidden_group_size_z
      - .offset:         3106
        .size:           2
        .value_kind:     hidden_remainder_x
      - .offset:         3108
        .size:           2
        .value_kind:     hidden_remainder_y
      - .offset:         3110
        .size:           2
        .value_kind:     hidden_remainder_z
      - .offset:         3128
        .size:           8
        .value_kind:     hidden_global_offset_x
      - .offset:         3136
        .size:           8
        .value_kind:     hidden_global_offset_y
      - .offset:         3144
        .size:           8
        .value_kind:     hidden_global_offset_z
      - .offset:         3152
        .size:           2
        .value_kind:     hidden_grid_dims
    .group_segment_fixed_size: 0
    .kernarg_segment_align: 8
    .kernarg_segment_size: 3344
    .language:       OpenCL C
    .language_version:
      - 2
      - 0
    .max_flat_workgroup_size: 512
    .name:           _ZN2at6native12_GLOBAL__N_125multi_tensor_apply_kernelINS1_28TensorListScalarListMetadataIaLi4EEENS1_28PointwiseOpScalarListFunctorIaLi4ELi3ELi3EEEJSt7dividesIaEEEEvT_T0_DpT1_
    .private_segment_fixed_size: 0
    .sgpr_count:     33
    .sgpr_spill_count: 0
    .symbol:         _ZN2at6native12_GLOBAL__N_125multi_tensor_apply_kernelINS1_28TensorListScalarListMetadataIaLi4EEENS1_28PointwiseOpScalarListFunctorIaLi4ELi3ELi3EEEJSt7dividesIaEEEEvT_T0_DpT1_.kd
    .uniform_work_group_size: 1
    .uses_dynamic_stack: false
    .vgpr_count:     56
    .vgpr_spill_count: 0
    .wavefront_size: 64
  - .agpr_count:     0
    .args:
      - .offset:         0
        .size:           3184
        .value_kind:     by_value
      - .offset:         3184
        .size:           1
        .value_kind:     by_value
      - .offset:         3185
        .size:           1
        .value_kind:     by_value
      - .offset:         3192
        .size:           4
        .value_kind:     hidden_block_count_x
      - .offset:         3196
        .size:           4
        .value_kind:     hidden_block_count_y
      - .offset:         3200
        .size:           4
        .value_kind:     hidden_block_count_z
      - .offset:         3204
        .size:           2
        .value_kind:     hidden_group_size_x
      - .offset:         3206
        .size:           2
        .value_kind:     hidden_group_size_y
      - .offset:         3208
        .size:           2
        .value_kind:     hidden_group_size_z
      - .offset:         3210
        .size:           2
        .value_kind:     hidden_remainder_x
      - .offset:         3212
        .size:           2
        .value_kind:     hidden_remainder_y
      - .offset:         3214
        .size:           2
        .value_kind:     hidden_remainder_z
      - .offset:         3232
        .size:           8
        .value_kind:     hidden_global_offset_x
      - .offset:         3240
        .size:           8
        .value_kind:     hidden_global_offset_y
      - .offset:         3248
        .size:           8
        .value_kind:     hidden_global_offset_z
      - .offset:         3256
        .size:           2
        .value_kind:     hidden_grid_dims
    .group_segment_fixed_size: 0
    .kernarg_segment_align: 8
    .kernarg_segment_size: 3448
    .language:       OpenCL C
    .language_version:
      - 2
      - 0
    .max_flat_workgroup_size: 512
    .name:           _ZN2at6native12_GLOBAL__N_125multi_tensor_apply_kernelINS1_28TensorListScalarListMetadataIiLi4EEENS1_28PointwiseOpScalarListFunctorIiLi4ELi3ELi3EEEJSt7dividesIiEEEEvT_T0_DpT1_
    .private_segment_fixed_size: 0
    .sgpr_count:     36
    .sgpr_spill_count: 0
    .symbol:         _ZN2at6native12_GLOBAL__N_125multi_tensor_apply_kernelINS1_28TensorListScalarListMetadataIiLi4EEENS1_28PointwiseOpScalarListFunctorIiLi4ELi3ELi3EEEJSt7dividesIiEEEEvT_T0_DpT1_.kd
    .uniform_work_group_size: 1
    .uses_dynamic_stack: false
    .vgpr_count:     56
    .vgpr_spill_count: 0
    .wavefront_size: 64
  - .agpr_count:     0
    .args:
      - .offset:         0
        .size:           3328
        .value_kind:     by_value
      - .offset:         3328
        .size:           1
        .value_kind:     by_value
      - .offset:         3329
        .size:           1
        .value_kind:     by_value
      - .offset:         3336
        .size:           4
        .value_kind:     hidden_block_count_x
      - .offset:         3340
        .size:           4
        .value_kind:     hidden_block_count_y
      - .offset:         3344
        .size:           4
        .value_kind:     hidden_block_count_z
      - .offset:         3348
        .size:           2
        .value_kind:     hidden_group_size_x
      - .offset:         3350
        .size:           2
        .value_kind:     hidden_group_size_y
      - .offset:         3352
        .size:           2
        .value_kind:     hidden_group_size_z
      - .offset:         3354
        .size:           2
        .value_kind:     hidden_remainder_x
      - .offset:         3356
        .size:           2
        .value_kind:     hidden_remainder_y
      - .offset:         3358
        .size:           2
        .value_kind:     hidden_remainder_z
      - .offset:         3376
        .size:           8
        .value_kind:     hidden_global_offset_x
      - .offset:         3384
        .size:           8
        .value_kind:     hidden_global_offset_y
      - .offset:         3392
        .size:           8
        .value_kind:     hidden_global_offset_z
      - .offset:         3400
        .size:           2
        .value_kind:     hidden_grid_dims
    .group_segment_fixed_size: 0
    .kernarg_segment_align: 8
    .kernarg_segment_size: 3592
    .language:       OpenCL C
    .language_version:
      - 2
      - 0
    .max_flat_workgroup_size: 512
    .name:           _ZN2at6native12_GLOBAL__N_125multi_tensor_apply_kernelINS1_28TensorListScalarListMetadataIlLi4EEENS1_28PointwiseOpScalarListFunctorIlLi4ELi3ELi3EEEJSt7dividesIlEEEEvT_T0_DpT1_
    .private_segment_fixed_size: 0
    .sgpr_count:     40
    .sgpr_spill_count: 0
    .symbol:         _ZN2at6native12_GLOBAL__N_125multi_tensor_apply_kernelINS1_28TensorListScalarListMetadataIlLi4EEENS1_28PointwiseOpScalarListFunctorIlLi4ELi3ELi3EEEJSt7dividesIlEEEEvT_T0_DpT1_.kd
    .uniform_work_group_size: 1
    .uses_dynamic_stack: false
    .vgpr_count:     75
    .vgpr_spill_count: 0
    .wavefront_size: 64
  - .agpr_count:     0
    .args:
      - .offset:         0
        .size:           3112
        .value_kind:     by_value
      - .offset:         3112
        .size:           1
        .value_kind:     by_value
      - .offset:         3113
        .size:           1
        .value_kind:     by_value
      - .offset:         3120
        .size:           4
        .value_kind:     hidden_block_count_x
      - .offset:         3124
        .size:           4
        .value_kind:     hidden_block_count_y
      - .offset:         3128
        .size:           4
        .value_kind:     hidden_block_count_z
      - .offset:         3132
        .size:           2
        .value_kind:     hidden_group_size_x
      - .offset:         3134
        .size:           2
        .value_kind:     hidden_group_size_y
      - .offset:         3136
        .size:           2
        .value_kind:     hidden_group_size_z
      - .offset:         3138
        .size:           2
        .value_kind:     hidden_remainder_x
      - .offset:         3140
        .size:           2
        .value_kind:     hidden_remainder_y
      - .offset:         3142
        .size:           2
        .value_kind:     hidden_remainder_z
      - .offset:         3160
        .size:           8
        .value_kind:     hidden_global_offset_x
      - .offset:         3168
        .size:           8
        .value_kind:     hidden_global_offset_y
      - .offset:         3176
        .size:           8
        .value_kind:     hidden_global_offset_z
      - .offset:         3184
        .size:           2
        .value_kind:     hidden_grid_dims
    .group_segment_fixed_size: 0
    .kernarg_segment_align: 8
    .kernarg_segment_size: 3376
    .language:       OpenCL C
    .language_version:
      - 2
      - 0
    .max_flat_workgroup_size: 512
    .name:           _ZN2at6native12_GLOBAL__N_125multi_tensor_apply_kernelINS1_28TensorListScalarListMetadataIsLi4EEENS1_28PointwiseOpScalarListFunctorIsLi4ELi3ELi3EEEJSt7dividesIsEEEEvT_T0_DpT1_
    .private_segment_fixed_size: 0
    .sgpr_count:     35
    .sgpr_spill_count: 0
    .symbol:         _ZN2at6native12_GLOBAL__N_125multi_tensor_apply_kernelINS1_28TensorListScalarListMetadataIsLi4EEENS1_28PointwiseOpScalarListFunctorIsLi4ELi3ELi3EEEJSt7dividesIsEEEEvT_T0_DpT1_.kd
    .uniform_work_group_size: 1
    .uses_dynamic_stack: false
    .vgpr_count:     56
    .vgpr_spill_count: 0
    .wavefront_size: 64
  - .agpr_count:     0
    .args:
      - .offset:         0
        .size:           3328
        .value_kind:     by_value
      - .offset:         3328
        .size:           1
        .value_kind:     by_value
      - .offset:         3329
        .size:           1
        .value_kind:     by_value
      - .offset:         3336
        .size:           4
        .value_kind:     hidden_block_count_x
      - .offset:         3340
        .size:           4
        .value_kind:     hidden_block_count_y
      - .offset:         3344
        .size:           4
        .value_kind:     hidden_block_count_z
      - .offset:         3348
        .size:           2
        .value_kind:     hidden_group_size_x
      - .offset:         3350
        .size:           2
        .value_kind:     hidden_group_size_y
      - .offset:         3352
        .size:           2
        .value_kind:     hidden_group_size_z
      - .offset:         3354
        .size:           2
        .value_kind:     hidden_remainder_x
      - .offset:         3356
        .size:           2
        .value_kind:     hidden_remainder_y
      - .offset:         3358
        .size:           2
        .value_kind:     hidden_remainder_z
      - .offset:         3376
        .size:           8
        .value_kind:     hidden_global_offset_x
      - .offset:         3384
        .size:           8
        .value_kind:     hidden_global_offset_y
      - .offset:         3392
        .size:           8
        .value_kind:     hidden_global_offset_z
      - .offset:         3400
        .size:           2
        .value_kind:     hidden_grid_dims
    .group_segment_fixed_size: 0
    .kernarg_segment_align: 8
    .kernarg_segment_size: 3592
    .language:       OpenCL C
    .language_version:
      - 2
      - 0
    .max_flat_workgroup_size: 512
    .name:           _ZN2at6native12_GLOBAL__N_125multi_tensor_apply_kernelINS1_28TensorListScalarListMetadataIdLi4EEENS1_28PointwiseOpScalarListFunctorIdLi4ELi3ELi3EEEJSt7dividesIdEEEEvT_T0_DpT1_
    .private_segment_fixed_size: 0
    .sgpr_count:     41
    .sgpr_spill_count: 0
    .symbol:         _ZN2at6native12_GLOBAL__N_125multi_tensor_apply_kernelINS1_28TensorListScalarListMetadataIdLi4EEENS1_28PointwiseOpScalarListFunctorIdLi4ELi3ELi3EEEJSt7dividesIdEEEEvT_T0_DpT1_.kd
    .uniform_work_group_size: 1
    .uses_dynamic_stack: false
    .vgpr_count:     74
    .vgpr_spill_count: 0
    .wavefront_size: 64
  - .agpr_count:     0
    .args:
      - .offset:         0
        .size:           3184
        .value_kind:     by_value
      - .offset:         3184
        .size:           1
        .value_kind:     by_value
      - .offset:         3185
        .size:           1
        .value_kind:     by_value
      - .offset:         3192
        .size:           4
        .value_kind:     hidden_block_count_x
      - .offset:         3196
        .size:           4
        .value_kind:     hidden_block_count_y
      - .offset:         3200
        .size:           4
        .value_kind:     hidden_block_count_z
      - .offset:         3204
        .size:           2
        .value_kind:     hidden_group_size_x
      - .offset:         3206
        .size:           2
        .value_kind:     hidden_group_size_y
      - .offset:         3208
        .size:           2
        .value_kind:     hidden_group_size_z
      - .offset:         3210
        .size:           2
        .value_kind:     hidden_remainder_x
      - .offset:         3212
        .size:           2
        .value_kind:     hidden_remainder_y
      - .offset:         3214
        .size:           2
        .value_kind:     hidden_remainder_z
      - .offset:         3232
        .size:           8
        .value_kind:     hidden_global_offset_x
      - .offset:         3240
        .size:           8
        .value_kind:     hidden_global_offset_y
      - .offset:         3248
        .size:           8
        .value_kind:     hidden_global_offset_z
      - .offset:         3256
        .size:           2
        .value_kind:     hidden_grid_dims
    .group_segment_fixed_size: 0
    .kernarg_segment_align: 8
    .kernarg_segment_size: 3448
    .language:       OpenCL C
    .language_version:
      - 2
      - 0
    .max_flat_workgroup_size: 512
    .name:           _ZN2at6native12_GLOBAL__N_125multi_tensor_apply_kernelINS1_28TensorListScalarListMetadataIfLi4EEENS1_28PointwiseOpScalarListFunctorIfLi4ELi3ELi3EEEJSt7dividesIfEEEEvT_T0_DpT1_
    .private_segment_fixed_size: 0
    .sgpr_count:     39
    .sgpr_spill_count: 0
    .symbol:         _ZN2at6native12_GLOBAL__N_125multi_tensor_apply_kernelINS1_28TensorListScalarListMetadataIfLi4EEENS1_28PointwiseOpScalarListFunctorIfLi4ELi3ELi3EEEJSt7dividesIfEEEEvT_T0_DpT1_.kd
    .uniform_work_group_size: 1
    .uses_dynamic_stack: false
    .vgpr_count:     58
    .vgpr_spill_count: 0
    .wavefront_size: 64
  - .agpr_count:     0
    .args:
      - .offset:         0
        .size:           3616
        .value_kind:     by_value
      - .offset:         3616
        .size:           1
        .value_kind:     by_value
      - .offset:         3617
        .size:           1
        .value_kind:     by_value
      - .offset:         3624
        .size:           4
        .value_kind:     hidden_block_count_x
      - .offset:         3628
        .size:           4
        .value_kind:     hidden_block_count_y
      - .offset:         3632
        .size:           4
        .value_kind:     hidden_block_count_z
      - .offset:         3636
        .size:           2
        .value_kind:     hidden_group_size_x
      - .offset:         3638
        .size:           2
        .value_kind:     hidden_group_size_y
      - .offset:         3640
        .size:           2
        .value_kind:     hidden_group_size_z
      - .offset:         3642
        .size:           2
        .value_kind:     hidden_remainder_x
      - .offset:         3644
        .size:           2
        .value_kind:     hidden_remainder_y
      - .offset:         3646
        .size:           2
        .value_kind:     hidden_remainder_z
      - .offset:         3664
        .size:           8
        .value_kind:     hidden_global_offset_x
      - .offset:         3672
        .size:           8
        .value_kind:     hidden_global_offset_y
      - .offset:         3680
        .size:           8
        .value_kind:     hidden_global_offset_z
      - .offset:         3688
        .size:           2
        .value_kind:     hidden_grid_dims
    .group_segment_fixed_size: 0
    .kernarg_segment_align: 16
    .kernarg_segment_size: 3880
    .language:       OpenCL C
    .language_version:
      - 2
      - 0
    .max_flat_workgroup_size: 512
    .name:           _ZN2at6native12_GLOBAL__N_125multi_tensor_apply_kernelINS1_28TensorListScalarListMetadataIN3c107complexIdEELi4EEENS1_28PointwiseOpScalarListFunctorIS6_Li4ELi3ELi3EEEJSt7dividesIS6_EEEEvT_T0_DpT1_
    .private_segment_fixed_size: 0
    .sgpr_count:     58
    .sgpr_spill_count: 0
    .symbol:         _ZN2at6native12_GLOBAL__N_125multi_tensor_apply_kernelINS1_28TensorListScalarListMetadataIN3c107complexIdEELi4EEENS1_28PointwiseOpScalarListFunctorIS6_Li4ELi3ELi3EEEJSt7dividesIS6_EEEEvT_T0_DpT1_.kd
    .uniform_work_group_size: 1
    .uses_dynamic_stack: false
    .vgpr_count:     100
    .vgpr_spill_count: 0
    .wavefront_size: 64
  - .agpr_count:     0
    .args:
      - .offset:         0
        .size:           3328
        .value_kind:     by_value
      - .offset:         3328
        .size:           1
        .value_kind:     by_value
      - .offset:         3329
        .size:           1
        .value_kind:     by_value
      - .offset:         3336
        .size:           4
        .value_kind:     hidden_block_count_x
      - .offset:         3340
        .size:           4
        .value_kind:     hidden_block_count_y
      - .offset:         3344
        .size:           4
        .value_kind:     hidden_block_count_z
      - .offset:         3348
        .size:           2
        .value_kind:     hidden_group_size_x
      - .offset:         3350
        .size:           2
        .value_kind:     hidden_group_size_y
      - .offset:         3352
        .size:           2
        .value_kind:     hidden_group_size_z
      - .offset:         3354
        .size:           2
        .value_kind:     hidden_remainder_x
      - .offset:         3356
        .size:           2
        .value_kind:     hidden_remainder_y
      - .offset:         3358
        .size:           2
        .value_kind:     hidden_remainder_z
      - .offset:         3376
        .size:           8
        .value_kind:     hidden_global_offset_x
      - .offset:         3384
        .size:           8
        .value_kind:     hidden_global_offset_y
      - .offset:         3392
        .size:           8
        .value_kind:     hidden_global_offset_z
      - .offset:         3400
        .size:           2
        .value_kind:     hidden_grid_dims
    .group_segment_fixed_size: 0
    .kernarg_segment_align: 8
    .kernarg_segment_size: 3592
    .language:       OpenCL C
    .language_version:
      - 2
      - 0
    .max_flat_workgroup_size: 512
    .name:           _ZN2at6native12_GLOBAL__N_125multi_tensor_apply_kernelINS1_28TensorListScalarListMetadataIN3c107complexIfEELi4EEENS1_28PointwiseOpScalarListFunctorIS6_Li4ELi3ELi3EEEJSt7dividesIS6_EEEEvT_T0_DpT1_
    .private_segment_fixed_size: 0
    .sgpr_count:     58
    .sgpr_spill_count: 0
    .symbol:         _ZN2at6native12_GLOBAL__N_125multi_tensor_apply_kernelINS1_28TensorListScalarListMetadataIN3c107complexIfEELi4EEENS1_28PointwiseOpScalarListFunctorIS6_Li4ELi3ELi3EEEJSt7dividesIS6_EEEEvT_T0_DpT1_.kd
    .uniform_work_group_size: 1
    .uses_dynamic_stack: false
    .vgpr_count:     68
    .vgpr_spill_count: 0
    .wavefront_size: 64
  - .agpr_count:     0
    .args:
      - .offset:         0
        .size:           3184
        .value_kind:     by_value
      - .offset:         3184
        .size:           1
        .value_kind:     by_value
      - .offset:         3185
        .size:           1
        .value_kind:     by_value
      - .offset:         3192
        .size:           4
        .value_kind:     hidden_block_count_x
      - .offset:         3196
        .size:           4
        .value_kind:     hidden_block_count_y
      - .offset:         3200
        .size:           4
        .value_kind:     hidden_block_count_z
      - .offset:         3204
        .size:           2
        .value_kind:     hidden_group_size_x
      - .offset:         3206
        .size:           2
        .value_kind:     hidden_group_size_y
      - .offset:         3208
        .size:           2
        .value_kind:     hidden_group_size_z
      - .offset:         3210
        .size:           2
        .value_kind:     hidden_remainder_x
      - .offset:         3212
        .size:           2
        .value_kind:     hidden_remainder_y
      - .offset:         3214
        .size:           2
        .value_kind:     hidden_remainder_z
      - .offset:         3232
        .size:           8
        .value_kind:     hidden_global_offset_x
      - .offset:         3240
        .size:           8
        .value_kind:     hidden_global_offset_y
      - .offset:         3248
        .size:           8
        .value_kind:     hidden_global_offset_z
      - .offset:         3256
        .size:           2
        .value_kind:     hidden_grid_dims
    .group_segment_fixed_size: 0
    .kernarg_segment_align: 8
    .kernarg_segment_size: 3448
    .language:       OpenCL C
    .language_version:
      - 2
      - 0
    .max_flat_workgroup_size: 512
    .name:           _ZN2at6native12_GLOBAL__N_125multi_tensor_apply_kernelINS1_28TensorListScalarListMetadataIfLi4EEENS1_28PointwiseOpScalarListFunctorIN3c104HalfELi4ELi3ELi3EEEJSt7dividesIfEEEEvT_T0_DpT1_
    .private_segment_fixed_size: 0
    .sgpr_count:     39
    .sgpr_spill_count: 0
    .symbol:         _ZN2at6native12_GLOBAL__N_125multi_tensor_apply_kernelINS1_28TensorListScalarListMetadataIfLi4EEENS1_28PointwiseOpScalarListFunctorIN3c104HalfELi4ELi3ELi3EEEJSt7dividesIfEEEEvT_T0_DpT1_.kd
    .uniform_work_group_size: 1
    .uses_dynamic_stack: false
    .vgpr_count:     58
    .vgpr_spill_count: 0
    .wavefront_size: 64
  - .agpr_count:     0
    .args:
      - .offset:         0
        .size:           3184
        .value_kind:     by_value
      - .offset:         3184
        .size:           1
        .value_kind:     by_value
      - .offset:         3185
        .size:           1
        .value_kind:     by_value
      - .offset:         3192
        .size:           4
        .value_kind:     hidden_block_count_x
      - .offset:         3196
        .size:           4
        .value_kind:     hidden_block_count_y
      - .offset:         3200
        .size:           4
        .value_kind:     hidden_block_count_z
      - .offset:         3204
        .size:           2
        .value_kind:     hidden_group_size_x
      - .offset:         3206
        .size:           2
        .value_kind:     hidden_group_size_y
      - .offset:         3208
        .size:           2
        .value_kind:     hidden_group_size_z
      - .offset:         3210
        .size:           2
        .value_kind:     hidden_remainder_x
      - .offset:         3212
        .size:           2
        .value_kind:     hidden_remainder_y
      - .offset:         3214
        .size:           2
        .value_kind:     hidden_remainder_z
      - .offset:         3232
        .size:           8
        .value_kind:     hidden_global_offset_x
      - .offset:         3240
        .size:           8
        .value_kind:     hidden_global_offset_y
      - .offset:         3248
        .size:           8
        .value_kind:     hidden_global_offset_z
      - .offset:         3256
        .size:           2
        .value_kind:     hidden_grid_dims
    .group_segment_fixed_size: 0
    .kernarg_segment_align: 8
    .kernarg_segment_size: 3448
    .language:       OpenCL C
    .language_version:
      - 2
      - 0
    .max_flat_workgroup_size: 512
    .name:           _ZN2at6native12_GLOBAL__N_125multi_tensor_apply_kernelINS1_28TensorListScalarListMetadataIfLi4EEENS1_28PointwiseOpScalarListFunctorIN3c108BFloat16ELi4ELi3ELi3EEEJSt7dividesIfEEEEvT_T0_DpT1_
    .private_segment_fixed_size: 0
    .sgpr_count:     40
    .sgpr_spill_count: 0
    .symbol:         _ZN2at6native12_GLOBAL__N_125multi_tensor_apply_kernelINS1_28TensorListScalarListMetadataIfLi4EEENS1_28PointwiseOpScalarListFunctorIN3c108BFloat16ELi4ELi3ELi3EEEJSt7dividesIfEEEEvT_T0_DpT1_.kd
    .uniform_work_group_size: 1
    .uses_dynamic_stack: false
    .vgpr_count:     57
    .vgpr_spill_count: 0
    .wavefront_size: 64
  - .agpr_count:     0
    .args:
      - .offset:         0
        .size:           3184
        .value_kind:     by_value
      - .offset:         3184
        .size:           1
        .value_kind:     by_value
      - .offset:         3185
        .size:           1
        .value_kind:     by_value
      - .offset:         3192
        .size:           4
        .value_kind:     hidden_block_count_x
      - .offset:         3196
        .size:           4
        .value_kind:     hidden_block_count_y
      - .offset:         3200
        .size:           4
        .value_kind:     hidden_block_count_z
      - .offset:         3204
        .size:           2
        .value_kind:     hidden_group_size_x
      - .offset:         3206
        .size:           2
        .value_kind:     hidden_group_size_y
      - .offset:         3208
        .size:           2
        .value_kind:     hidden_group_size_z
      - .offset:         3210
        .size:           2
        .value_kind:     hidden_remainder_x
      - .offset:         3212
        .size:           2
        .value_kind:     hidden_remainder_y
      - .offset:         3214
        .size:           2
        .value_kind:     hidden_remainder_z
      - .offset:         3232
        .size:           8
        .value_kind:     hidden_global_offset_x
      - .offset:         3240
        .size:           8
        .value_kind:     hidden_global_offset_y
      - .offset:         3248
        .size:           8
        .value_kind:     hidden_global_offset_z
      - .offset:         3256
        .size:           2
        .value_kind:     hidden_grid_dims
    .group_segment_fixed_size: 0
    .kernarg_segment_align: 8
    .kernarg_segment_size: 3448
    .language:       OpenCL C
    .language_version:
      - 2
      - 0
    .max_flat_workgroup_size: 512
    .name:           _ZN2at6native12_GLOBAL__N_125multi_tensor_apply_kernelINS1_28TensorListScalarListMetadataIhLi3EEENS1_28PointwiseOpScalarListFunctorIhLi3ELi3ELi0EEEJSt7dividesIhEEEEvT_T0_DpT1_
    .private_segment_fixed_size: 0
    .sgpr_count:     29
    .sgpr_spill_count: 0
    .symbol:         _ZN2at6native12_GLOBAL__N_125multi_tensor_apply_kernelINS1_28TensorListScalarListMetadataIhLi3EEENS1_28PointwiseOpScalarListFunctorIhLi3ELi3ELi0EEEJSt7dividesIhEEEEvT_T0_DpT1_.kd
    .uniform_work_group_size: 1
    .uses_dynamic_stack: false
    .vgpr_count:     48
    .vgpr_spill_count: 0
    .wavefront_size: 64
  - .agpr_count:     0
    .args:
      - .offset:         0
        .size:           3184
        .value_kind:     by_value
      - .offset:         3184
        .size:           1
        .value_kind:     by_value
      - .offset:         3185
        .size:           1
        .value_kind:     by_value
      - .offset:         3192
        .size:           4
        .value_kind:     hidden_block_count_x
      - .offset:         3196
        .size:           4
        .value_kind:     hidden_block_count_y
      - .offset:         3200
        .size:           4
        .value_kind:     hidden_block_count_z
      - .offset:         3204
        .size:           2
        .value_kind:     hidden_group_size_x
      - .offset:         3206
        .size:           2
        .value_kind:     hidden_group_size_y
      - .offset:         3208
        .size:           2
        .value_kind:     hidden_group_size_z
      - .offset:         3210
        .size:           2
        .value_kind:     hidden_remainder_x
      - .offset:         3212
        .size:           2
        .value_kind:     hidden_remainder_y
      - .offset:         3214
        .size:           2
        .value_kind:     hidden_remainder_z
      - .offset:         3232
        .size:           8
        .value_kind:     hidden_global_offset_x
      - .offset:         3240
        .size:           8
        .value_kind:     hidden_global_offset_y
      - .offset:         3248
        .size:           8
        .value_kind:     hidden_global_offset_z
      - .offset:         3256
        .size:           2
        .value_kind:     hidden_grid_dims
    .group_segment_fixed_size: 0
    .kernarg_segment_align: 8
    .kernarg_segment_size: 3448
    .language:       OpenCL C
    .language_version:
      - 2
      - 0
    .max_flat_workgroup_size: 512
    .name:           _ZN2at6native12_GLOBAL__N_125multi_tensor_apply_kernelINS1_28TensorListScalarListMetadataIaLi3EEENS1_28PointwiseOpScalarListFunctorIaLi3ELi3ELi0EEEJSt7dividesIaEEEEvT_T0_DpT1_
    .private_segment_fixed_size: 0
    .sgpr_count:     29
    .sgpr_spill_count: 0
    .symbol:         _ZN2at6native12_GLOBAL__N_125multi_tensor_apply_kernelINS1_28TensorListScalarListMetadataIaLi3EEENS1_28PointwiseOpScalarListFunctorIaLi3ELi3ELi0EEEJSt7dividesIaEEEEvT_T0_DpT1_.kd
    .uniform_work_group_size: 1
    .uses_dynamic_stack: false
    .vgpr_count:     48
    .vgpr_spill_count: 0
    .wavefront_size: 64
  - .agpr_count:     0
    .args:
      - .offset:         0
        .size:           3328
        .value_kind:     by_value
      - .offset:         3328
        .size:           1
        .value_kind:     by_value
      - .offset:         3329
        .size:           1
        .value_kind:     by_value
      - .offset:         3336
        .size:           4
        .value_kind:     hidden_block_count_x
      - .offset:         3340
        .size:           4
        .value_kind:     hidden_block_count_y
      - .offset:         3344
        .size:           4
        .value_kind:     hidden_block_count_z
      - .offset:         3348
        .size:           2
        .value_kind:     hidden_group_size_x
      - .offset:         3350
        .size:           2
        .value_kind:     hidden_group_size_y
      - .offset:         3352
        .size:           2
        .value_kind:     hidden_group_size_z
      - .offset:         3354
        .size:           2
        .value_kind:     hidden_remainder_x
      - .offset:         3356
        .size:           2
        .value_kind:     hidden_remainder_y
      - .offset:         3358
        .size:           2
        .value_kind:     hidden_remainder_z
      - .offset:         3376
        .size:           8
        .value_kind:     hidden_global_offset_x
      - .offset:         3384
        .size:           8
        .value_kind:     hidden_global_offset_y
      - .offset:         3392
        .size:           8
        .value_kind:     hidden_global_offset_z
      - .offset:         3400
        .size:           2
        .value_kind:     hidden_grid_dims
    .group_segment_fixed_size: 0
    .kernarg_segment_align: 8
    .kernarg_segment_size: 3592
    .language:       OpenCL C
    .language_version:
      - 2
      - 0
    .max_flat_workgroup_size: 512
    .name:           _ZN2at6native12_GLOBAL__N_125multi_tensor_apply_kernelINS1_28TensorListScalarListMetadataIiLi3EEENS1_28PointwiseOpScalarListFunctorIiLi3ELi3ELi0EEEJSt7dividesIiEEEEvT_T0_DpT1_
    .private_segment_fixed_size: 0
    .sgpr_count:     34
    .sgpr_spill_count: 0
    .symbol:         _ZN2at6native12_GLOBAL__N_125multi_tensor_apply_kernelINS1_28TensorListScalarListMetadataIiLi3EEENS1_28PointwiseOpScalarListFunctorIiLi3ELi3ELi0EEEJSt7dividesIiEEEEvT_T0_DpT1_.kd
    .uniform_work_group_size: 1
    .uses_dynamic_stack: false
    .vgpr_count:     48
    .vgpr_spill_count: 0
    .wavefront_size: 64
  - .agpr_count:     0
    .args:
      - .offset:         0
        .size:           3520
        .value_kind:     by_value
      - .offset:         3520
        .size:           1
        .value_kind:     by_value
      - .offset:         3521
        .size:           1
        .value_kind:     by_value
      - .offset:         3528
        .size:           4
        .value_kind:     hidden_block_count_x
      - .offset:         3532
        .size:           4
        .value_kind:     hidden_block_count_y
      - .offset:         3536
        .size:           4
        .value_kind:     hidden_block_count_z
      - .offset:         3540
        .size:           2
        .value_kind:     hidden_group_size_x
      - .offset:         3542
        .size:           2
        .value_kind:     hidden_group_size_y
      - .offset:         3544
        .size:           2
        .value_kind:     hidden_group_size_z
      - .offset:         3546
        .size:           2
        .value_kind:     hidden_remainder_x
      - .offset:         3548
        .size:           2
        .value_kind:     hidden_remainder_y
      - .offset:         3550
        .size:           2
        .value_kind:     hidden_remainder_z
      - .offset:         3568
        .size:           8
        .value_kind:     hidden_global_offset_x
      - .offset:         3576
        .size:           8
        .value_kind:     hidden_global_offset_y
      - .offset:         3584
        .size:           8
        .value_kind:     hidden_global_offset_z
      - .offset:         3592
        .size:           2
        .value_kind:     hidden_grid_dims
    .group_segment_fixed_size: 0
    .kernarg_segment_align: 8
    .kernarg_segment_size: 3784
    .language:       OpenCL C
    .language_version:
      - 2
      - 0
    .max_flat_workgroup_size: 512
    .name:           _ZN2at6native12_GLOBAL__N_125multi_tensor_apply_kernelINS1_28TensorListScalarListMetadataIlLi3EEENS1_28PointwiseOpScalarListFunctorIlLi3ELi3ELi0EEEJSt7dividesIlEEEEvT_T0_DpT1_
    .private_segment_fixed_size: 0
    .sgpr_count:     38
    .sgpr_spill_count: 0
    .symbol:         _ZN2at6native12_GLOBAL__N_125multi_tensor_apply_kernelINS1_28TensorListScalarListMetadataIlLi3EEENS1_28PointwiseOpScalarListFunctorIlLi3ELi3ELi0EEEJSt7dividesIlEEEEvT_T0_DpT1_.kd
    .uniform_work_group_size: 1
    .uses_dynamic_stack: false
    .vgpr_count:     67
    .vgpr_spill_count: 0
    .wavefront_size: 64
  - .agpr_count:     0
    .args:
      - .offset:         0
        .size:           3232
        .value_kind:     by_value
      - .offset:         3232
        .size:           1
        .value_kind:     by_value
      - .offset:         3233
        .size:           1
        .value_kind:     by_value
      - .offset:         3240
        .size:           4
        .value_kind:     hidden_block_count_x
      - .offset:         3244
        .size:           4
        .value_kind:     hidden_block_count_y
      - .offset:         3248
        .size:           4
        .value_kind:     hidden_block_count_z
      - .offset:         3252
        .size:           2
        .value_kind:     hidden_group_size_x
      - .offset:         3254
        .size:           2
        .value_kind:     hidden_group_size_y
      - .offset:         3256
        .size:           2
        .value_kind:     hidden_group_size_z
      - .offset:         3258
        .size:           2
        .value_kind:     hidden_remainder_x
      - .offset:         3260
        .size:           2
        .value_kind:     hidden_remainder_y
      - .offset:         3262
        .size:           2
        .value_kind:     hidden_remainder_z
      - .offset:         3280
        .size:           8
        .value_kind:     hidden_global_offset_x
      - .offset:         3288
        .size:           8
        .value_kind:     hidden_global_offset_y
      - .offset:         3296
        .size:           8
        .value_kind:     hidden_global_offset_z
      - .offset:         3304
        .size:           2
        .value_kind:     hidden_grid_dims
    .group_segment_fixed_size: 0
    .kernarg_segment_align: 8
    .kernarg_segment_size: 3496
    .language:       OpenCL C
    .language_version:
      - 2
      - 0
    .max_flat_workgroup_size: 512
    .name:           _ZN2at6native12_GLOBAL__N_125multi_tensor_apply_kernelINS1_28TensorListScalarListMetadataIsLi3EEENS1_28PointwiseOpScalarListFunctorIsLi3ELi3ELi0EEEJSt7dividesIsEEEEvT_T0_DpT1_
    .private_segment_fixed_size: 0
    .sgpr_count:     33
    .sgpr_spill_count: 0
    .symbol:         _ZN2at6native12_GLOBAL__N_125multi_tensor_apply_kernelINS1_28TensorListScalarListMetadataIsLi3EEENS1_28PointwiseOpScalarListFunctorIsLi3ELi3ELi0EEEJSt7dividesIsEEEEvT_T0_DpT1_.kd
    .uniform_work_group_size: 1
    .uses_dynamic_stack: false
    .vgpr_count:     48
    .vgpr_spill_count: 0
    .wavefront_size: 64
  - .agpr_count:     0
    .args:
      - .offset:         0
        .size:           3520
        .value_kind:     by_value
      - .offset:         3520
        .size:           1
        .value_kind:     by_value
      - .offset:         3521
        .size:           1
        .value_kind:     by_value
      - .offset:         3528
        .size:           4
        .value_kind:     hidden_block_count_x
      - .offset:         3532
        .size:           4
        .value_kind:     hidden_block_count_y
      - .offset:         3536
        .size:           4
        .value_kind:     hidden_block_count_z
      - .offset:         3540
        .size:           2
        .value_kind:     hidden_group_size_x
      - .offset:         3542
        .size:           2
        .value_kind:     hidden_group_size_y
      - .offset:         3544
        .size:           2
        .value_kind:     hidden_group_size_z
      - .offset:         3546
        .size:           2
        .value_kind:     hidden_remainder_x
      - .offset:         3548
        .size:           2
        .value_kind:     hidden_remainder_y
      - .offset:         3550
        .size:           2
        .value_kind:     hidden_remainder_z
      - .offset:         3568
        .size:           8
        .value_kind:     hidden_global_offset_x
      - .offset:         3576
        .size:           8
        .value_kind:     hidden_global_offset_y
      - .offset:         3584
        .size:           8
        .value_kind:     hidden_global_offset_z
      - .offset:         3592
        .size:           2
        .value_kind:     hidden_grid_dims
    .group_segment_fixed_size: 0
    .kernarg_segment_align: 8
    .kernarg_segment_size: 3784
    .language:       OpenCL C
    .language_version:
      - 2
      - 0
    .max_flat_workgroup_size: 512
    .name:           _ZN2at6native12_GLOBAL__N_125multi_tensor_apply_kernelINS1_28TensorListScalarListMetadataIdLi3EEENS1_28PointwiseOpScalarListFunctorIdLi3ELi3ELi0EEEJSt7dividesIdEEEEvT_T0_DpT1_
    .private_segment_fixed_size: 0
    .sgpr_count:     38
    .sgpr_spill_count: 0
    .symbol:         _ZN2at6native12_GLOBAL__N_125multi_tensor_apply_kernelINS1_28TensorListScalarListMetadataIdLi3EEENS1_28PointwiseOpScalarListFunctorIdLi3ELi3ELi0EEEJSt7dividesIdEEEEvT_T0_DpT1_.kd
    .uniform_work_group_size: 1
    .uses_dynamic_stack: false
    .vgpr_count:     66
    .vgpr_spill_count: 0
    .wavefront_size: 64
  - .agpr_count:     0
    .args:
      - .offset:         0
        .size:           3328
        .value_kind:     by_value
      - .offset:         3328
        .size:           1
        .value_kind:     by_value
      - .offset:         3329
        .size:           1
        .value_kind:     by_value
      - .offset:         3336
        .size:           4
        .value_kind:     hidden_block_count_x
      - .offset:         3340
        .size:           4
        .value_kind:     hidden_block_count_y
      - .offset:         3344
        .size:           4
        .value_kind:     hidden_block_count_z
      - .offset:         3348
        .size:           2
        .value_kind:     hidden_group_size_x
      - .offset:         3350
        .size:           2
        .value_kind:     hidden_group_size_y
      - .offset:         3352
        .size:           2
        .value_kind:     hidden_group_size_z
      - .offset:         3354
        .size:           2
        .value_kind:     hidden_remainder_x
      - .offset:         3356
        .size:           2
        .value_kind:     hidden_remainder_y
      - .offset:         3358
        .size:           2
        .value_kind:     hidden_remainder_z
      - .offset:         3376
        .size:           8
        .value_kind:     hidden_global_offset_x
      - .offset:         3384
        .size:           8
        .value_kind:     hidden_global_offset_y
      - .offset:         3392
        .size:           8
        .value_kind:     hidden_global_offset_z
      - .offset:         3400
        .size:           2
        .value_kind:     hidden_grid_dims
    .group_segment_fixed_size: 0
    .kernarg_segment_align: 8
    .kernarg_segment_size: 3592
    .language:       OpenCL C
    .language_version:
      - 2
      - 0
    .max_flat_workgroup_size: 512
    .name:           _ZN2at6native12_GLOBAL__N_125multi_tensor_apply_kernelINS1_28TensorListScalarListMetadataIfLi3EEENS1_28PointwiseOpScalarListFunctorIfLi3ELi3ELi0EEEJSt7dividesIfEEEEvT_T0_DpT1_
    .private_segment_fixed_size: 0
    .sgpr_count:     36
    .sgpr_spill_count: 0
    .symbol:         _ZN2at6native12_GLOBAL__N_125multi_tensor_apply_kernelINS1_28TensorListScalarListMetadataIfLi3EEENS1_28PointwiseOpScalarListFunctorIfLi3ELi3ELi0EEEJSt7dividesIfEEEEvT_T0_DpT1_.kd
    .uniform_work_group_size: 1
    .uses_dynamic_stack: false
    .vgpr_count:     50
    .vgpr_spill_count: 0
    .wavefront_size: 64
  - .agpr_count:     0
    .args:
      - .offset:         0
        .size:           3904
        .value_kind:     by_value
      - .offset:         3904
        .size:           1
        .value_kind:     by_value
      - .offset:         3905
        .size:           1
        .value_kind:     by_value
      - .offset:         3912
        .size:           4
        .value_kind:     hidden_block_count_x
      - .offset:         3916
        .size:           4
        .value_kind:     hidden_block_count_y
      - .offset:         3920
        .size:           4
        .value_kind:     hidden_block_count_z
      - .offset:         3924
        .size:           2
        .value_kind:     hidden_group_size_x
      - .offset:         3926
        .size:           2
        .value_kind:     hidden_group_size_y
      - .offset:         3928
        .size:           2
        .value_kind:     hidden_group_size_z
      - .offset:         3930
        .size:           2
        .value_kind:     hidden_remainder_x
      - .offset:         3932
        .size:           2
        .value_kind:     hidden_remainder_y
      - .offset:         3934
        .size:           2
        .value_kind:     hidden_remainder_z
      - .offset:         3952
        .size:           8
        .value_kind:     hidden_global_offset_x
      - .offset:         3960
        .size:           8
        .value_kind:     hidden_global_offset_y
      - .offset:         3968
        .size:           8
        .value_kind:     hidden_global_offset_z
      - .offset:         3976
        .size:           2
        .value_kind:     hidden_grid_dims
    .group_segment_fixed_size: 0
    .kernarg_segment_align: 16
    .kernarg_segment_size: 4168
    .language:       OpenCL C
    .language_version:
      - 2
      - 0
    .max_flat_workgroup_size: 512
    .name:           _ZN2at6native12_GLOBAL__N_125multi_tensor_apply_kernelINS1_28TensorListScalarListMetadataIN3c107complexIdEELi3EEENS1_28PointwiseOpScalarListFunctorIS6_Li3ELi3ELi0EEEJSt7dividesIS6_EEEEvT_T0_DpT1_
    .private_segment_fixed_size: 0
    .sgpr_count:     56
    .sgpr_spill_count: 0
    .symbol:         _ZN2at6native12_GLOBAL__N_125multi_tensor_apply_kernelINS1_28TensorListScalarListMetadataIN3c107complexIdEELi3EEENS1_28PointwiseOpScalarListFunctorIS6_Li3ELi3ELi0EEEJSt7dividesIS6_EEEEvT_T0_DpT1_.kd
    .uniform_work_group_size: 1
    .uses_dynamic_stack: false
    .vgpr_count:     92
    .vgpr_spill_count: 0
    .wavefront_size: 64
  - .agpr_count:     0
    .args:
      - .offset:         0
        .size:           3520
        .value_kind:     by_value
      - .offset:         3520
        .size:           1
        .value_kind:     by_value
      - .offset:         3521
        .size:           1
        .value_kind:     by_value
      - .offset:         3528
        .size:           4
        .value_kind:     hidden_block_count_x
      - .offset:         3532
        .size:           4
        .value_kind:     hidden_block_count_y
      - .offset:         3536
        .size:           4
        .value_kind:     hidden_block_count_z
      - .offset:         3540
        .size:           2
        .value_kind:     hidden_group_size_x
      - .offset:         3542
        .size:           2
        .value_kind:     hidden_group_size_y
      - .offset:         3544
        .size:           2
        .value_kind:     hidden_group_size_z
      - .offset:         3546
        .size:           2
        .value_kind:     hidden_remainder_x
      - .offset:         3548
        .size:           2
        .value_kind:     hidden_remainder_y
      - .offset:         3550
        .size:           2
        .value_kind:     hidden_remainder_z
      - .offset:         3568
        .size:           8
        .value_kind:     hidden_global_offset_x
      - .offset:         3576
        .size:           8
        .value_kind:     hidden_global_offset_y
      - .offset:         3584
        .size:           8
        .value_kind:     hidden_global_offset_z
      - .offset:         3592
        .size:           2
        .value_kind:     hidden_grid_dims
    .group_segment_fixed_size: 0
    .kernarg_segment_align: 8
    .kernarg_segment_size: 3784
    .language:       OpenCL C
    .language_version:
      - 2
      - 0
    .max_flat_workgroup_size: 512
    .name:           _ZN2at6native12_GLOBAL__N_125multi_tensor_apply_kernelINS1_28TensorListScalarListMetadataIN3c107complexIfEELi3EEENS1_28PointwiseOpScalarListFunctorIS6_Li3ELi3ELi0EEEJSt7dividesIS6_EEEEvT_T0_DpT1_
    .private_segment_fixed_size: 0
    .sgpr_count:     48
    .sgpr_spill_count: 0
    .symbol:         _ZN2at6native12_GLOBAL__N_125multi_tensor_apply_kernelINS1_28TensorListScalarListMetadataIN3c107complexIfEELi3EEENS1_28PointwiseOpScalarListFunctorIS6_Li3ELi3ELi0EEEJSt7dividesIS6_EEEEvT_T0_DpT1_.kd
    .uniform_work_group_size: 1
    .uses_dynamic_stack: false
    .vgpr_count:     64
    .vgpr_spill_count: 0
    .wavefront_size: 64
  - .agpr_count:     0
    .args:
      - .offset:         0
        .size:           3328
        .value_kind:     by_value
      - .offset:         3328
        .size:           1
        .value_kind:     by_value
      - .offset:         3329
        .size:           1
        .value_kind:     by_value
      - .offset:         3336
        .size:           4
        .value_kind:     hidden_block_count_x
      - .offset:         3340
        .size:           4
        .value_kind:     hidden_block_count_y
      - .offset:         3344
        .size:           4
        .value_kind:     hidden_block_count_z
      - .offset:         3348
        .size:           2
        .value_kind:     hidden_group_size_x
      - .offset:         3350
        .size:           2
        .value_kind:     hidden_group_size_y
      - .offset:         3352
        .size:           2
        .value_kind:     hidden_group_size_z
      - .offset:         3354
        .size:           2
        .value_kind:     hidden_remainder_x
      - .offset:         3356
        .size:           2
        .value_kind:     hidden_remainder_y
      - .offset:         3358
        .size:           2
        .value_kind:     hidden_remainder_z
      - .offset:         3376
        .size:           8
        .value_kind:     hidden_global_offset_x
      - .offset:         3384
        .size:           8
        .value_kind:     hidden_global_offset_y
      - .offset:         3392
        .size:           8
        .value_kind:     hidden_global_offset_z
      - .offset:         3400
        .size:           2
        .value_kind:     hidden_grid_dims
    .group_segment_fixed_size: 0
    .kernarg_segment_align: 8
    .kernarg_segment_size: 3592
    .language:       OpenCL C
    .language_version:
      - 2
      - 0
    .max_flat_workgroup_size: 512
    .name:           _ZN2at6native12_GLOBAL__N_125multi_tensor_apply_kernelINS1_28TensorListScalarListMetadataIfLi3EEENS1_28PointwiseOpScalarListFunctorIN3c104HalfELi3ELi3ELi0EEEJSt7dividesIfEEEEvT_T0_DpT1_
    .private_segment_fixed_size: 0
    .sgpr_count:     36
    .sgpr_spill_count: 0
    .symbol:         _ZN2at6native12_GLOBAL__N_125multi_tensor_apply_kernelINS1_28TensorListScalarListMetadataIfLi3EEENS1_28PointwiseOpScalarListFunctorIN3c104HalfELi3ELi3ELi0EEEJSt7dividesIfEEEEvT_T0_DpT1_.kd
    .uniform_work_group_size: 1
    .uses_dynamic_stack: false
    .vgpr_count:     50
    .vgpr_spill_count: 0
    .wavefront_size: 64
  - .agpr_count:     0
    .args:
      - .offset:         0
        .size:           3328
        .value_kind:     by_value
      - .offset:         3328
        .size:           1
        .value_kind:     by_value
      - .offset:         3329
        .size:           1
        .value_kind:     by_value
      - .offset:         3336
        .size:           4
        .value_kind:     hidden_block_count_x
      - .offset:         3340
        .size:           4
        .value_kind:     hidden_block_count_y
      - .offset:         3344
        .size:           4
        .value_kind:     hidden_block_count_z
      - .offset:         3348
        .size:           2
        .value_kind:     hidden_group_size_x
      - .offset:         3350
        .size:           2
        .value_kind:     hidden_group_size_y
      - .offset:         3352
        .size:           2
        .value_kind:     hidden_group_size_z
      - .offset:         3354
        .size:           2
        .value_kind:     hidden_remainder_x
      - .offset:         3356
        .size:           2
        .value_kind:     hidden_remainder_y
      - .offset:         3358
        .size:           2
        .value_kind:     hidden_remainder_z
      - .offset:         3376
        .size:           8
        .value_kind:     hidden_global_offset_x
      - .offset:         3384
        .size:           8
        .value_kind:     hidden_global_offset_y
      - .offset:         3392
        .size:           8
        .value_kind:     hidden_global_offset_z
      - .offset:         3400
        .size:           2
        .value_kind:     hidden_grid_dims
    .group_segment_fixed_size: 0
    .kernarg_segment_align: 8
    .kernarg_segment_size: 3592
    .language:       OpenCL C
    .language_version:
      - 2
      - 0
    .max_flat_workgroup_size: 512
    .name:           _ZN2at6native12_GLOBAL__N_125multi_tensor_apply_kernelINS1_28TensorListScalarListMetadataIfLi3EEENS1_28PointwiseOpScalarListFunctorIN3c108BFloat16ELi3ELi3ELi0EEEJSt7dividesIfEEEEvT_T0_DpT1_
    .private_segment_fixed_size: 0
    .sgpr_count:     38
    .sgpr_spill_count: 0
    .symbol:         _ZN2at6native12_GLOBAL__N_125multi_tensor_apply_kernelINS1_28TensorListScalarListMetadataIfLi3EEENS1_28PointwiseOpScalarListFunctorIN3c108BFloat16ELi3ELi3ELi0EEEJSt7dividesIfEEEEvT_T0_DpT1_.kd
    .uniform_work_group_size: 1
    .uses_dynamic_stack: false
    .vgpr_count:     49
    .vgpr_spill_count: 0
    .wavefront_size: 64
amdhsa.target:   amdgcn-amd-amdhsa--gfx90a
amdhsa.version:
  - 1
  - 2
...

	.end_amdgpu_metadata
